;; amdgpu-corpus repo=ggml-org/llama.cpp kind=compiled arch=gfx1100 opt=O3
	.text
	.amdgcn_target "amdgcn-amd-amdhsa--gfx1100"
	.amdhsa_code_object_version 6
	.section	.text._ZL15flash_attn_tileILi256ELi256ELi4ELi8ELb0EEvPKcS1_S1_S1_S1_PKiPfP15HIP_vector_typeIfLj2EEffffjfiS5_IjLj3EEiiiiiiiiiiiliiliiiiil,"axG",@progbits,_ZL15flash_attn_tileILi256ELi256ELi4ELi8ELb0EEvPKcS1_S1_S1_S1_PKiPfP15HIP_vector_typeIfLj2EEffffjfiS5_IjLj3EEiiiiiiiiiiiliiliiiiil,comdat
	.globl	_ZL15flash_attn_tileILi256ELi256ELi4ELi8ELb0EEvPKcS1_S1_S1_S1_PKiPfP15HIP_vector_typeIfLj2EEffffjfiS5_IjLj3EEiiiiiiiiiiiliiliiiiil ; -- Begin function _ZL15flash_attn_tileILi256ELi256ELi4ELi8ELb0EEvPKcS1_S1_S1_S1_PKiPfP15HIP_vector_typeIfLj2EEffffjfiS5_IjLj3EEiiiiiiiiiiiliiliiiiil
	.p2align	8
	.type	_ZL15flash_attn_tileILi256ELi256ELi4ELi8ELb0EEvPKcS1_S1_S1_S1_PKiPfP15HIP_vector_typeIfLj2EEffffjfiS5_IjLj3EEiiiiiiiiiiiliiliiiiil,@function
_ZL15flash_attn_tileILi256ELi256ELi4ELi8ELb0EEvPKcS1_S1_S1_S1_PKiPfP15HIP_vector_typeIfLj2EEffffjfiS5_IjLj3EEiiiiiiiiiiiliiliiiiil: ; @_ZL15flash_attn_tileILi256ELi256ELi4ELi8ELb0EEvPKcS1_S1_S1_S1_PKiPfP15HIP_vector_typeIfLj2EEffffjfiS5_IjLj3EEiiiiiiiiiiiliiliiiiil
; %bb.0:
	s_clause 0x1
	s_load_b128 s[24:27], s[0:1], 0x5c
	s_load_b64 s[28:29], s[0:1], 0x80
	s_mov_b64 s[30:31], 0
	s_waitcnt lgkmcnt(0)
	s_ashr_i32 s2, s27, 31
	s_delay_alu instid0(SALU_CYCLE_1) | instskip(NEXT) | instid1(SALU_CYCLE_1)
	s_lshr_b32 s2, s2, 29
	s_add_i32 s2, s27, s2
	s_delay_alu instid0(SALU_CYCLE_1) | instskip(NEXT) | instid1(SALU_CYCLE_1)
	s_ashr_i32 s2, s2, 3
	v_cvt_f32_u32_e32 v1, s2
	s_sub_i32 s4, 0, s2
	s_delay_alu instid0(VALU_DEP_1) | instskip(SKIP_2) | instid1(VALU_DEP_1)
	v_rcp_iflag_f32_e32 v1, v1
	s_waitcnt_depctr 0xfff
	v_mul_f32_e32 v1, 0x4f7ffffe, v1
	v_cvt_u32_f32_e32 v1, v1
	s_delay_alu instid0(VALU_DEP_1) | instskip(NEXT) | instid1(VALU_DEP_1)
	v_readfirstlane_b32 s3, v1
	s_mul_i32 s4, s4, s3
	s_delay_alu instid0(SALU_CYCLE_1) | instskip(NEXT) | instid1(SALU_CYCLE_1)
	s_mul_hi_u32 s4, s3, s4
	s_add_i32 s3, s3, s4
	s_delay_alu instid0(SALU_CYCLE_1) | instskip(NEXT) | instid1(SALU_CYCLE_1)
	s_mul_hi_u32 s3, s15, s3
	s_mul_i32 s4, s3, s2
	s_add_i32 s5, s3, 1
	s_sub_i32 s4, s15, s4
	s_delay_alu instid0(SALU_CYCLE_1)
	s_sub_i32 s6, s4, s2
	s_cmp_ge_u32 s4, s2
	s_cselect_b32 s3, s5, s3
	s_cselect_b32 s4, s6, s4
	s_add_i32 s5, s3, 1
	s_cmp_ge_u32 s4, s2
	s_cselect_b32 s33, s5, s3
	s_abs_i32 s2, s29
	s_abs_i32 s7, s27
	v_cvt_f32_u32_e32 v1, s2
	s_sub_i32 s4, 0, s2
	s_lshl_b32 s5, s15, 3
	s_mul_i32 s6, s33, s27
	s_delay_alu instid0(VALU_DEP_1) | instskip(SKIP_3) | instid1(VALU_DEP_1)
	v_rcp_iflag_f32_e32 v1, v1
	s_sub_i32 s52, s5, s6
	s_waitcnt_depctr 0xfff
	v_mul_f32_e32 v1, 0x4f7ffffe, v1
	v_cvt_u32_f32_e32 v1, v1
	s_delay_alu instid0(VALU_DEP_1) | instskip(NEXT) | instid1(VALU_DEP_1)
	v_readfirstlane_b32 s3, v1
	s_mul_i32 s4, s4, s3
	s_delay_alu instid0(SALU_CYCLE_1) | instskip(NEXT) | instid1(SALU_CYCLE_1)
	s_mul_hi_u32 s4, s3, s4
	s_add_i32 s3, s3, s4
	s_xor_b32 s4, s27, s29
	s_mul_hi_u32 s3, s7, s3
	s_ashr_i32 s4, s4, 31
	s_mul_i32 s5, s3, s2
	s_add_i32 s6, s3, 1
	s_sub_i32 s5, s7, s5
	s_delay_alu instid0(SALU_CYCLE_1)
	s_sub_i32 s7, s5, s2
	s_cmp_ge_u32 s5, s2
	s_cselect_b32 s3, s6, s3
	s_cselect_b32 s5, s7, s5
	s_add_i32 s6, s3, 1
	s_cmp_ge_u32 s5, s2
	s_cselect_b32 s2, s6, s3
	s_delay_alu instid0(SALU_CYCLE_1) | instskip(NEXT) | instid1(SALU_CYCLE_1)
	s_xor_b32 s2, s2, s4
	s_sub_i32 s9, s2, s4
	s_clause 0x1
	s_load_b512 s[36:51], s[0:1], 0x0
	s_load_b64 s[2:3], s[0:1], 0xb8
	s_abs_i32 s8, s9
	s_delay_alu instid0(SALU_CYCLE_1) | instskip(NEXT) | instid1(VALU_DEP_1)
	v_cvt_f32_u32_e32 v1, s8
	v_rcp_iflag_f32_e32 v1, v1
	s_waitcnt_depctr 0xfff
	v_mul_f32_e32 v1, 0x4f7ffffe, v1
	s_waitcnt lgkmcnt(0)
	s_cmp_eq_u64 s[42:43], 0
	s_delay_alu instid0(VALU_DEP_1) | instskip(NEXT) | instid1(VALU_DEP_1)
	v_cvt_u32_f32_e32 v1, v1
	v_readfirstlane_b32 s10, v1
	s_cbranch_scc1 .LBB0_2
; %bb.1:
	s_abs_i32 s2, s2
	s_abs_i32 s6, s33
	v_cvt_f32_u32_e32 v1, s2
	s_sub_i32 s5, 0, s2
	s_delay_alu instid0(VALU_DEP_1) | instskip(SKIP_2) | instid1(VALU_DEP_1)
	v_rcp_iflag_f32_e32 v1, v1
	s_waitcnt_depctr 0xfff
	v_mul_f32_e32 v1, 0x4f7ffffe, v1
	v_cvt_u32_f32_e32 v1, v1
	s_delay_alu instid0(VALU_DEP_1) | instskip(NEXT) | instid1(VALU_DEP_1)
	v_readfirstlane_b32 s4, v1
	s_mul_i32 s5, s5, s4
	s_delay_alu instid0(SALU_CYCLE_1) | instskip(NEXT) | instid1(SALU_CYCLE_1)
	s_mul_hi_u32 s5, s4, s5
	s_add_i32 s7, s4, s5
	s_load_b64 s[4:5], s[0:1], 0xc8
	s_mul_hi_u32 s7, s6, s7
	s_delay_alu instid0(SALU_CYCLE_1) | instskip(NEXT) | instid1(SALU_CYCLE_1)
	s_mul_i32 s7, s7, s2
	s_sub_i32 s6, s6, s7
	s_ashr_i32 s7, s33, 31
	s_sub_i32 s11, s6, s2
	s_cmp_ge_u32 s6, s2
	s_cselect_b32 s6, s11, s6
	s_delay_alu instid0(SALU_CYCLE_1) | instskip(SKIP_2) | instid1(SALU_CYCLE_1)
	s_sub_i32 s11, s6, s2
	s_cmp_ge_u32 s6, s2
	s_cselect_b32 s2, s11, s6
	s_xor_b32 s2, s2, s7
	s_delay_alu instid0(SALU_CYCLE_1)
	s_sub_i32 s2, s2, s7
	s_waitcnt lgkmcnt(0)
	s_mul_i32 s5, s2, s5
	s_mul_hi_u32 s6, s2, s4
	s_ashr_i32 s7, s2, 31
	s_add_i32 s5, s6, s5
	s_mul_i32 s7, s7, s4
	s_mul_i32 s2, s2, s4
	s_add_i32 s5, s5, s7
	s_add_u32 s30, s42, s2
	s_addc_u32 s31, s43, s5
.LBB0_2:
	s_load_b128 s[4:7], s[0:1], 0x70
	v_bfe_u32 v4, v0, 10, 10
	v_and_b32_e32 v161, 0x3ff, v0
	s_delay_alu instid0(VALU_DEP_2) | instskip(NEXT) | instid1(VALU_DEP_2)
	v_lshrrev_b32_e32 v1, 1, v4
	v_lshlrev_b32_e32 v38, 1, v161
	s_delay_alu instid0(VALU_DEP_2) | instskip(SKIP_1) | instid1(VALU_DEP_2)
	v_lshl_add_u32 v160, s13, 2, v1
	v_lshlrev_b32_e32 v1, 2, v4
	v_mul_hi_u32 v2, s24, v160
	s_delay_alu instid0(VALU_DEP_2)
	v_or_b32_e32 v37, 3, v1
	v_or_b32_e32 v35, 1, v1
	;; [unrolled: 1-line block ×3, first 2 shown]
	s_waitcnt lgkmcnt(0)
	s_mul_i32 s2, s33, s6
	s_mul_i32 s6, s52, s5
	s_ashr_i32 s7, s2, 31
	s_add_u32 s2, s36, s2
	s_addc_u32 s7, s37, s7
	s_ashr_i32 s11, s6, 31
	s_add_u32 s2, s2, s6
	s_addc_u32 s6, s7, s11
	s_ashr_i32 s11, s5, 31
	v_and_b32_e32 v17, 7, v37
	v_alignbit_b32 v12, s11, s5, 2
	s_ashr_i32 s7, s4, 31
	v_and_b32_e32 v15, 5, v35
	v_and_b32_e32 v180, 4, v1
	;; [unrolled: 1-line block ×3, first 2 shown]
	v_mad_u64_u32 v[8:9], null, v12, v17, 0
	v_add_nc_u32_e32 v0, v160, v2
	v_alignbit_b32 v2, s7, s4, 2
	s_lshr_b32 s4, s7, 2
	s_lshr_b32 s5, s11, 2
	v_mad_u64_u32 v[6:7], null, v12, v16, 0
	v_lshrrev_b32_e32 v0, s25, v0
	v_mad_u64_u32 v[10:11], null, v12, v180, 0
	v_lshlrev_b32_e32 v35, 7, v35
	v_lshlrev_b32_e32 v36, 7, v36
	s_delay_alu instid0(VALU_DEP_4) | instskip(SKIP_4) | instid1(VALU_DEP_3)
	v_mul_lo_u32 v0, v0, s26
	v_lshlrev_b32_e32 v37, 7, v37
	s_cmp_eq_u64 s[46:47], 0
	v_add_lshl_u32 v35, v35, v38, 2
	v_add_lshl_u32 v36, v36, v38, 2
	;; [unrolled: 1-line block ×3, first 2 shown]
	v_sub_nc_u32_e32 v5, v160, v0
	s_delay_alu instid0(VALU_DEP_4) | instskip(NEXT) | instid1(VALU_DEP_4)
	v_add_nc_u32_e32 v52, 0x4000, v35
	v_add_nc_u32_e32 v53, 0x4000, v36
	s_delay_alu instid0(VALU_DEP_4) | instskip(NEXT) | instid1(VALU_DEP_4)
	v_add_nc_u32_e32 v54, 0x4000, v37
	v_mad_u64_u32 v[0:1], null, v2, v5, 0
	v_mad_u64_u32 v[2:3], null, v12, v15, 0
	s_delay_alu instid0(VALU_DEP_1) | instskip(SKIP_1) | instid1(VALU_DEP_3)
	v_mad_u64_u32 v[12:13], null, s4, v5, v[1:2]
	v_mov_b32_e32 v1, v9
	v_mad_u64_u32 v[13:14], null, s5, v15, v[3:4]
	s_delay_alu instid0(VALU_DEP_1) | instskip(SKIP_1) | instid1(VALU_DEP_4)
	v_mov_b32_e32 v3, v13
	v_mad_u64_u32 v[14:15], null, s5, v16, v[7:8]
	v_mad_u64_u32 v[15:16], null, s5, v17, v[1:2]
	v_mov_b32_e32 v1, v12
	v_mul_lo_u32 v18, s5, v180
	v_lshlrev_b32_e32 v12, 4, v161
	v_lshlrev_b64 v[2:3], 2, v[2:3]
	v_mov_b32_e32 v7, v14
	v_lshlrev_b64 v[0:1], 2, v[0:1]
	v_mov_b32_e32 v9, v15
	s_mov_b32 s5, 0
	v_or_b32_e32 v11, v11, v18
	s_delay_alu instid0(VALU_DEP_3) | instskip(NEXT) | instid1(VALU_DEP_4)
	v_add_co_u32 v13, vcc_lo, s2, v0
	v_add_co_ci_u32_e32 v14, vcc_lo, s6, v1, vcc_lo
	s_delay_alu instid0(VALU_DEP_3) | instskip(NEXT) | instid1(VALU_DEP_3)
	v_lshlrev_b64 v[10:11], 2, v[10:11]
	v_add_co_u32 v21, vcc_lo, v13, v12
	s_delay_alu instid0(VALU_DEP_3) | instskip(SKIP_1) | instid1(VALU_DEP_3)
	v_add_co_ci_u32_e32 v22, vcc_lo, 0, v14, vcc_lo
	v_lshlrev_b64 v[0:1], 2, v[6:7]
	v_add_co_u32 v6, vcc_lo, v21, v10
	s_delay_alu instid0(VALU_DEP_3)
	v_add_co_ci_u32_e32 v7, vcc_lo, v22, v11, vcc_lo
	v_lshlrev_b64 v[19:20], 2, v[8:9]
	v_add_co_u32 v15, vcc_lo, v21, v2
	v_add_co_ci_u32_e32 v16, vcc_lo, v22, v3, vcc_lo
	v_add_co_u32 v23, vcc_lo, v21, v0
	v_add_co_ci_u32_e32 v24, vcc_lo, v22, v1, vcc_lo
	;; [unrolled: 2-line block ×3, first 2 shown]
	s_clause 0x7
	global_load_b128 v[0:3], v[6:7], off
	global_load_b128 v[7:10], v[6:7], off offset:512
	global_load_b128 v[11:14], v[15:16], off
	global_load_b128 v[15:18], v[15:16], off offset:512
	;; [unrolled: 2-line block ×4, first 2 shown]
	s_load_b32 s2, s[0:1], 0x40
	v_lshlrev_b32_e32 v6, 9, v4
	s_delay_alu instid0(VALU_DEP_1) | instskip(NEXT) | instid1(VALU_DEP_1)
	v_or_b32_e32 v39, v6, v38
	v_lshlrev_b32_e32 v39, 2, v39
	s_delay_alu instid0(VALU_DEP_1)
	v_add_nc_u32_e32 v51, 0x4000, v39
	s_waitcnt vmcnt(7) lgkmcnt(0)
	v_fma_mixlo_f16 v35, v0, s2, 0
	v_fma_mixlo_f16 v36, v2, s2, 0
	s_waitcnt vmcnt(6)
	v_fma_mixlo_f16 v37, v7, s2, 0
	v_fma_mixlo_f16 v38, v9, s2, 0
	s_waitcnt vmcnt(5)
	;; [unrolled: 3-line block ×7, first 2 shown]
	v_fma_mixlo_f16 v49, v31, s2, 0
	v_fma_mixlo_f16 v50, v33, s2, 0
	v_fma_mixhi_f16 v36, v3, s2, 0
	v_fma_mixhi_f16 v35, v1, s2, 0
	;; [unrolled: 1-line block ×16, first 2 shown]
	ds_store_2addr_b64 v51, v[35:36], v[37:38] offset0:128 offset1:160
	ds_store_2addr_b64 v52, v[39:40], v[41:42] offset0:128 offset1:160
	;; [unrolled: 1-line block ×4, first 2 shown]
	s_waitcnt lgkmcnt(0)
	s_barrier
	buffer_gl0_inv
	s_cbranch_scc1 .LBB0_4
; %bb.3:
	s_load_b32 s2, s[0:1], 0xd0
	s_waitcnt lgkmcnt(0)
	s_mul_i32 s2, s2, s33
	s_delay_alu instid0(SALU_CYCLE_1) | instskip(NEXT) | instid1(SALU_CYCLE_1)
	s_add_i32 s4, s2, s13
	s_lshl_b64 s[4:5], s[4:5], 2
	s_delay_alu instid0(SALU_CYCLE_1)
	s_add_u32 s4, s46, s4
	s_addc_u32 s5, s47, s5
	s_load_b32 s28, s[4:5], 0x0
.LBB0_4:
	v_lshlrev_b32_e32 v179, 2, v161
	v_mbcnt_lo_u32_b32 v181, -1, 0
	s_lshl_b32 s29, s14, 6
	s_waitcnt lgkmcnt(0)
	s_cmp_lt_i32 s29, s28
	s_cbranch_scc1 .LBB0_6
; %bb.5:
	v_mbcnt_lo_u32_b32 v8, -1, 0
	v_mov_b32_e32 v7, 32
	s_mov_b32 s2, 0
	s_mov_b32 s4, 0xfeffffff
	s_delay_alu instid0(VALU_DEP_2)
	v_xor_b32_e32 v186, 16, v8
	v_xor_b32_e32 v185, 8, v8
	;; [unrolled: 1-line block ×5, first 2 shown]
	s_branch .LBB0_7
.LBB0_6:
	s_mov_b32 s2, -1
                                        ; implicit-def: $sgpr4
                                        ; implicit-def: $vgpr8
                                        ; implicit-def: $vgpr7
                                        ; implicit-def: $vgpr186
                                        ; implicit-def: $vgpr185
                                        ; implicit-def: $vgpr184
                                        ; implicit-def: $vgpr183
                                        ; implicit-def: $vgpr182
.LBB0_7:
	s_delay_alu instid0(SALU_CYCLE_1) | instskip(SKIP_2) | instid1(VALU_DEP_3)
	v_cndmask_b32_e64 v0, 0, 1, s2
	v_dual_mov_b32 v3, s4 :: v_dual_mov_b32 v38, s2
	v_dual_mov_b32 v209, s2 :: v_dual_mov_b32 v2, s4
	v_cmp_ne_u32_e32 vcc_lo, 1, v0
	v_dual_mov_b32 v1, s4 :: v_dual_mov_b32 v0, s4
	v_dual_mov_b32 v212, s2 :: v_dual_mov_b32 v211, s2
	;; [unrolled: 1-line block ×10, first 2 shown]
	s_cbranch_vccnz .LBB0_11
; %bb.8:
	s_clause 0x1
	s_load_b128 s[4:7], s[0:1], 0x98
	s_load_b64 s[12:13], s[0:1], 0x8c
	s_sub_i32 s2, 0, s8
	s_abs_i32 s11, s52
	s_mul_i32 s2, s2, s10
	s_ashr_i32 s15, s52, 31
	s_mul_hi_u32 s2, s10, s2
	s_ashr_i32 s9, s9, 31
	s_add_i32 s10, s10, s2
	s_ashr_i32 s2, s3, 1
	s_mul_hi_u32 s3, s11, s10
	s_ashr_i32 s10, s33, 31
	s_load_b64 s[16:17], s[0:1], 0xa8
	s_mul_i32 s18, s3, s8
	v_lshrrev_b32_e32 v0, 4, v161
	v_dual_mov_b32 v26, 0 :: v_dual_and_b32 v17, 60, v179
	v_dual_mov_b32 v36, 0 :: v_dual_lshlrev_b32 v193, 2, v179
	s_delay_alu instid0(VALU_DEP_3)
	v_lshl_add_u32 v0, v4, 1, v0
	s_waitcnt lgkmcnt(0)
	s_ashr_i32 s36, s6, 2
	s_mul_i32 s5, s33, s5
	s_mul_hi_u32 s6, s33, s4
	s_ashr_i32 s37, s12, 2
	s_mul_i32 s12, s10, s4
	s_add_i32 s5, s6, s5
	s_mul_i32 s4, s33, s4
	s_add_i32 s5, s5, s12
	s_add_u32 s4, s38, s4
	s_addc_u32 s5, s39, s5
	s_xor_b32 s6, s15, s9
	s_sub_i32 s9, s11, s18
	s_add_i32 s11, s3, 1
	s_sub_i32 s12, s9, s8
	s_cmp_ge_u32 s9, s8
	s_mul_i32 s10, s10, s16
	s_cselect_b32 s3, s11, s3
	s_cselect_b32 s9, s12, s9
	s_add_i32 s11, s3, 1
	s_cmp_ge_u32 s9, s8
	s_mul_i32 s8, s33, s17
	s_cselect_b32 s3, s11, s3
	s_mul_hi_u32 s9, s33, s16
	s_xor_b32 s3, s3, s6
	v_mul_lo_u32 v1, s37, v0
	s_sub_i32 s3, s3, s6
	s_mul_i32 s11, s33, s16
	s_mul_i32 s6, s3, s13
	s_mul_i32 s3, s3, s7
	s_ashr_i32 s12, s6, 31
	s_add_u32 s38, s4, s6
	s_addc_u32 s39, s5, s12
	s_add_i32 s4, s9, s8
	v_dual_mov_b32 v27, 0 :: v_dual_lshlrev_b32 v2, 2, v17
	s_add_i32 s4, s4, s10
	s_add_u32 s5, s40, s11
	s_addc_u32 s4, s41, s4
	s_ashr_i32 s6, s3, 31
	s_add_u32 s40, s5, s3
	s_addc_u32 s41, s4, s6
	s_lshl_b32 s3, s37, 4
	v_mad_u32_u24 v187, 0x110, v0, v2
	v_add_nc_u32_e32 v7, s3, v1
	v_lshl_add_u32 v0, v4, 9, v193
	v_mul_lo_u32 v3, s36, v4
	v_mov_b32_e32 v28, 0
	v_mad_u64_u32 v[162:163], null, v5, s2, v[161:162]
	s_delay_alu instid0(VALU_DEP_4)
	v_dual_mov_b32 v210, 0 :: v_dual_add_nc_u32 v197, 0x1000, v0
	v_dual_mov_b32 v37, 0 :: v_dual_add_nc_u32 v198, 0x2000, v0
	;; [unrolled: 1-line block ×4, first 2 shown]
	v_mov_b32_e32 v34, 0
	v_ashrrev_i32_e32 v2, 31, v1
	v_mov_b32_e32 v40, 0
	v_ashrrev_i32_e32 v8, 31, v7
	v_dual_mov_b32 v32, 0 :: v_dual_add_nc_u32 v11, s3, v9
	s_lshl_b32 s3, s36, 3
	v_ashrrev_i32_e32 v10, 31, v9
	v_add_nc_u32_e32 v13, s3, v3
	s_delay_alu instid0(VALU_DEP_3) | instskip(SKIP_2) | instid1(VALU_DEP_4)
	v_ashrrev_i32_e32 v12, 31, v11
	v_lshl_add_u32 v192, v4, 11, 0x4400
	v_dual_mov_b32 v33, 0 :: v_dual_add_nc_u32 v194, 0x8400, v6
	v_add_nc_u32_e32 v5, s3, v13
	v_dual_mov_b32 v35, 0 :: v_dual_add_nc_u32 v196, v6, v193
	v_ashrrev_i32_e32 v4, 31, v3
	v_ashrrev_i32_e32 v14, 31, v13
	s_delay_alu instid0(VALU_DEP_4)
	v_add_nc_u32_e32 v15, s3, v5
	v_ashrrev_i32_e32 v6, 31, v5
	v_lshlrev_b64 v[163:164], 2, v[1:2]
	v_dual_mov_b32 v2, 0xfeffffff :: v_dual_lshlrev_b32 v195, 3, v161
	v_mov_b32_e32 v38, 0
	v_ashrrev_i32_e32 v16, 31, v15
	v_lshlrev_b64 v[165:166], 2, v[7:8]
	v_lshlrev_b64 v[167:168], 2, v[9:10]
	;; [unrolled: 1-line block ×7, first 2 shown]
	v_dual_mov_b32 v29, 0 :: v_dual_add_nc_u32 v188, 0x1100, v187
	v_dual_mov_b32 v30, 0 :: v_dual_add_nc_u32 v189, 0x2200, v187
	;; [unrolled: 1-line block ×3, first 2 shown]
	v_mul_u32_u24_e32 v191, 0x110, v161
	v_dual_mov_b32 v39, 0 :: v_dual_lshlrev_b32 v200, 2, v17
	v_xor_b32_e32 v186, 16, v181
	v_xor_b32_e32 v185, 8, v181
	;; [unrolled: 1-line block ×5, first 2 shown]
	v_add_nc_u32_e32 v201, v194, v195
	v_dual_mov_b32 v41, 0 :: v_dual_add_nc_u32 v202, 0x800, v195
	v_add_nc_u32_e32 v203, 0x1000, v195
	v_dual_mov_b32 v211, 0 :: v_dual_add_nc_u32 v204, 0x1800, v195
	;; [unrolled: 2-line block ×3, first 2 shown]
	v_add_nc_u32_e32 v207, 0x3000, v195
	v_add_nc_u32_e32 v208, 0x3800, v195
	v_mov_b32_e32 v1, 0xfeffffff
	v_mov_b32_e32 v3, 0xfeffffff
	s_add_u32 s34, s0, 0xd0
	s_addc_u32 s35, s1, 0
.LBB0_9:                                ; =>This Inner Loop Header: Depth=1
	s_mul_hi_i32 s7, s29, s37
	s_mul_i32 s6, s29, s37
	v_cmp_gt_i32_e64 s5, 32, v182
	v_dual_mov_b32 v48, v0 :: v_dual_mov_b32 v49, 0
	v_add_nc_u32_e32 v0, s29, v162
	v_cmp_gt_i32_e32 vcc_lo, 32, v186
	v_cmp_gt_i32_e64 s2, 32, v185
	v_cmp_gt_i32_e64 s4, 32, v183
	;; [unrolled: 1-line block ×3, first 2 shown]
	s_lshl_b64 s[6:7], s[6:7], 2
	s_mul_hi_i32 s9, s29, s36
	s_mul_i32 s8, s29, s36
	s_add_u32 s10, s38, s6
	v_cndmask_b32_e64 v14, v181, v182, s5
	s_addc_u32 s5, s39, s7
	s_lshl_b64 s[6:7], s[8:9], 2
	v_dual_mov_b32 v46, v2 :: v_dual_mov_b32 v47, v1
	v_cndmask_b32_e64 v11, v181, v185, s2
	v_cndmask_b32_e32 v10, v181, v186, vcc_lo
	v_cndmask_b32_e64 v13, v181, v183, s4
	v_ashrrev_i32_e32 v1, 31, v0
	v_add_co_u32 v6, s4, s10, v163
	v_lshlrev_b32_e32 v61, 2, v11
	v_cndmask_b32_e64 v12, v181, v184, s3
	v_add_co_u32 v7, vcc_lo, s10, v165
	v_add_co_u32 v8, s2, s10, v167
	v_add_co_u32 v9, s3, s10, v169
	s_add_u32 s6, s40, s6
	v_add_co_ci_u32_e64 v2, s4, s5, v164, s4
	v_dual_mov_b32 v44, v210 :: v_dual_mov_b32 v45, v3
	v_add_co_ci_u32_e32 v3, vcc_lo, s5, v166, vcc_lo
	v_add_co_ci_u32_e64 v4, vcc_lo, s5, v168, s2
	v_add_co_ci_u32_e64 v5, vcc_lo, s5, v170, s3
	s_addc_u32 s5, s41, s7
	v_add_co_u32 v63, s4, s6, v171
	v_add_co_u32 v15, vcc_lo, s6, v173
	v_add_co_u32 v16, s2, s6, v175
	v_add_co_u32 v17, s3, s6, v177
	v_lshlrev_b32_e32 v62, 2, v10
	v_lshlrev_b64 v[10:11], 1, v[0:1]
	v_add_co_ci_u32_e64 v1, s4, s5, v172, s4
	v_lshlrev_b32_e32 v59, 2, v13
	v_add_co_ci_u32_e32 v13, vcc_lo, s5, v174, vcc_lo
	v_add_co_ci_u32_e64 v64, vcc_lo, s5, v176, s2
	v_add_co_ci_u32_e64 v65, vcc_lo, s5, v178, s3
	v_add_co_u32 v24, s4, v6, v200
	v_add_co_u32 v18, vcc_lo, v7, v200
	v_add_co_u32 v20, s2, v8, v200
	v_add_co_u32 v22, s3, v9, v200
	v_add_co_ci_u32_e64 v25, s4, 0, v2, s4
	v_add_co_ci_u32_e32 v19, vcc_lo, 0, v3, vcc_lo
	v_add_co_ci_u32_e64 v21, vcc_lo, 0, v4, s2
	v_add_co_ci_u32_e64 v23, vcc_lo, 0, v5, s3
	v_lshlrev_b32_e32 v60, 2, v12
	v_lshlrev_b32_e32 v58, 2, v14
	v_add_co_u32 v0, vcc_lo, v15, v193
	v_add_co_u32 v2, s2, v16, v193
	v_add_co_u32 v12, s3, v17, v193
	;; [unrolled: 1-line block ×3, first 2 shown]
	s_delay_alu instid0(VALU_DEP_1)
	v_add_co_ci_u32_e64 v15, s4, 0, v1, s4
	v_add_co_ci_u32_e32 v1, vcc_lo, 0, v13, vcc_lo
	v_add_co_ci_u32_e64 v3, vcc_lo, 0, v64, s2
	v_add_co_ci_u32_e64 v13, vcc_lo, 0, v65, s3
	s_clause 0x3
	global_load_b128 v[63:66], v[24:25], off
	global_load_b128 v[67:70], v[18:19], off
	;; [unrolled: 1-line block ×4, first 2 shown]
	s_or_b32 s8, s29, 32
	v_add_co_u32 v16, vcc_lo, s30, v10
	s_mul_hi_i32 s7, s8, s36
	s_mul_i32 s6, s8, s36
	v_add_co_ci_u32_e32 v17, vcc_lo, s31, v11, vcc_lo
	s_lshl_b64 s[6:7], s[6:7], 2
	v_dual_mov_b32 v50, 0 :: v_dual_mov_b32 v51, 0
	s_add_u32 s5, s40, s6
	s_addc_u32 s6, s41, s7
	v_add_co_u32 v5, s2, s5, v171
	v_add_co_u32 v4, s3, s5, v173
	;; [unrolled: 1-line block ×4, first 2 shown]
	v_add_co_ci_u32_e64 v79, vcc_lo, s6, v174, s3
	v_add_co_ci_u32_e64 v80, vcc_lo, s6, v176, s4
	;; [unrolled: 1-line block ×4, first 2 shown]
	v_add_co_u32 v6, vcc_lo, v4, v193
	v_add_co_u32 v8, s2, v7, v193
	v_add_co_u32 v4, s3, v9, v193
	v_add_co_u32 v10, s4, v5, v193
	v_add_co_ci_u32_e32 v7, vcc_lo, 0, v79, vcc_lo
	v_add_co_ci_u32_e64 v9, vcc_lo, 0, v80, s2
	v_add_co_ci_u32_e64 v5, vcc_lo, 0, v81, s3
	v_dual_mov_b32 v52, 0 :: v_dual_mov_b32 v53, 0
	v_dual_mov_b32 v54, 0 :: v_dual_mov_b32 v55, 0
	;; [unrolled: 1-line block ×3, first 2 shown]
	v_add_co_ci_u32_e64 v11, s4, 0, v11, s4
	v_dual_mov_b32 v42, v212 :: v_dual_mov_b32 v43, v211
	s_waitcnt vmcnt(3)
	ds_store_b128 v187, v[63:66]
	s_waitcnt vmcnt(2)
	ds_store_b128 v188, v[67:70]
	;; [unrolled: 2-line block ×4, first 2 shown]
	s_waitcnt lgkmcnt(0)
	s_barrier
	buffer_gl0_inv
	ds_load_b128 v[63:66], v191
	ds_load_b128 v[67:70], v192
	ds_load_b128 v[71:74], v192 offset:512
	ds_load_b128 v[75:78], v192 offset:1024
	;; [unrolled: 1-line block ×4, first 2 shown]
	s_waitcnt lgkmcnt(4)
	;;#ASMSTART
	v_dot2_f32_f16 v49, v63, v67, v49
	;;#ASMEND
	;;#ASMSTART
	v_dot2_f32_f16 v49, v64, v68, v49
	;;#ASMEND
	;;#ASMSTART
	v_dot2_f32_f16 v49, v65, v69, v49
	;;#ASMEND
	;;#ASMSTART
	v_dot2_f32_f16 v49, v66, v70, v49
	;;#ASMEND
	s_waitcnt lgkmcnt(3)
	;;#ASMSTART
	v_dot2_f32_f16 v50, v63, v71, v50
	;;#ASMEND
	;;#ASMSTART
	v_dot2_f32_f16 v50, v64, v72, v50
	;;#ASMEND
	;;#ASMSTART
	v_dot2_f32_f16 v50, v65, v73, v50
	;;#ASMEND
	;;#ASMSTART
	v_dot2_f32_f16 v50, v66, v74, v50
	;;#ASMEND
	;; [unrolled: 13-line block ×5, first 2 shown]
	;;#ASMSTART
	v_dot2_f32_f16 v54, v83, v71, v54
	;;#ASMEND
	;;#ASMSTART
	v_dot2_f32_f16 v54, v84, v72, v54
	;;#ASMEND
	;; [unrolled: 3-line block ×12, first 2 shown]
	ds_load_b128 v[63:66], v191 offset:16
	ds_load_b128 v[67:70], v192 offset:16
	;; [unrolled: 1-line block ×6, first 2 shown]
	s_waitcnt lgkmcnt(4)
	;;#ASMSTART
	v_dot2_f32_f16 v49, v63, v67, v49
	;;#ASMEND
	;;#ASMSTART
	v_dot2_f32_f16 v49, v64, v68, v49
	;;#ASMEND
	;;#ASMSTART
	v_dot2_f32_f16 v49, v65, v69, v49
	;;#ASMEND
	;;#ASMSTART
	v_dot2_f32_f16 v49, v66, v70, v49
	;;#ASMEND
	s_waitcnt lgkmcnt(3)
	;;#ASMSTART
	v_dot2_f32_f16 v50, v63, v71, v50
	;;#ASMEND
	;;#ASMSTART
	v_dot2_f32_f16 v50, v64, v72, v50
	;;#ASMEND
	;;#ASMSTART
	v_dot2_f32_f16 v50, v65, v73, v50
	;;#ASMEND
	;;#ASMSTART
	v_dot2_f32_f16 v50, v66, v74, v50
	;;#ASMEND
	;; [unrolled: 13-line block ×5, first 2 shown]
	;;#ASMSTART
	v_dot2_f32_f16 v54, v83, v71, v54
	;;#ASMEND
	;;#ASMSTART
	v_dot2_f32_f16 v54, v84, v72, v54
	;;#ASMEND
	;; [unrolled: 3-line block ×12, first 2 shown]
	ds_load_b128 v[63:66], v191 offset:32
	ds_load_b128 v[67:70], v192 offset:32
	ds_load_b128 v[71:74], v192 offset:544
	ds_load_b128 v[75:78], v192 offset:1056
	ds_load_b128 v[79:82], v192 offset:1568
	ds_load_b128 v[83:86], v191 offset:8736
	s_waitcnt lgkmcnt(4)
	;;#ASMSTART
	v_dot2_f32_f16 v49, v63, v67, v49
	;;#ASMEND
	;;#ASMSTART
	v_dot2_f32_f16 v49, v64, v68, v49
	;;#ASMEND
	;;#ASMSTART
	v_dot2_f32_f16 v49, v65, v69, v49
	;;#ASMEND
	;;#ASMSTART
	v_dot2_f32_f16 v49, v66, v70, v49
	;;#ASMEND
	s_waitcnt lgkmcnt(3)
	;;#ASMSTART
	v_dot2_f32_f16 v50, v63, v71, v50
	;;#ASMEND
	;;#ASMSTART
	v_dot2_f32_f16 v50, v64, v72, v50
	;;#ASMEND
	;;#ASMSTART
	v_dot2_f32_f16 v50, v65, v73, v50
	;;#ASMEND
	;;#ASMSTART
	v_dot2_f32_f16 v50, v66, v74, v50
	;;#ASMEND
	;; [unrolled: 13-line block ×5, first 2 shown]
	;;#ASMSTART
	v_dot2_f32_f16 v54, v83, v71, v54
	;;#ASMEND
	;;#ASMSTART
	v_dot2_f32_f16 v54, v84, v72, v54
	;;#ASMEND
	;; [unrolled: 3-line block ×12, first 2 shown]
	ds_load_b128 v[63:66], v191 offset:48
	ds_load_b128 v[67:70], v192 offset:48
	;; [unrolled: 1-line block ×6, first 2 shown]
	s_waitcnt lgkmcnt(4)
	;;#ASMSTART
	v_dot2_f32_f16 v49, v63, v67, v49
	;;#ASMEND
	;;#ASMSTART
	v_dot2_f32_f16 v49, v64, v68, v49
	;;#ASMEND
	;;#ASMSTART
	v_dot2_f32_f16 v49, v65, v69, v49
	;;#ASMEND
	;;#ASMSTART
	v_dot2_f32_f16 v49, v66, v70, v49
	;;#ASMEND
	s_waitcnt lgkmcnt(3)
	;;#ASMSTART
	v_dot2_f32_f16 v50, v63, v71, v50
	;;#ASMEND
	;;#ASMSTART
	v_dot2_f32_f16 v50, v64, v72, v50
	;;#ASMEND
	;;#ASMSTART
	v_dot2_f32_f16 v50, v65, v73, v50
	;;#ASMEND
	;;#ASMSTART
	v_dot2_f32_f16 v50, v66, v74, v50
	;;#ASMEND
	;; [unrolled: 13-line block ×5, first 2 shown]
	;;#ASMSTART
	v_dot2_f32_f16 v54, v83, v71, v54
	;;#ASMEND
	;;#ASMSTART
	v_dot2_f32_f16 v54, v84, v72, v54
	;;#ASMEND
	;;#ASMSTART
	v_dot2_f32_f16 v54, v85, v73, v54
	;;#ASMEND
	;;#ASMSTART
	v_dot2_f32_f16 v54, v86, v74, v54
	;;#ASMEND
	;;#ASMSTART
	v_dot2_f32_f16 v55, v83, v75, v55
	;;#ASMEND
	;;#ASMSTART
	v_dot2_f32_f16 v55, v84, v76, v55
	;;#ASMEND
	;;#ASMSTART
	v_dot2_f32_f16 v55, v85, v77, v55
	;;#ASMEND
	;;#ASMSTART
	v_dot2_f32_f16 v55, v86, v78, v55
	;;#ASMEND
	;;#ASMSTART
	v_dot2_f32_f16 v56, v83, v79, v56
	;;#ASMEND
	;;#ASMSTART
	v_dot2_f32_f16 v56, v84, v80, v56
	;;#ASMEND
	;;#ASMSTART
	v_dot2_f32_f16 v56, v85, v81, v56
	;;#ASMEND
	;;#ASMSTART
	v_dot2_f32_f16 v56, v86, v82, v56
	;;#ASMEND
	ds_load_b128 v[63:66], v191 offset:64
	ds_load_b128 v[67:70], v192 offset:64
	;; [unrolled: 1-line block ×6, first 2 shown]
	s_waitcnt lgkmcnt(4)
	;;#ASMSTART
	v_dot2_f32_f16 v49, v63, v67, v49
	;;#ASMEND
	;;#ASMSTART
	v_dot2_f32_f16 v49, v64, v68, v49
	;;#ASMEND
	;;#ASMSTART
	v_dot2_f32_f16 v49, v65, v69, v49
	;;#ASMEND
	;;#ASMSTART
	v_dot2_f32_f16 v49, v66, v70, v49
	;;#ASMEND
	s_waitcnt lgkmcnt(3)
	;;#ASMSTART
	v_dot2_f32_f16 v50, v63, v71, v50
	;;#ASMEND
	;;#ASMSTART
	v_dot2_f32_f16 v50, v64, v72, v50
	;;#ASMEND
	;;#ASMSTART
	v_dot2_f32_f16 v50, v65, v73, v50
	;;#ASMEND
	;;#ASMSTART
	v_dot2_f32_f16 v50, v66, v74, v50
	;;#ASMEND
	;; [unrolled: 13-line block ×5, first 2 shown]
	;;#ASMSTART
	v_dot2_f32_f16 v54, v83, v71, v54
	;;#ASMEND
	;;#ASMSTART
	v_dot2_f32_f16 v54, v84, v72, v54
	;;#ASMEND
	;; [unrolled: 3-line block ×12, first 2 shown]
	ds_load_b128 v[63:66], v191 offset:80
	ds_load_b128 v[67:70], v192 offset:80
	ds_load_b128 v[71:74], v192 offset:592
	ds_load_b128 v[75:78], v192 offset:1104
	ds_load_b128 v[79:82], v192 offset:1616
	ds_load_b128 v[83:86], v191 offset:8784
	s_waitcnt lgkmcnt(4)
	;;#ASMSTART
	v_dot2_f32_f16 v49, v63, v67, v49
	;;#ASMEND
	;;#ASMSTART
	v_dot2_f32_f16 v49, v64, v68, v49
	;;#ASMEND
	;;#ASMSTART
	v_dot2_f32_f16 v49, v65, v69, v49
	;;#ASMEND
	;;#ASMSTART
	v_dot2_f32_f16 v49, v66, v70, v49
	;;#ASMEND
	s_waitcnt lgkmcnt(3)
	;;#ASMSTART
	v_dot2_f32_f16 v50, v63, v71, v50
	;;#ASMEND
	;;#ASMSTART
	v_dot2_f32_f16 v50, v64, v72, v50
	;;#ASMEND
	;;#ASMSTART
	v_dot2_f32_f16 v50, v65, v73, v50
	;;#ASMEND
	;;#ASMSTART
	v_dot2_f32_f16 v50, v66, v74, v50
	;;#ASMEND
	;; [unrolled: 13-line block ×5, first 2 shown]
	;;#ASMSTART
	v_dot2_f32_f16 v54, v83, v71, v54
	;;#ASMEND
	;;#ASMSTART
	v_dot2_f32_f16 v54, v84, v72, v54
	;;#ASMEND
	;; [unrolled: 3-line block ×12, first 2 shown]
	ds_load_b128 v[63:66], v191 offset:96
	ds_load_b128 v[67:70], v192 offset:96
	;; [unrolled: 1-line block ×6, first 2 shown]
	s_waitcnt lgkmcnt(4)
	;;#ASMSTART
	v_dot2_f32_f16 v49, v63, v67, v49
	;;#ASMEND
	;;#ASMSTART
	v_dot2_f32_f16 v49, v64, v68, v49
	;;#ASMEND
	;;#ASMSTART
	v_dot2_f32_f16 v49, v65, v69, v49
	;;#ASMEND
	;;#ASMSTART
	v_dot2_f32_f16 v49, v66, v70, v49
	;;#ASMEND
	s_waitcnt lgkmcnt(3)
	;;#ASMSTART
	v_dot2_f32_f16 v50, v63, v71, v50
	;;#ASMEND
	;;#ASMSTART
	v_dot2_f32_f16 v50, v64, v72, v50
	;;#ASMEND
	;;#ASMSTART
	v_dot2_f32_f16 v50, v65, v73, v50
	;;#ASMEND
	;;#ASMSTART
	v_dot2_f32_f16 v50, v66, v74, v50
	;;#ASMEND
	;; [unrolled: 13-line block ×5, first 2 shown]
	;;#ASMSTART
	v_dot2_f32_f16 v54, v83, v71, v54
	;;#ASMEND
	;;#ASMSTART
	v_dot2_f32_f16 v54, v84, v72, v54
	;;#ASMEND
	;; [unrolled: 3-line block ×12, first 2 shown]
	ds_load_b128 v[63:66], v191 offset:112
	ds_load_b128 v[67:70], v192 offset:112
	;; [unrolled: 1-line block ×6, first 2 shown]
	s_waitcnt lgkmcnt(4)
	;;#ASMSTART
	v_dot2_f32_f16 v49, v63, v67, v49
	;;#ASMEND
	;;#ASMSTART
	v_dot2_f32_f16 v49, v64, v68, v49
	;;#ASMEND
	;;#ASMSTART
	v_dot2_f32_f16 v49, v65, v69, v49
	;;#ASMEND
	;;#ASMSTART
	v_dot2_f32_f16 v49, v66, v70, v49
	;;#ASMEND
	s_waitcnt lgkmcnt(3)
	;;#ASMSTART
	v_dot2_f32_f16 v50, v63, v71, v50
	;;#ASMEND
	;;#ASMSTART
	v_dot2_f32_f16 v50, v64, v72, v50
	;;#ASMEND
	;;#ASMSTART
	v_dot2_f32_f16 v50, v65, v73, v50
	;;#ASMEND
	;;#ASMSTART
	v_dot2_f32_f16 v50, v66, v74, v50
	;;#ASMEND
	;; [unrolled: 13-line block ×5, first 2 shown]
	;;#ASMSTART
	v_dot2_f32_f16 v54, v83, v71, v54
	;;#ASMEND
	;;#ASMSTART
	v_dot2_f32_f16 v54, v84, v72, v54
	;;#ASMEND
	;; [unrolled: 3-line block ×12, first 2 shown]
	ds_load_b128 v[63:66], v191 offset:128
	ds_load_b128 v[67:70], v192 offset:128
	;; [unrolled: 1-line block ×6, first 2 shown]
	s_waitcnt lgkmcnt(4)
	;;#ASMSTART
	v_dot2_f32_f16 v49, v63, v67, v49
	;;#ASMEND
	;;#ASMSTART
	v_dot2_f32_f16 v49, v64, v68, v49
	;;#ASMEND
	;;#ASMSTART
	v_dot2_f32_f16 v49, v65, v69, v49
	;;#ASMEND
	;;#ASMSTART
	v_dot2_f32_f16 v49, v66, v70, v49
	;;#ASMEND
	s_waitcnt lgkmcnt(3)
	;;#ASMSTART
	v_dot2_f32_f16 v50, v63, v71, v50
	;;#ASMEND
	;;#ASMSTART
	v_dot2_f32_f16 v50, v64, v72, v50
	;;#ASMEND
	;;#ASMSTART
	v_dot2_f32_f16 v50, v65, v73, v50
	;;#ASMEND
	;;#ASMSTART
	v_dot2_f32_f16 v50, v66, v74, v50
	;;#ASMEND
	s_waitcnt lgkmcnt(2)
	;;#ASMSTART
	v_dot2_f32_f16 v51, v63, v75, v51
	;;#ASMEND
	;;#ASMSTART
	v_dot2_f32_f16 v51, v64, v76, v51
	;;#ASMEND
	;;#ASMSTART
	v_dot2_f32_f16 v51, v65, v77, v51
	;;#ASMEND
	;;#ASMSTART
	v_dot2_f32_f16 v51, v66, v78, v51
	;;#ASMEND
	s_waitcnt lgkmcnt(1)
	;;#ASMSTART
	v_dot2_f32_f16 v52, v63, v79, v52
	;;#ASMEND
	;;#ASMSTART
	v_dot2_f32_f16 v52, v64, v80, v52
	;;#ASMEND
	;;#ASMSTART
	v_dot2_f32_f16 v52, v65, v81, v52
	;;#ASMEND
	;;#ASMSTART
	v_dot2_f32_f16 v52, v66, v82, v52
	;;#ASMEND
	s_waitcnt lgkmcnt(0)
	;;#ASMSTART
	v_dot2_f32_f16 v53, v83, v67, v53
	;;#ASMEND
	;;#ASMSTART
	v_dot2_f32_f16 v53, v84, v68, v53
	;;#ASMEND
	;;#ASMSTART
	v_dot2_f32_f16 v53, v85, v69, v53
	;;#ASMEND
	;;#ASMSTART
	v_dot2_f32_f16 v53, v86, v70, v53
	;;#ASMEND
	;;#ASMSTART
	v_dot2_f32_f16 v54, v83, v71, v54
	;;#ASMEND
	;;#ASMSTART
	v_dot2_f32_f16 v54, v84, v72, v54
	;;#ASMEND
	;; [unrolled: 3-line block ×12, first 2 shown]
	ds_load_b128 v[63:66], v191 offset:144
	ds_load_b128 v[67:70], v192 offset:144
	;; [unrolled: 1-line block ×6, first 2 shown]
	s_waitcnt lgkmcnt(4)
	;;#ASMSTART
	v_dot2_f32_f16 v49, v63, v67, v49
	;;#ASMEND
	;;#ASMSTART
	v_dot2_f32_f16 v49, v64, v68, v49
	;;#ASMEND
	;;#ASMSTART
	v_dot2_f32_f16 v49, v65, v69, v49
	;;#ASMEND
	;;#ASMSTART
	v_dot2_f32_f16 v49, v66, v70, v49
	;;#ASMEND
	s_waitcnt lgkmcnt(3)
	;;#ASMSTART
	v_dot2_f32_f16 v50, v63, v71, v50
	;;#ASMEND
	;;#ASMSTART
	v_dot2_f32_f16 v50, v64, v72, v50
	;;#ASMEND
	;;#ASMSTART
	v_dot2_f32_f16 v50, v65, v73, v50
	;;#ASMEND
	;;#ASMSTART
	v_dot2_f32_f16 v50, v66, v74, v50
	;;#ASMEND
	s_waitcnt lgkmcnt(2)
	;;#ASMSTART
	v_dot2_f32_f16 v51, v63, v75, v51
	;;#ASMEND
	;;#ASMSTART
	v_dot2_f32_f16 v51, v64, v76, v51
	;;#ASMEND
	;;#ASMSTART
	v_dot2_f32_f16 v51, v65, v77, v51
	;;#ASMEND
	;;#ASMSTART
	v_dot2_f32_f16 v51, v66, v78, v51
	;;#ASMEND
	s_waitcnt lgkmcnt(1)
	;;#ASMSTART
	v_dot2_f32_f16 v52, v63, v79, v52
	;;#ASMEND
	;;#ASMSTART
	v_dot2_f32_f16 v52, v64, v80, v52
	;;#ASMEND
	;;#ASMSTART
	v_dot2_f32_f16 v52, v65, v81, v52
	;;#ASMEND
	;;#ASMSTART
	v_dot2_f32_f16 v52, v66, v82, v52
	;;#ASMEND
	s_waitcnt lgkmcnt(0)
	;;#ASMSTART
	v_dot2_f32_f16 v53, v83, v67, v53
	;;#ASMEND
	;;#ASMSTART
	v_dot2_f32_f16 v53, v84, v68, v53
	;;#ASMEND
	;;#ASMSTART
	v_dot2_f32_f16 v53, v85, v69, v53
	;;#ASMEND
	;;#ASMSTART
	v_dot2_f32_f16 v53, v86, v70, v53
	;;#ASMEND
	;;#ASMSTART
	v_dot2_f32_f16 v54, v83, v71, v54
	;;#ASMEND
	;;#ASMSTART
	v_dot2_f32_f16 v54, v84, v72, v54
	;;#ASMEND
	;; [unrolled: 3-line block ×12, first 2 shown]
	ds_load_b128 v[63:66], v191 offset:160
	ds_load_b128 v[67:70], v192 offset:160
	;; [unrolled: 1-line block ×6, first 2 shown]
	s_waitcnt lgkmcnt(4)
	;;#ASMSTART
	v_dot2_f32_f16 v49, v63, v67, v49
	;;#ASMEND
	;;#ASMSTART
	v_dot2_f32_f16 v49, v64, v68, v49
	;;#ASMEND
	;;#ASMSTART
	v_dot2_f32_f16 v49, v65, v69, v49
	;;#ASMEND
	;;#ASMSTART
	v_dot2_f32_f16 v49, v66, v70, v49
	;;#ASMEND
	s_waitcnt lgkmcnt(3)
	;;#ASMSTART
	v_dot2_f32_f16 v50, v63, v71, v50
	;;#ASMEND
	;;#ASMSTART
	v_dot2_f32_f16 v50, v64, v72, v50
	;;#ASMEND
	;;#ASMSTART
	v_dot2_f32_f16 v50, v65, v73, v50
	;;#ASMEND
	;;#ASMSTART
	v_dot2_f32_f16 v50, v66, v74, v50
	;;#ASMEND
	;; [unrolled: 13-line block ×5, first 2 shown]
	;;#ASMSTART
	v_dot2_f32_f16 v54, v83, v71, v54
	;;#ASMEND
	;;#ASMSTART
	v_dot2_f32_f16 v54, v84, v72, v54
	;;#ASMEND
	;; [unrolled: 3-line block ×12, first 2 shown]
	ds_load_b128 v[63:66], v191 offset:176
	ds_load_b128 v[67:70], v192 offset:176
	;; [unrolled: 1-line block ×6, first 2 shown]
	s_waitcnt lgkmcnt(4)
	;;#ASMSTART
	v_dot2_f32_f16 v49, v63, v67, v49
	;;#ASMEND
	;;#ASMSTART
	v_dot2_f32_f16 v49, v64, v68, v49
	;;#ASMEND
	;;#ASMSTART
	v_dot2_f32_f16 v49, v65, v69, v49
	;;#ASMEND
	;;#ASMSTART
	v_dot2_f32_f16 v49, v66, v70, v49
	;;#ASMEND
	s_waitcnt lgkmcnt(3)
	;;#ASMSTART
	v_dot2_f32_f16 v50, v63, v71, v50
	;;#ASMEND
	;;#ASMSTART
	v_dot2_f32_f16 v50, v64, v72, v50
	;;#ASMEND
	;;#ASMSTART
	v_dot2_f32_f16 v50, v65, v73, v50
	;;#ASMEND
	;;#ASMSTART
	v_dot2_f32_f16 v50, v66, v74, v50
	;;#ASMEND
	;; [unrolled: 13-line block ×5, first 2 shown]
	;;#ASMSTART
	v_dot2_f32_f16 v54, v83, v71, v54
	;;#ASMEND
	;;#ASMSTART
	v_dot2_f32_f16 v54, v84, v72, v54
	;;#ASMEND
	;; [unrolled: 3-line block ×12, first 2 shown]
	ds_load_b128 v[63:66], v191 offset:192
	ds_load_b128 v[67:70], v192 offset:192
	;; [unrolled: 1-line block ×6, first 2 shown]
	s_waitcnt lgkmcnt(4)
	;;#ASMSTART
	v_dot2_f32_f16 v49, v63, v67, v49
	;;#ASMEND
	;;#ASMSTART
	v_dot2_f32_f16 v49, v64, v68, v49
	;;#ASMEND
	;;#ASMSTART
	v_dot2_f32_f16 v49, v65, v69, v49
	;;#ASMEND
	;;#ASMSTART
	v_dot2_f32_f16 v49, v66, v70, v49
	;;#ASMEND
	s_waitcnt lgkmcnt(3)
	;;#ASMSTART
	v_dot2_f32_f16 v50, v63, v71, v50
	;;#ASMEND
	;;#ASMSTART
	v_dot2_f32_f16 v50, v64, v72, v50
	;;#ASMEND
	;;#ASMSTART
	v_dot2_f32_f16 v50, v65, v73, v50
	;;#ASMEND
	;;#ASMSTART
	v_dot2_f32_f16 v50, v66, v74, v50
	;;#ASMEND
	s_waitcnt lgkmcnt(2)
	;;#ASMSTART
	v_dot2_f32_f16 v51, v63, v75, v51
	;;#ASMEND
	;;#ASMSTART
	v_dot2_f32_f16 v51, v64, v76, v51
	;;#ASMEND
	;;#ASMSTART
	v_dot2_f32_f16 v51, v65, v77, v51
	;;#ASMEND
	;;#ASMSTART
	v_dot2_f32_f16 v51, v66, v78, v51
	;;#ASMEND
	s_waitcnt lgkmcnt(1)
	;;#ASMSTART
	v_dot2_f32_f16 v52, v63, v79, v52
	;;#ASMEND
	;;#ASMSTART
	v_dot2_f32_f16 v52, v64, v80, v52
	;;#ASMEND
	;;#ASMSTART
	v_dot2_f32_f16 v52, v65, v81, v52
	;;#ASMEND
	;;#ASMSTART
	v_dot2_f32_f16 v52, v66, v82, v52
	;;#ASMEND
	s_waitcnt lgkmcnt(0)
	;;#ASMSTART
	v_dot2_f32_f16 v53, v83, v67, v53
	;;#ASMEND
	;;#ASMSTART
	v_dot2_f32_f16 v53, v84, v68, v53
	;;#ASMEND
	;;#ASMSTART
	v_dot2_f32_f16 v53, v85, v69, v53
	;;#ASMEND
	;;#ASMSTART
	v_dot2_f32_f16 v53, v86, v70, v53
	;;#ASMEND
	;;#ASMSTART
	v_dot2_f32_f16 v54, v83, v71, v54
	;;#ASMEND
	;;#ASMSTART
	v_dot2_f32_f16 v54, v84, v72, v54
	;;#ASMEND
	;; [unrolled: 3-line block ×12, first 2 shown]
	ds_load_b128 v[63:66], v191 offset:208
	ds_load_b128 v[67:70], v192 offset:208
	;; [unrolled: 1-line block ×6, first 2 shown]
	s_waitcnt lgkmcnt(4)
	;;#ASMSTART
	v_dot2_f32_f16 v49, v63, v67, v49
	;;#ASMEND
	;;#ASMSTART
	v_dot2_f32_f16 v49, v64, v68, v49
	;;#ASMEND
	;;#ASMSTART
	v_dot2_f32_f16 v49, v65, v69, v49
	;;#ASMEND
	;;#ASMSTART
	v_dot2_f32_f16 v49, v66, v70, v49
	;;#ASMEND
	s_waitcnt lgkmcnt(3)
	;;#ASMSTART
	v_dot2_f32_f16 v50, v63, v71, v50
	;;#ASMEND
	;;#ASMSTART
	v_dot2_f32_f16 v50, v64, v72, v50
	;;#ASMEND
	;;#ASMSTART
	v_dot2_f32_f16 v50, v65, v73, v50
	;;#ASMEND
	;;#ASMSTART
	v_dot2_f32_f16 v50, v66, v74, v50
	;;#ASMEND
	;; [unrolled: 13-line block ×5, first 2 shown]
	;;#ASMSTART
	v_dot2_f32_f16 v54, v83, v71, v54
	;;#ASMEND
	;;#ASMSTART
	v_dot2_f32_f16 v54, v84, v72, v54
	;;#ASMEND
	;; [unrolled: 3-line block ×12, first 2 shown]
	ds_load_b128 v[63:66], v191 offset:224
	ds_load_b128 v[67:70], v192 offset:224
	;; [unrolled: 1-line block ×6, first 2 shown]
	s_waitcnt lgkmcnt(4)
	;;#ASMSTART
	v_dot2_f32_f16 v49, v63, v67, v49
	;;#ASMEND
	;;#ASMSTART
	v_dot2_f32_f16 v49, v64, v68, v49
	;;#ASMEND
	;;#ASMSTART
	v_dot2_f32_f16 v49, v65, v69, v49
	;;#ASMEND
	;;#ASMSTART
	v_dot2_f32_f16 v49, v66, v70, v49
	;;#ASMEND
	s_waitcnt lgkmcnt(3)
	;;#ASMSTART
	v_dot2_f32_f16 v50, v63, v71, v50
	;;#ASMEND
	;;#ASMSTART
	v_dot2_f32_f16 v50, v64, v72, v50
	;;#ASMEND
	;;#ASMSTART
	v_dot2_f32_f16 v50, v65, v73, v50
	;;#ASMEND
	;;#ASMSTART
	v_dot2_f32_f16 v50, v66, v74, v50
	;;#ASMEND
	;; [unrolled: 13-line block ×5, first 2 shown]
	;;#ASMSTART
	v_dot2_f32_f16 v54, v83, v71, v54
	;;#ASMEND
	;;#ASMSTART
	v_dot2_f32_f16 v54, v84, v72, v54
	;;#ASMEND
	;; [unrolled: 3-line block ×12, first 2 shown]
	ds_load_b128 v[63:66], v191 offset:240
	ds_load_b128 v[67:70], v192 offset:240
	;; [unrolled: 1-line block ×6, first 2 shown]
	s_waitcnt lgkmcnt(4)
	;;#ASMSTART
	v_dot2_f32_f16 v49, v63, v67, v49
	;;#ASMEND
	;;#ASMSTART
	v_dot2_f32_f16 v49, v64, v68, v49
	;;#ASMEND
	;;#ASMSTART
	v_dot2_f32_f16 v49, v65, v69, v49
	;;#ASMEND
	;;#ASMSTART
	v_dot2_f32_f16 v49, v66, v70, v49
	;;#ASMEND
	s_waitcnt lgkmcnt(3)
	;;#ASMSTART
	v_dot2_f32_f16 v50, v63, v71, v50
	;;#ASMEND
	;;#ASMSTART
	v_dot2_f32_f16 v50, v64, v72, v50
	;;#ASMEND
	;;#ASMSTART
	v_dot2_f32_f16 v50, v65, v73, v50
	;;#ASMEND
	;;#ASMSTART
	v_dot2_f32_f16 v50, v66, v74, v50
	;;#ASMEND
	s_waitcnt lgkmcnt(2)
	;;#ASMSTART
	v_dot2_f32_f16 v51, v63, v75, v51
	;;#ASMEND
	;;#ASMSTART
	v_dot2_f32_f16 v51, v64, v76, v51
	;;#ASMEND
	;;#ASMSTART
	v_dot2_f32_f16 v51, v65, v77, v51
	;;#ASMEND
	;;#ASMSTART
	v_dot2_f32_f16 v51, v66, v78, v51
	;;#ASMEND
	s_waitcnt lgkmcnt(1)
	;;#ASMSTART
	v_dot2_f32_f16 v52, v63, v79, v52
	;;#ASMEND
	;;#ASMSTART
	v_dot2_f32_f16 v52, v64, v80, v52
	;;#ASMEND
	;;#ASMSTART
	v_dot2_f32_f16 v52, v65, v81, v52
	;;#ASMEND
	;;#ASMSTART
	v_dot2_f32_f16 v52, v66, v82, v52
	;;#ASMEND
	s_waitcnt lgkmcnt(0)
	;;#ASMSTART
	v_dot2_f32_f16 v53, v83, v67, v53
	;;#ASMEND
	;;#ASMSTART
	v_dot2_f32_f16 v53, v84, v68, v53
	;;#ASMEND
	;;#ASMSTART
	v_dot2_f32_f16 v53, v85, v69, v53
	;;#ASMEND
	;;#ASMSTART
	v_dot2_f32_f16 v53, v86, v70, v53
	;;#ASMEND
	;;#ASMSTART
	v_dot2_f32_f16 v54, v83, v71, v54
	;;#ASMEND
	;;#ASMSTART
	v_dot2_f32_f16 v54, v84, v72, v54
	;;#ASMEND
	;; [unrolled: 3-line block ×12, first 2 shown]
	s_barrier
	buffer_gl0_inv
	s_clause 0x3
	global_load_b128 v[63:66], v[24:25], off offset:256
	global_load_b128 v[67:70], v[18:19], off offset:256
	;; [unrolled: 1-line block ×4, first 2 shown]
	s_waitcnt vmcnt(3)
	ds_store_b128 v187, v[63:66]
	s_waitcnt vmcnt(2)
	ds_store_b128 v188, v[67:70]
	;; [unrolled: 2-line block ×4, first 2 shown]
	s_waitcnt lgkmcnt(0)
	s_barrier
	buffer_gl0_inv
	ds_load_b128 v[18:21], v191
	ds_load_b128 v[22:25], v192 offset:256
	ds_load_b128 v[63:66], v192 offset:768
	;; [unrolled: 1-line block ×5, first 2 shown]
	s_waitcnt lgkmcnt(4)
	;;#ASMSTART
	v_dot2_f32_f16 v49, v18, v22, v49
	;;#ASMEND
	;;#ASMSTART
	v_dot2_f32_f16 v49, v19, v23, v49
	;;#ASMEND
	;;#ASMSTART
	v_dot2_f32_f16 v49, v20, v24, v49
	;;#ASMEND
	;;#ASMSTART
	v_dot2_f32_f16 v49, v21, v25, v49
	;;#ASMEND
	s_waitcnt lgkmcnt(3)
	;;#ASMSTART
	v_dot2_f32_f16 v50, v18, v63, v50
	;;#ASMEND
	;;#ASMSTART
	v_dot2_f32_f16 v50, v19, v64, v50
	;;#ASMEND
	;;#ASMSTART
	v_dot2_f32_f16 v50, v20, v65, v50
	;;#ASMEND
	;;#ASMSTART
	v_dot2_f32_f16 v50, v21, v66, v50
	;;#ASMEND
	;; [unrolled: 13-line block ×5, first 2 shown]
	;;#ASMSTART
	v_dot2_f32_f16 v54, v75, v63, v54
	;;#ASMEND
	;;#ASMSTART
	v_dot2_f32_f16 v54, v76, v64, v54
	;;#ASMEND
	;; [unrolled: 3-line block ×12, first 2 shown]
	ds_load_b128 v[18:21], v191 offset:16
	ds_load_b128 v[22:25], v192 offset:272
	;; [unrolled: 1-line block ×6, first 2 shown]
	s_waitcnt lgkmcnt(4)
	;;#ASMSTART
	v_dot2_f32_f16 v49, v18, v22, v49
	;;#ASMEND
	;;#ASMSTART
	v_dot2_f32_f16 v49, v19, v23, v49
	;;#ASMEND
	;;#ASMSTART
	v_dot2_f32_f16 v49, v20, v24, v49
	;;#ASMEND
	;;#ASMSTART
	v_dot2_f32_f16 v49, v21, v25, v49
	;;#ASMEND
	s_waitcnt lgkmcnt(3)
	;;#ASMSTART
	v_dot2_f32_f16 v50, v18, v63, v50
	;;#ASMEND
	;;#ASMSTART
	v_dot2_f32_f16 v50, v19, v64, v50
	;;#ASMEND
	;;#ASMSTART
	v_dot2_f32_f16 v50, v20, v65, v50
	;;#ASMEND
	;;#ASMSTART
	v_dot2_f32_f16 v50, v21, v66, v50
	;;#ASMEND
	;; [unrolled: 13-line block ×5, first 2 shown]
	;;#ASMSTART
	v_dot2_f32_f16 v54, v75, v63, v54
	;;#ASMEND
	;;#ASMSTART
	v_dot2_f32_f16 v54, v76, v64, v54
	;;#ASMEND
	;;#ASMSTART
	v_dot2_f32_f16 v54, v77, v65, v54
	;;#ASMEND
	;;#ASMSTART
	v_dot2_f32_f16 v54, v78, v66, v54
	;;#ASMEND
	;;#ASMSTART
	v_dot2_f32_f16 v55, v75, v67, v55
	;;#ASMEND
	;;#ASMSTART
	v_dot2_f32_f16 v55, v76, v68, v55
	;;#ASMEND
	;;#ASMSTART
	v_dot2_f32_f16 v55, v77, v69, v55
	;;#ASMEND
	;;#ASMSTART
	v_dot2_f32_f16 v55, v78, v70, v55
	;;#ASMEND
	;;#ASMSTART
	v_dot2_f32_f16 v56, v75, v71, v56
	;;#ASMEND
	;;#ASMSTART
	v_dot2_f32_f16 v56, v76, v72, v56
	;;#ASMEND
	;;#ASMSTART
	v_dot2_f32_f16 v56, v77, v73, v56
	;;#ASMEND
	;;#ASMSTART
	v_dot2_f32_f16 v56, v78, v74, v56
	;;#ASMEND
	ds_load_b128 v[18:21], v191 offset:32
	ds_load_b128 v[22:25], v192 offset:288
	;; [unrolled: 1-line block ×6, first 2 shown]
	s_waitcnt lgkmcnt(4)
	;;#ASMSTART
	v_dot2_f32_f16 v49, v18, v22, v49
	;;#ASMEND
	;;#ASMSTART
	v_dot2_f32_f16 v49, v19, v23, v49
	;;#ASMEND
	;;#ASMSTART
	v_dot2_f32_f16 v49, v20, v24, v49
	;;#ASMEND
	;;#ASMSTART
	v_dot2_f32_f16 v49, v21, v25, v49
	;;#ASMEND
	s_waitcnt lgkmcnt(3)
	;;#ASMSTART
	v_dot2_f32_f16 v50, v18, v63, v50
	;;#ASMEND
	;;#ASMSTART
	v_dot2_f32_f16 v50, v19, v64, v50
	;;#ASMEND
	;;#ASMSTART
	v_dot2_f32_f16 v50, v20, v65, v50
	;;#ASMEND
	;;#ASMSTART
	v_dot2_f32_f16 v50, v21, v66, v50
	;;#ASMEND
	;; [unrolled: 13-line block ×5, first 2 shown]
	;;#ASMSTART
	v_dot2_f32_f16 v54, v75, v63, v54
	;;#ASMEND
	;;#ASMSTART
	v_dot2_f32_f16 v54, v76, v64, v54
	;;#ASMEND
	;; [unrolled: 3-line block ×12, first 2 shown]
	ds_load_b128 v[18:21], v191 offset:48
	ds_load_b128 v[22:25], v192 offset:304
	;; [unrolled: 1-line block ×6, first 2 shown]
	s_waitcnt lgkmcnt(4)
	;;#ASMSTART
	v_dot2_f32_f16 v49, v18, v22, v49
	;;#ASMEND
	;;#ASMSTART
	v_dot2_f32_f16 v49, v19, v23, v49
	;;#ASMEND
	;;#ASMSTART
	v_dot2_f32_f16 v49, v20, v24, v49
	;;#ASMEND
	;;#ASMSTART
	v_dot2_f32_f16 v49, v21, v25, v49
	;;#ASMEND
	s_waitcnt lgkmcnt(3)
	;;#ASMSTART
	v_dot2_f32_f16 v50, v18, v63, v50
	;;#ASMEND
	;;#ASMSTART
	v_dot2_f32_f16 v50, v19, v64, v50
	;;#ASMEND
	;;#ASMSTART
	v_dot2_f32_f16 v50, v20, v65, v50
	;;#ASMEND
	;;#ASMSTART
	v_dot2_f32_f16 v50, v21, v66, v50
	;;#ASMEND
	;; [unrolled: 13-line block ×5, first 2 shown]
	;;#ASMSTART
	v_dot2_f32_f16 v54, v75, v63, v54
	;;#ASMEND
	;;#ASMSTART
	v_dot2_f32_f16 v54, v76, v64, v54
	;;#ASMEND
	;; [unrolled: 3-line block ×12, first 2 shown]
	ds_load_b128 v[18:21], v191 offset:64
	ds_load_b128 v[22:25], v192 offset:320
	;; [unrolled: 1-line block ×6, first 2 shown]
	s_waitcnt lgkmcnt(4)
	;;#ASMSTART
	v_dot2_f32_f16 v49, v18, v22, v49
	;;#ASMEND
	;;#ASMSTART
	v_dot2_f32_f16 v49, v19, v23, v49
	;;#ASMEND
	;;#ASMSTART
	v_dot2_f32_f16 v49, v20, v24, v49
	;;#ASMEND
	;;#ASMSTART
	v_dot2_f32_f16 v49, v21, v25, v49
	;;#ASMEND
	s_waitcnt lgkmcnt(3)
	;;#ASMSTART
	v_dot2_f32_f16 v50, v18, v63, v50
	;;#ASMEND
	;;#ASMSTART
	v_dot2_f32_f16 v50, v19, v64, v50
	;;#ASMEND
	;;#ASMSTART
	v_dot2_f32_f16 v50, v20, v65, v50
	;;#ASMEND
	;;#ASMSTART
	v_dot2_f32_f16 v50, v21, v66, v50
	;;#ASMEND
	;; [unrolled: 13-line block ×5, first 2 shown]
	;;#ASMSTART
	v_dot2_f32_f16 v54, v75, v63, v54
	;;#ASMEND
	;;#ASMSTART
	v_dot2_f32_f16 v54, v76, v64, v54
	;;#ASMEND
	;; [unrolled: 3-line block ×12, first 2 shown]
	ds_load_b128 v[18:21], v191 offset:80
	ds_load_b128 v[22:25], v192 offset:336
	;; [unrolled: 1-line block ×6, first 2 shown]
	s_waitcnt lgkmcnt(4)
	;;#ASMSTART
	v_dot2_f32_f16 v49, v18, v22, v49
	;;#ASMEND
	;;#ASMSTART
	v_dot2_f32_f16 v49, v19, v23, v49
	;;#ASMEND
	;;#ASMSTART
	v_dot2_f32_f16 v49, v20, v24, v49
	;;#ASMEND
	;;#ASMSTART
	v_dot2_f32_f16 v49, v21, v25, v49
	;;#ASMEND
	s_waitcnt lgkmcnt(3)
	;;#ASMSTART
	v_dot2_f32_f16 v50, v18, v63, v50
	;;#ASMEND
	;;#ASMSTART
	v_dot2_f32_f16 v50, v19, v64, v50
	;;#ASMEND
	;;#ASMSTART
	v_dot2_f32_f16 v50, v20, v65, v50
	;;#ASMEND
	;;#ASMSTART
	v_dot2_f32_f16 v50, v21, v66, v50
	;;#ASMEND
	;; [unrolled: 13-line block ×5, first 2 shown]
	;;#ASMSTART
	v_dot2_f32_f16 v54, v75, v63, v54
	;;#ASMEND
	;;#ASMSTART
	v_dot2_f32_f16 v54, v76, v64, v54
	;;#ASMEND
	;; [unrolled: 3-line block ×12, first 2 shown]
	ds_load_b128 v[18:21], v191 offset:96
	ds_load_b128 v[22:25], v192 offset:352
	;; [unrolled: 1-line block ×6, first 2 shown]
	s_waitcnt lgkmcnt(4)
	;;#ASMSTART
	v_dot2_f32_f16 v49, v18, v22, v49
	;;#ASMEND
	;;#ASMSTART
	v_dot2_f32_f16 v49, v19, v23, v49
	;;#ASMEND
	;;#ASMSTART
	v_dot2_f32_f16 v49, v20, v24, v49
	;;#ASMEND
	;;#ASMSTART
	v_dot2_f32_f16 v49, v21, v25, v49
	;;#ASMEND
	s_waitcnt lgkmcnt(3)
	;;#ASMSTART
	v_dot2_f32_f16 v50, v18, v63, v50
	;;#ASMEND
	;;#ASMSTART
	v_dot2_f32_f16 v50, v19, v64, v50
	;;#ASMEND
	;;#ASMSTART
	v_dot2_f32_f16 v50, v20, v65, v50
	;;#ASMEND
	;;#ASMSTART
	v_dot2_f32_f16 v50, v21, v66, v50
	;;#ASMEND
	;; [unrolled: 13-line block ×5, first 2 shown]
	;;#ASMSTART
	v_dot2_f32_f16 v54, v75, v63, v54
	;;#ASMEND
	;;#ASMSTART
	v_dot2_f32_f16 v54, v76, v64, v54
	;;#ASMEND
	;; [unrolled: 3-line block ×12, first 2 shown]
	ds_load_b128 v[18:21], v191 offset:112
	ds_load_b128 v[22:25], v192 offset:368
	;; [unrolled: 1-line block ×6, first 2 shown]
	s_waitcnt lgkmcnt(4)
	;;#ASMSTART
	v_dot2_f32_f16 v49, v18, v22, v49
	;;#ASMEND
	;;#ASMSTART
	v_dot2_f32_f16 v49, v19, v23, v49
	;;#ASMEND
	;;#ASMSTART
	v_dot2_f32_f16 v49, v20, v24, v49
	;;#ASMEND
	;;#ASMSTART
	v_dot2_f32_f16 v49, v21, v25, v49
	;;#ASMEND
	s_waitcnt lgkmcnt(3)
	;;#ASMSTART
	v_dot2_f32_f16 v50, v18, v63, v50
	;;#ASMEND
	;;#ASMSTART
	v_dot2_f32_f16 v50, v19, v64, v50
	;;#ASMEND
	;;#ASMSTART
	v_dot2_f32_f16 v50, v20, v65, v50
	;;#ASMEND
	;;#ASMSTART
	v_dot2_f32_f16 v50, v21, v66, v50
	;;#ASMEND
	s_waitcnt lgkmcnt(2)
	;;#ASMSTART
	v_dot2_f32_f16 v51, v18, v67, v51
	;;#ASMEND
	;;#ASMSTART
	v_dot2_f32_f16 v51, v19, v68, v51
	;;#ASMEND
	;;#ASMSTART
	v_dot2_f32_f16 v51, v20, v69, v51
	;;#ASMEND
	;;#ASMSTART
	v_dot2_f32_f16 v51, v21, v70, v51
	;;#ASMEND
	s_waitcnt lgkmcnt(1)
	;;#ASMSTART
	v_dot2_f32_f16 v52, v18, v71, v52
	;;#ASMEND
	;;#ASMSTART
	v_dot2_f32_f16 v52, v19, v72, v52
	;;#ASMEND
	;;#ASMSTART
	v_dot2_f32_f16 v52, v20, v73, v52
	;;#ASMEND
	;;#ASMSTART
	v_dot2_f32_f16 v52, v21, v74, v52
	;;#ASMEND
	s_waitcnt lgkmcnt(0)
	;;#ASMSTART
	v_dot2_f32_f16 v53, v75, v22, v53
	;;#ASMEND
	;;#ASMSTART
	v_dot2_f32_f16 v53, v76, v23, v53
	;;#ASMEND
	;;#ASMSTART
	v_dot2_f32_f16 v53, v77, v24, v53
	;;#ASMEND
	;;#ASMSTART
	v_dot2_f32_f16 v53, v78, v25, v53
	;;#ASMEND
	;;#ASMSTART
	v_dot2_f32_f16 v54, v75, v63, v54
	;;#ASMEND
	;;#ASMSTART
	v_dot2_f32_f16 v54, v76, v64, v54
	;;#ASMEND
	;; [unrolled: 3-line block ×12, first 2 shown]
	ds_load_b128 v[18:21], v191 offset:128
	ds_load_b128 v[22:25], v192 offset:384
	ds_load_b128 v[63:66], v192 offset:896
	ds_load_b128 v[67:70], v192 offset:1408
	ds_load_b128 v[71:74], v192 offset:1920
	ds_load_b128 v[75:78], v191 offset:8832
	s_waitcnt lgkmcnt(4)
	;;#ASMSTART
	v_dot2_f32_f16 v49, v18, v22, v49
	;;#ASMEND
	;;#ASMSTART
	v_dot2_f32_f16 v49, v19, v23, v49
	;;#ASMEND
	;;#ASMSTART
	v_dot2_f32_f16 v49, v20, v24, v49
	;;#ASMEND
	;;#ASMSTART
	v_dot2_f32_f16 v49, v21, v25, v49
	;;#ASMEND
	s_waitcnt lgkmcnt(3)
	;;#ASMSTART
	v_dot2_f32_f16 v50, v18, v63, v50
	;;#ASMEND
	;;#ASMSTART
	v_dot2_f32_f16 v50, v19, v64, v50
	;;#ASMEND
	;;#ASMSTART
	v_dot2_f32_f16 v50, v20, v65, v50
	;;#ASMEND
	;;#ASMSTART
	v_dot2_f32_f16 v50, v21, v66, v50
	;;#ASMEND
	;; [unrolled: 13-line block ×5, first 2 shown]
	;;#ASMSTART
	v_dot2_f32_f16 v54, v75, v63, v54
	;;#ASMEND
	;;#ASMSTART
	v_dot2_f32_f16 v54, v76, v64, v54
	;;#ASMEND
	;; [unrolled: 3-line block ×12, first 2 shown]
	ds_load_b128 v[18:21], v191 offset:144
	ds_load_b128 v[22:25], v192 offset:400
	;; [unrolled: 1-line block ×6, first 2 shown]
	s_waitcnt lgkmcnt(4)
	;;#ASMSTART
	v_dot2_f32_f16 v49, v18, v22, v49
	;;#ASMEND
	;;#ASMSTART
	v_dot2_f32_f16 v49, v19, v23, v49
	;;#ASMEND
	;;#ASMSTART
	v_dot2_f32_f16 v49, v20, v24, v49
	;;#ASMEND
	;;#ASMSTART
	v_dot2_f32_f16 v49, v21, v25, v49
	;;#ASMEND
	s_waitcnt lgkmcnt(3)
	;;#ASMSTART
	v_dot2_f32_f16 v50, v18, v63, v50
	;;#ASMEND
	;;#ASMSTART
	v_dot2_f32_f16 v50, v19, v64, v50
	;;#ASMEND
	;;#ASMSTART
	v_dot2_f32_f16 v50, v20, v65, v50
	;;#ASMEND
	;;#ASMSTART
	v_dot2_f32_f16 v50, v21, v66, v50
	;;#ASMEND
	;; [unrolled: 13-line block ×5, first 2 shown]
	;;#ASMSTART
	v_dot2_f32_f16 v54, v75, v63, v54
	;;#ASMEND
	;;#ASMSTART
	v_dot2_f32_f16 v54, v76, v64, v54
	;;#ASMEND
	;; [unrolled: 3-line block ×12, first 2 shown]
	ds_load_b128 v[18:21], v191 offset:160
	ds_load_b128 v[22:25], v192 offset:416
	;; [unrolled: 1-line block ×6, first 2 shown]
	s_waitcnt lgkmcnt(4)
	;;#ASMSTART
	v_dot2_f32_f16 v49, v18, v22, v49
	;;#ASMEND
	;;#ASMSTART
	v_dot2_f32_f16 v49, v19, v23, v49
	;;#ASMEND
	;;#ASMSTART
	v_dot2_f32_f16 v49, v20, v24, v49
	;;#ASMEND
	;;#ASMSTART
	v_dot2_f32_f16 v49, v21, v25, v49
	;;#ASMEND
	s_waitcnt lgkmcnt(3)
	;;#ASMSTART
	v_dot2_f32_f16 v50, v18, v63, v50
	;;#ASMEND
	;;#ASMSTART
	v_dot2_f32_f16 v50, v19, v64, v50
	;;#ASMEND
	;;#ASMSTART
	v_dot2_f32_f16 v50, v20, v65, v50
	;;#ASMEND
	;;#ASMSTART
	v_dot2_f32_f16 v50, v21, v66, v50
	;;#ASMEND
	;; [unrolled: 13-line block ×5, first 2 shown]
	;;#ASMSTART
	v_dot2_f32_f16 v54, v75, v63, v54
	;;#ASMEND
	;;#ASMSTART
	v_dot2_f32_f16 v54, v76, v64, v54
	;;#ASMEND
	;; [unrolled: 3-line block ×12, first 2 shown]
	ds_load_b128 v[18:21], v191 offset:176
	ds_load_b128 v[22:25], v192 offset:432
	;; [unrolled: 1-line block ×6, first 2 shown]
	s_waitcnt lgkmcnt(4)
	;;#ASMSTART
	v_dot2_f32_f16 v49, v18, v22, v49
	;;#ASMEND
	;;#ASMSTART
	v_dot2_f32_f16 v49, v19, v23, v49
	;;#ASMEND
	;;#ASMSTART
	v_dot2_f32_f16 v49, v20, v24, v49
	;;#ASMEND
	;;#ASMSTART
	v_dot2_f32_f16 v49, v21, v25, v49
	;;#ASMEND
	s_waitcnt lgkmcnt(3)
	;;#ASMSTART
	v_dot2_f32_f16 v50, v18, v63, v50
	;;#ASMEND
	;;#ASMSTART
	v_dot2_f32_f16 v50, v19, v64, v50
	;;#ASMEND
	;;#ASMSTART
	v_dot2_f32_f16 v50, v20, v65, v50
	;;#ASMEND
	;;#ASMSTART
	v_dot2_f32_f16 v50, v21, v66, v50
	;;#ASMEND
	;; [unrolled: 13-line block ×5, first 2 shown]
	;;#ASMSTART
	v_dot2_f32_f16 v54, v75, v63, v54
	;;#ASMEND
	;;#ASMSTART
	v_dot2_f32_f16 v54, v76, v64, v54
	;;#ASMEND
	;; [unrolled: 3-line block ×12, first 2 shown]
	ds_load_b128 v[18:21], v191 offset:192
	ds_load_b128 v[22:25], v192 offset:448
	;; [unrolled: 1-line block ×6, first 2 shown]
	s_waitcnt lgkmcnt(4)
	;;#ASMSTART
	v_dot2_f32_f16 v49, v18, v22, v49
	;;#ASMEND
	;;#ASMSTART
	v_dot2_f32_f16 v49, v19, v23, v49
	;;#ASMEND
	;;#ASMSTART
	v_dot2_f32_f16 v49, v20, v24, v49
	;;#ASMEND
	;;#ASMSTART
	v_dot2_f32_f16 v49, v21, v25, v49
	;;#ASMEND
	s_waitcnt lgkmcnt(3)
	;;#ASMSTART
	v_dot2_f32_f16 v50, v18, v63, v50
	;;#ASMEND
	;;#ASMSTART
	v_dot2_f32_f16 v50, v19, v64, v50
	;;#ASMEND
	;;#ASMSTART
	v_dot2_f32_f16 v50, v20, v65, v50
	;;#ASMEND
	;;#ASMSTART
	v_dot2_f32_f16 v50, v21, v66, v50
	;;#ASMEND
	;; [unrolled: 13-line block ×5, first 2 shown]
	;;#ASMSTART
	v_dot2_f32_f16 v54, v75, v63, v54
	;;#ASMEND
	;;#ASMSTART
	v_dot2_f32_f16 v54, v76, v64, v54
	;;#ASMEND
	;;#ASMSTART
	v_dot2_f32_f16 v54, v77, v65, v54
	;;#ASMEND
	;;#ASMSTART
	v_dot2_f32_f16 v54, v78, v66, v54
	;;#ASMEND
	;;#ASMSTART
	v_dot2_f32_f16 v55, v75, v67, v55
	;;#ASMEND
	;;#ASMSTART
	v_dot2_f32_f16 v55, v76, v68, v55
	;;#ASMEND
	;;#ASMSTART
	v_dot2_f32_f16 v55, v77, v69, v55
	;;#ASMEND
	;;#ASMSTART
	v_dot2_f32_f16 v55, v78, v70, v55
	;;#ASMEND
	;;#ASMSTART
	v_dot2_f32_f16 v56, v75, v71, v56
	;;#ASMEND
	;;#ASMSTART
	v_dot2_f32_f16 v56, v76, v72, v56
	;;#ASMEND
	;;#ASMSTART
	v_dot2_f32_f16 v56, v77, v73, v56
	;;#ASMEND
	;;#ASMSTART
	v_dot2_f32_f16 v56, v78, v74, v56
	;;#ASMEND
	ds_load_b128 v[18:21], v191 offset:208
	ds_load_b128 v[22:25], v192 offset:464
	;; [unrolled: 1-line block ×6, first 2 shown]
	s_waitcnt lgkmcnt(4)
	;;#ASMSTART
	v_dot2_f32_f16 v49, v18, v22, v49
	;;#ASMEND
	;;#ASMSTART
	v_dot2_f32_f16 v49, v19, v23, v49
	;;#ASMEND
	;;#ASMSTART
	v_dot2_f32_f16 v49, v20, v24, v49
	;;#ASMEND
	;;#ASMSTART
	v_dot2_f32_f16 v49, v21, v25, v49
	;;#ASMEND
	s_waitcnt lgkmcnt(3)
	;;#ASMSTART
	v_dot2_f32_f16 v50, v18, v63, v50
	;;#ASMEND
	;;#ASMSTART
	v_dot2_f32_f16 v50, v19, v64, v50
	;;#ASMEND
	;;#ASMSTART
	v_dot2_f32_f16 v50, v20, v65, v50
	;;#ASMEND
	;;#ASMSTART
	v_dot2_f32_f16 v50, v21, v66, v50
	;;#ASMEND
	;; [unrolled: 13-line block ×5, first 2 shown]
	;;#ASMSTART
	v_dot2_f32_f16 v54, v75, v63, v54
	;;#ASMEND
	;;#ASMSTART
	v_dot2_f32_f16 v54, v76, v64, v54
	;;#ASMEND
	;; [unrolled: 3-line block ×12, first 2 shown]
	ds_load_b128 v[18:21], v191 offset:224
	ds_load_b128 v[22:25], v192 offset:480
	;; [unrolled: 1-line block ×6, first 2 shown]
	s_waitcnt lgkmcnt(4)
	;;#ASMSTART
	v_dot2_f32_f16 v49, v18, v22, v49
	;;#ASMEND
	;;#ASMSTART
	v_dot2_f32_f16 v49, v19, v23, v49
	;;#ASMEND
	;;#ASMSTART
	v_dot2_f32_f16 v49, v20, v24, v49
	;;#ASMEND
	;;#ASMSTART
	v_dot2_f32_f16 v49, v21, v25, v49
	;;#ASMEND
	s_waitcnt lgkmcnt(3)
	;;#ASMSTART
	v_dot2_f32_f16 v50, v18, v63, v50
	;;#ASMEND
	;;#ASMSTART
	v_dot2_f32_f16 v50, v19, v64, v50
	;;#ASMEND
	;;#ASMSTART
	v_dot2_f32_f16 v50, v20, v65, v50
	;;#ASMEND
	;;#ASMSTART
	v_dot2_f32_f16 v50, v21, v66, v50
	;;#ASMEND
	;; [unrolled: 13-line block ×5, first 2 shown]
	;;#ASMSTART
	v_dot2_f32_f16 v54, v75, v63, v54
	;;#ASMEND
	;;#ASMSTART
	v_dot2_f32_f16 v54, v76, v64, v54
	;;#ASMEND
	;; [unrolled: 3-line block ×12, first 2 shown]
	ds_load_b128 v[18:21], v191 offset:240
	ds_load_b128 v[22:25], v192 offset:496
	;; [unrolled: 1-line block ×6, first 2 shown]
	s_waitcnt lgkmcnt(4)
	;;#ASMSTART
	v_dot2_f32_f16 v49, v18, v22, v49
	;;#ASMEND
	;;#ASMSTART
	v_dot2_f32_f16 v49, v19, v23, v49
	;;#ASMEND
	;;#ASMSTART
	v_dot2_f32_f16 v49, v20, v24, v49
	;;#ASMEND
	;;#ASMSTART
	v_dot2_f32_f16 v49, v21, v25, v49
	;;#ASMEND
	s_waitcnt lgkmcnt(3)
	;;#ASMSTART
	v_dot2_f32_f16 v50, v18, v63, v50
	;;#ASMEND
	;;#ASMSTART
	v_dot2_f32_f16 v50, v19, v64, v50
	;;#ASMEND
	;;#ASMSTART
	v_dot2_f32_f16 v50, v20, v65, v50
	;;#ASMEND
	;;#ASMSTART
	v_dot2_f32_f16 v50, v21, v66, v50
	;;#ASMEND
	;; [unrolled: 13-line block ×5, first 2 shown]
	;;#ASMSTART
	v_dot2_f32_f16 v54, v75, v63, v54
	;;#ASMEND
	;;#ASMSTART
	v_dot2_f32_f16 v54, v76, v64, v54
	;;#ASMEND
	;;#ASMSTART
	v_dot2_f32_f16 v54, v77, v65, v54
	;;#ASMEND
	;;#ASMSTART
	v_dot2_f32_f16 v54, v78, v66, v54
	;;#ASMEND
	;;#ASMSTART
	v_dot2_f32_f16 v55, v75, v67, v55
	;;#ASMEND
	;;#ASMSTART
	v_dot2_f32_f16 v55, v76, v68, v55
	;;#ASMEND
	;;#ASMSTART
	v_dot2_f32_f16 v55, v77, v69, v55
	;;#ASMEND
	;;#ASMSTART
	v_dot2_f32_f16 v55, v78, v70, v55
	;;#ASMEND
	;;#ASMSTART
	v_dot2_f32_f16 v56, v75, v71, v56
	;;#ASMEND
	;;#ASMSTART
	v_dot2_f32_f16 v56, v76, v72, v56
	;;#ASMEND
	;;#ASMSTART
	v_dot2_f32_f16 v56, v77, v73, v56
	;;#ASMEND
	;;#ASMSTART
	v_dot2_f32_f16 v56, v78, v74, v56
	;;#ASMEND
	s_clause 0x1
	flat_load_u16 v63, v[16:17]
	flat_load_u16 v64, v[16:17] offset:64
	s_waitcnt vmcnt(0) lgkmcnt(0)
	s_barrier
	buffer_gl0_inv
	s_clause 0x3
	global_load_b128 v[14:17], v[14:15], off
	global_load_b128 v[18:21], v[0:1], off
	;; [unrolled: 1-line block ×4, first 2 shown]
	s_waitcnt vmcnt(3)
	ds_store_b128 v196, v[14:17]
	s_waitcnt vmcnt(2)
	ds_store_b128 v197, v[18:21]
	;; [unrolled: 2-line block ×4, first 2 shown]
	v_cvt_f32_f16_e32 v12, v63
	v_cvt_f32_f16_e32 v13, v64
	s_delay_alu instid0(VALU_DEP_2) | instskip(NEXT) | instid1(VALU_DEP_2)
	v_add_f32_e32 v14, v50, v12
	v_add_f32_e32 v16, v54, v13
	v_add_f32_e32 v17, v53, v13
	v_add_f32_e32 v19, v56, v13
	v_add_f32_e32 v13, v55, v13
	v_add_f32_e32 v1, 0x40051340, v14
	v_add_f32_e32 v15, v49, v12
	v_add_f32_e32 v18, v52, v12
	v_add_f32_e32 v3, 0x40051340, v16
	v_dual_add_f32 v23, 0x40051340, v13 :: v_dual_add_f32 v12, v51, v12
	s_delay_alu instid0(VALU_DEP_3) | instskip(NEXT) | instid1(VALU_DEP_3)
	v_dual_add_f32 v0, 0x40051340, v15 :: v_dual_add_f32 v21, 0x40051340, v18
	v_max3_f32 v1, v47, v1, v3
	v_add_f32_e32 v22, 0x40051340, v19
	s_delay_alu instid0(VALU_DEP_4) | instskip(NEXT) | instid1(VALU_DEP_1)
	v_add_f32_e32 v20, 0x40051340, v12
	v_max3_f32 v3, v46, v20, v23
	ds_bpermute_b32 v23, v62, v3
	s_waitcnt lgkmcnt(0)
	v_dual_add_f32 v2, 0x40051340, v17 :: v_dual_max_f32 v23, v23, v23
	s_delay_alu instid0(VALU_DEP_1)
	v_max3_f32 v0, v48, v0, v2
	v_max3_f32 v2, v45, v21, v22
	ds_bpermute_b32 v21, v62, v1
	v_max_f32_e32 v3, v3, v23
	ds_bpermute_b32 v20, v62, v0
	ds_bpermute_b32 v22, v62, v2
	;; [unrolled: 1-line block ×3, first 2 shown]
	s_waitcnt lgkmcnt(2)
	v_dual_max_f32 v21, v21, v21 :: v_dual_max_f32 v20, v20, v20
	s_delay_alu instid0(VALU_DEP_1) | instskip(SKIP_1) | instid1(VALU_DEP_2)
	v_max_f32_e32 v1, v1, v21
	s_waitcnt lgkmcnt(0)
	v_dual_max_f32 v23, v23, v23 :: v_dual_max_f32 v0, v0, v20
	ds_bpermute_b32 v21, v61, v1
	v_dual_max_f32 v22, v22, v22 :: v_dual_max_f32 v3, v3, v23
	ds_bpermute_b32 v20, v61, v0
	ds_bpermute_b32 v23, v60, v3
	s_waitcnt lgkmcnt(2)
	v_dual_max_f32 v21, v21, v21 :: v_dual_max_f32 v2, v2, v22
	s_waitcnt lgkmcnt(1)
	s_delay_alu instid0(VALU_DEP_1)
	v_dual_max_f32 v20, v20, v20 :: v_dual_max_f32 v1, v1, v21
	ds_bpermute_b32 v22, v61, v2
	s_waitcnt lgkmcnt(1)
	v_dual_max_f32 v23, v23, v23 :: v_dual_max_f32 v0, v0, v20
	ds_bpermute_b32 v21, v60, v1
	v_max_f32_e32 v3, v3, v23
	ds_bpermute_b32 v20, v60, v0
	ds_bpermute_b32 v23, v59, v3
	s_waitcnt lgkmcnt(2)
	v_dual_max_f32 v22, v22, v22 :: v_dual_max_f32 v21, v21, v21
	s_delay_alu instid0(VALU_DEP_1) | instskip(SKIP_1) | instid1(VALU_DEP_2)
	v_max_f32_e32 v2, v2, v22
	s_waitcnt lgkmcnt(1)
	v_dual_max_f32 v20, v20, v20 :: v_dual_max_f32 v1, v1, v21
	ds_bpermute_b32 v22, v60, v2
	s_waitcnt lgkmcnt(1)
	v_dual_max_f32 v23, v23, v23 :: v_dual_max_f32 v0, v0, v20
	ds_bpermute_b32 v21, v59, v1
	ds_bpermute_b32 v20, v59, v0
	s_waitcnt lgkmcnt(1)
	v_dual_max_f32 v22, v22, v22 :: v_dual_max_f32 v21, v21, v21
	s_delay_alu instid0(VALU_DEP_1) | instskip(SKIP_1) | instid1(VALU_DEP_2)
	v_max_f32_e32 v2, v2, v22
	s_waitcnt lgkmcnt(0)
	v_dual_max_f32 v20, v20, v20 :: v_dual_max_f32 v1, v1, v21
	ds_bpermute_b32 v22, v59, v2
	v_max_f32_e32 v0, v0, v20
	ds_bpermute_b32 v21, v58, v1
	s_waitcnt lgkmcnt(0)
	v_dual_max_f32 v22, v22, v22 :: v_dual_max_f32 v21, v21, v21
	s_delay_alu instid0(VALU_DEP_1) | instskip(SKIP_2) | instid1(VALU_DEP_1)
	v_dual_max_f32 v2, v2, v22 :: v_dual_max_f32 v1, v1, v21
	ds_bpermute_b32 v22, v58, v2
	v_sub_f32_e32 v21, v47, v1
	v_cmp_ngt_f32_e64 s5, 0xc2ce8ed0, v21
	v_cmp_nlt_f32_e64 s18, 0x42b17218, v21
	s_waitcnt lgkmcnt(0)
	v_max_f32_e32 v22, v22, v22
	v_max_f32_e32 v20, v3, v23
	ds_bpermute_b32 v23, v58, v20
	s_waitcnt lgkmcnt(0)
	v_max_f32_e32 v23, v23, v23
	ds_bpermute_b32 v3, v58, v0
	s_waitcnt lgkmcnt(0)
	v_max_f32_e32 v3, v3, v3
	s_delay_alu instid0(VALU_DEP_1) | instskip(NEXT) | instid1(VALU_DEP_1)
	v_max_f32_e32 v0, v0, v3
	v_sub_f32_e32 v17, v17, v0
	v_dual_max_f32 v3, v2, v22 :: v_dual_max_f32 v2, v20, v23
	v_sub_f32_e32 v15, v15, v0
	v_sub_f32_e32 v20, v48, v0
	s_delay_alu instid0(VALU_DEP_3) | instskip(SKIP_3) | instid1(VALU_DEP_3)
	v_dual_sub_f32 v14, v14, v1 :: v_dual_sub_f32 v23, v45, v3
	v_dual_sub_f32 v16, v16, v1 :: v_dual_sub_f32 v19, v19, v3
	v_sub_f32_e32 v13, v13, v2
	v_dual_sub_f32 v22, v46, v2 :: v_dual_mul_f32 v45, 0x3fb8aa3b, v15
	v_dual_sub_f32 v12, v12, v2 :: v_dual_mul_f32 v47, 0x3fb8aa3b, v16
	v_dual_sub_f32 v18, v18, v3 :: v_dual_mul_f32 v25, 0x3fb8aa3b, v14
	s_delay_alu instid0(VALU_DEP_2) | instskip(SKIP_2) | instid1(VALU_DEP_3)
	v_dual_mul_f32 v24, 0x3fb8aa3b, v17 :: v_dual_mul_f32 v51, 0x3fb8aa3b, v12
	v_dual_mul_f32 v46, 0x3fb8aa3b, v20 :: v_dual_mul_f32 v49, 0x3fb8aa3b, v13
	;; [unrolled: 1-line block ×3, first 2 shown]
	v_fma_f32 v55, 0x3fb8aa3b, v17, -v24
	v_rndne_f32_e32 v56, v24
	v_fma_f32 v58, 0x3fb8aa3b, v14, -v25
	v_rndne_f32_e32 v59, v25
	;; [unrolled: 2-line block ×5, first 2 shown]
	v_mul_f32_e32 v54, 0x3fb8aa3b, v23
	v_fma_f32 v76, 0x3fb8aa3b, v19, -v53
	v_rndne_f32_e32 v77, v53
	v_mul_f32_e32 v50, 0x3fb8aa3b, v18
	v_mul_f32_e32 v52, 0x3fb8aa3b, v22
	v_cmp_ngt_f32_e32 vcc_lo, 0xc2ce8ed0, v14
	v_cmp_ngt_f32_e64 s2, 0xc2ce8ed0, v15
	v_cmp_ngt_f32_e64 s4, 0xc2ce8ed0, v16
	;; [unrolled: 1-line block ×5, first 2 shown]
	v_cmp_nlt_f32_e64 s13, 0x42b17218, v14
	v_cmp_nlt_f32_e64 s15, 0x42b17218, v15
	;; [unrolled: 1-line block ×6, first 2 shown]
	v_dual_fmac_f32 v55, 0x32a5705f, v17 :: v_dual_fmac_f32 v58, 0x32a5705f, v14
	v_dual_sub_f32 v17, v24, v56 :: v_dual_fmac_f32 v60, 0x32a5705f, v15
	v_dual_sub_f32 v15, v45, v61 :: v_dual_fmac_f32 v76, 0x32a5705f, v19
	v_sub_f32_e32 v19, v53, v77
	v_sub_f32_e32 v14, v25, v59
	v_fmac_f32_e32 v68, 0x32a5705f, v13
	v_sub_f32_e32 v13, v49, v69
	v_fma_f32 v78, 0x3fb8aa3b, v23, -v54
	v_add_f32_e32 v19, v19, v76
	v_rndne_f32_e32 v79, v54
	v_fmac_f32_e32 v64, 0x32a5705f, v16
	v_dual_sub_f32 v16, v47, v65 :: v_dual_add_f32 v17, v17, v55
	v_cmp_ngt_f32_e64 s11, 0xc2ce8ed0, v23
	v_cmp_nlt_f32_e64 s24, 0x42b17218, v23
	v_fmac_f32_e32 v78, 0x32a5705f, v23
	v_sub_f32_e32 v23, v54, v79
	v_dual_add_f32 v15, v15, v60 :: v_dual_add_f32 v14, v14, v58
	v_add_f32_e32 v16, v16, v64
	v_cvt_i32_f32_e32 v25, v59
	v_cvt_i32_f32_e32 v47, v65
	v_fma_f32 v70, 0x3fb8aa3b, v18, -v50
	v_exp_f32_e32 v14, v14
	v_exp_f32_e32 v16, v16
	v_rndne_f32_e32 v71, v50
	v_cmp_ngt_f32_e64 s7, 0xc2ce8ed0, v18
	v_cmp_nlt_f32_e64 s20, 0x42b17218, v18
	v_fma_f32 v62, 0x3fb8aa3b, v20, -v46
	v_fma_f32 v66, 0x3fb8aa3b, v21, -v48
	v_rndne_f32_e32 v67, v48
	v_add_f32_e32 v23, v23, v78
	v_rndne_f32_e32 v63, v46
	v_ldexp_f32 v14, v14, v25
	v_ldexp_f32 v16, v16, v47
	v_fmac_f32_e32 v62, 0x32a5705f, v20
	v_dual_fmac_f32 v66, 0x32a5705f, v21 :: v_dual_add_f32 v13, v13, v68
	s_delay_alu instid0(VALU_DEP_4) | instskip(NEXT) | instid1(VALU_DEP_4)
	v_cndmask_b32_e32 v14, 0, v14, vcc_lo
	v_cndmask_b32_e64 v16, 0, v16, s4
	v_sub_f32_e32 v21, v48, v67
	v_exp_f32_e32 v19, v19
	v_cmp_ngt_f32_e64 s3, 0xc2ce8ed0, v20
	v_cndmask_b32_e64 v14, 0x7f800000, v14, s13
	v_cndmask_b32_e64 v16, 0x7f800000, v16, s17
	v_fmac_f32_e32 v70, 0x32a5705f, v18
	v_sub_f32_e32 v18, v50, v71
	v_cmp_nlt_f32_e64 s16, 0x42b17218, v20
	v_dual_sub_f32 v20, v46, v63 :: v_dual_add_f32 v21, v21, v66
	v_add_f32_e32 v211, v14, v16
	s_delay_alu instid0(VALU_DEP_4)
	v_add_f32_e32 v18, v18, v70
	v_cvt_i32_f32_e32 v50, v71
	v_cvt_i32_f32_e32 v53, v77
	v_exp_f32_e32 v23, v23
	v_cvt_i32_f32_e32 v54, v79
	v_exp_f32_e32 v18, v18
	v_exp_f32_e32 v21, v21
	v_ldexp_f32 v19, v19, v53
	v_cvt_i32_f32_e32 v48, v67
	v_fma_f32 v72, 0x3fb8aa3b, v12, -v51
	v_rndne_f32_e32 v73, v51
	v_cmp_ngt_f32_e64 s8, 0xc2ce8ed0, v12
	v_cndmask_b32_e64 v19, 0, v19, s10
	v_ldexp_f32 v23, v23, v54
	v_cmp_nlt_f32_e64 s21, 0x42b17218, v12
	v_ldexp_f32 v18, v18, v50
	v_ldexp_f32 v21, v21, v48
	v_cndmask_b32_e64 v19, 0x7f800000, v19, s23
	v_cndmask_b32_e64 v23, 0, v23, s11
	v_fma_f32 v74, 0x3fb8aa3b, v22, -v52
	v_cndmask_b32_e64 v18, 0, v18, s7
	v_rndne_f32_e32 v75, v52
	v_cndmask_b32_e64 v21, 0, v21, s5
	v_cndmask_b32_e64 v23, 0x7f800000, v23, s24
	v_cmp_ngt_f32_e64 s9, 0xc2ce8ed0, v22
	v_cndmask_b32_e64 v18, 0x7f800000, v18, s20
	v_fmac_f32_e32 v72, 0x32a5705f, v12
	v_cmp_nlt_f32_e64 s22, 0x42b17218, v22
	v_cndmask_b32_e64 v21, 0x7f800000, v21, s18
	s_delay_alu instid0(VALU_DEP_4) | instskip(SKIP_4) | instid1(VALU_DEP_3)
	v_dual_fmac_f32 v74, 0x32a5705f, v22 :: v_dual_add_f32 v209, v18, v19
	v_sub_f32_e32 v12, v51, v73
	v_sub_f32_e32 v22, v52, v75
	v_add_f32_e32 v20, v20, v62
	v_exp_f32_e32 v17, v17
	v_dual_fmac_f32 v209, v57, v23 :: v_dual_add_f32 v12, v12, v72
	v_exp_f32_e32 v15, v15
	v_exp_f32_e32 v13, v13
	v_dual_fmac_f32 v211, v43, v21 :: v_dual_add_f32 v22, v22, v74
	s_delay_alu instid0(VALU_DEP_2)
	v_exp_f32_e32 v12, v12
	v_cvt_i32_f32_e32 v24, v56
	v_cvt_i32_f32_e32 v45, v61
	;; [unrolled: 1-line block ×4, first 2 shown]
	v_exp_f32_e32 v20, v20
	v_exp_f32_e32 v22, v22
	v_cvt_i32_f32_e32 v46, v63
	v_cvt_i32_f32_e32 v52, v75
	v_ldexp_f32 v17, v17, v24
	v_ldexp_f32 v15, v15, v45
	;; [unrolled: 1-line block ×4, first 2 shown]
	v_cvt_f16_f32_e32 v24, v14
	v_cndmask_b32_e64 v17, 0, v17, s12
	v_ldexp_f32 v20, v20, v46
	v_ldexp_f32 v22, v22, v52
	v_cndmask_b32_e64 v15, 0, v15, s2
	v_cndmask_b32_e64 v13, 0, v13, s6
	;; [unrolled: 1-line block ×11, first 2 shown]
	v_add_f32_e32 v210, v15, v17
	v_cvt_f16_f32_e32 v17, v17
	v_cvt_f16_f32_e32 v15, v15
	;; [unrolled: 1-line block ×3, first 2 shown]
	v_add_f32_e32 v212, v12, v13
	v_cvt_f16_f32_e32 v16, v13
	v_cvt_f16_f32_e32 v13, v18
	;; [unrolled: 1-line block ×4, first 2 shown]
	v_cvt_f16_f32_e64 v159, v20
	v_cvt_f16_f32_e64 v221, v21
	;; [unrolled: 1-line block ×3, first 2 shown]
	v_cvt_f16_f32_e32 v19, v23
	v_pack_b32_f16 v13, v12, v13
	v_pack_b32_f16 v12, v15, v24
	;; [unrolled: 1-line block ×4, first 2 shown]
	v_fmac_f32_e32 v210, v44, v20
	v_pk_mul_f16 v223, v159, v41 op_sel_hi:[0,1]
	v_pk_mul_f16 v224, v159, v39 op_sel_hi:[0,1]
	;; [unrolled: 1-line block ×6, first 2 shown]
	v_fmac_f32_e32 v212, v42, v22
	v_pk_mul_f16 v33, v222, v33 op_sel_hi:[0,1]
	v_pk_mul_f16 v31, v222, v31 op_sel_hi:[0,1]
	;; [unrolled: 1-line block ×7, first 2 shown]
	ds_store_2addr_b64 v201, v[12:13], v[14:15] offset1:32
	s_waitcnt lgkmcnt(0)
	s_barrier
	buffer_gl0_inv
	ds_load_2addr_b64 v[12:15], v195 offset1:32
	ds_load_b128 v[16:19], v194
	ds_load_b128 v[20:23], v194 offset:16
	ds_load_b128 v[24:27], v194 offset:32
	ds_load_b128 v[39:42], v194 offset:48
	ds_load_2addr_b64 v[43:46], v195 offset0:64 offset1:96
	ds_load_2addr_b64 v[47:50], v195 offset0:128 offset1:160
	;; [unrolled: 1-line block ×3, first 2 shown]
	ds_load_2addr_b64 v[55:58], v202 offset1:32
	ds_load_2addr_b64 v[59:62], v202 offset0:64 offset1:96
	ds_load_2addr_b64 v[63:66], v202 offset0:128 offset1:160
	;; [unrolled: 1-line block ×3, first 2 shown]
	ds_load_2addr_b64 v[71:74], v203 offset1:32
	ds_load_2addr_b64 v[75:78], v203 offset0:64 offset1:96
	ds_load_2addr_b64 v[79:82], v203 offset0:128 offset1:160
	ds_load_b128 v[83:86], v194 offset:64
	ds_load_b128 v[87:90], v194 offset:80
	ds_load_2addr_b64 v[91:94], v203 offset0:192 offset1:224
	ds_load_2addr_b64 v[95:98], v204 offset1:32
	ds_load_2addr_b64 v[99:102], v204 offset0:64 offset1:96
	ds_load_2addr_b64 v[103:106], v204 offset0:128 offset1:160
	ds_load_b128 v[107:110], v194 offset:96
	ds_load_b128 v[111:114], v194 offset:112
	ds_load_2addr_b64 v[115:118], v204 offset0:192 offset1:224
	;; [unrolled: 6-line block ×4, first 2 shown]
	s_waitcnt lgkmcnt(34)
	v_pk_mul_f16 v228, v12, v16 op_sel_hi:[1,0]
	v_pk_mul_f16 v229, v12, v16 op_sel:[0,1]
	v_pk_mul_f16 v230, v12, v17 op_sel_hi:[1,0]
	v_pk_fma_f16 v28, v12, v17, v28 op_sel:[0,1,0]
	v_pk_fma_f16 v223, v13, v16, v223 op_sel_hi:[1,0,1]
	v_pk_fma_f16 v37, v13, v16, v37 op_sel:[0,1,0]
	v_pk_fma_f16 v231, v13, v17, v33 op_sel_hi:[1,0,1]
	;; [unrolled: 2-line block ×7, first 2 shown]
	v_pk_fma_f16 v159, v221, v34, v229 op_sel_hi:[0,1,1]
	v_pk_fma_f16 v30, v222, v30, v230 op_sel_hi:[0,1,1]
	s_waitcnt lgkmcnt(30)
	v_pk_fma_f16 v28, v43, v19, v28 op_sel:[0,1,0]
	v_pk_fma_f16 v221, v44, v18, v223 op_sel_hi:[1,0,1]
	v_pk_fma_f16 v222, v44, v18, v37 op_sel:[0,1,0]
	v_pk_fma_f16 v223, v44, v19, v231 op_sel_hi:[1,0,1]
	v_pk_fma_f16 v29, v44, v19, v29 op_sel:[0,1,0]
	v_pk_fma_f16 v44, v45, v18, v224 op_sel_hi:[1,0,1]
	v_pk_fma_f16 v224, v45, v18, v35 op_sel:[0,1,0]
	v_pk_fma_f16 v227, v45, v19, v232 op_sel_hi:[1,0,1]
	v_pk_fma_f16 v45, v45, v19, v226 op_sel:[0,1,0]
	v_pk_fma_f16 v225, v46, v18, v225 op_sel_hi:[1,0,1]
	v_pk_fma_f16 v226, v46, v18, v16 op_sel:[0,1,0]
	v_pk_fma_f16 v228, v46, v19, v36 op_sel_hi:[1,0,1]
	v_pk_fma_f16 v46, v46, v19, v17 op_sel:[0,1,0]
	v_pk_fma_f16 v229, v43, v18, v38 op_sel_hi:[1,0,1]
	v_pk_fma_f16 v159, v43, v18, v159 op_sel:[0,1,0]
	v_pk_fma_f16 v30, v43, v19, v30 op_sel_hi:[1,0,1]
	s_waitcnt lgkmcnt(29)
	v_pk_fma_f16 v28, v47, v21, v28 op_sel:[0,1,0]
	v_pk_fma_f16 v221, v48, v20, v221 op_sel_hi:[1,0,1]
	v_pk_fma_f16 v222, v48, v20, v222 op_sel:[0,1,0]
	v_pk_fma_f16 v223, v48, v21, v223 op_sel_hi:[1,0,1]
	v_pk_fma_f16 v29, v48, v21, v29 op_sel:[0,1,0]
	v_pk_fma_f16 v48, v49, v20, v44 op_sel_hi:[1,0,1]
	v_pk_fma_f16 v224, v49, v20, v224 op_sel:[0,1,0]
	v_pk_fma_f16 v227, v49, v21, v227 op_sel_hi:[1,0,1]
	v_pk_fma_f16 v49, v49, v21, v45 op_sel:[0,1,0]
	v_pk_fma_f16 v225, v50, v20, v225 op_sel_hi:[1,0,1]
	v_pk_fma_f16 v226, v50, v20, v226 op_sel:[0,1,0]
	v_pk_fma_f16 v228, v50, v21, v228 op_sel_hi:[1,0,1]
	v_pk_fma_f16 v50, v50, v21, v46 op_sel:[0,1,0]
	v_pk_fma_f16 v229, v47, v20, v229 op_sel_hi:[1,0,1]
	v_pk_fma_f16 v20, v47, v20, v159 op_sel:[0,1,0]
	;; [unrolled: 17-line block ×7, first 2 shown]
	v_pk_fma_f16 v232, v67, v42, v40 op_sel_hi:[1,0,1]
	ds_load_2addr_b64 v[12:15], v207 offset1:32
	ds_load_2addr_b64 v[31:34], v207 offset0:64 offset1:96
	ds_load_2addr_b64 v[16:19], v207 offset0:128 offset1:160
	ds_load_b128 v[35:38], v194 offset:192
	ds_load_b128 v[43:46], v194 offset:208
	ds_load_2addr_b64 v[20:23], v207 offset0:192 offset1:224
	ds_load_2addr_b64 v[47:50], v208 offset1:32
	ds_load_2addr_b64 v[51:54], v208 offset0:64 offset1:96
	ds_load_2addr_b64 v[24:27], v208 offset0:128 offset1:160
	ds_load_b128 v[55:58], v194 offset:224
	ds_load_b128 v[59:62], v194 offset:240
	ds_load_2addr_b64 v[39:42], v208 offset0:192 offset1:224
	s_waitcnt lgkmcnt(0)
	s_barrier
	buffer_gl0_inv
	s_clause 0x2
	global_load_b128 v[63:66], v[10:11], off
	global_load_b128 v[67:70], v[6:7], off
	;; [unrolled: 1-line block ×3, first 2 shown]
	v_pk_fma_f16 v10, v71, v84, v28 op_sel:[0,1,0]
	v_pk_fma_f16 v11, v72, v83, v30 op_sel_hi:[1,0,1]
	v_pk_fma_f16 v28, v72, v83, v159 op_sel:[0,1,0]
	v_pk_fma_f16 v30, v72, v84, v221 op_sel_hi:[1,0,1]
	v_pk_fma_f16 v29, v72, v84, v29 op_sel:[0,1,0]
	v_pk_fma_f16 v159, v73, v83, v228 op_sel_hi:[1,0,1]
	v_pk_fma_f16 v221, v73, v83, v222 op_sel:[0,1,0]
	v_pk_fma_f16 v222, v73, v84, v223 op_sel_hi:[1,0,1]
	v_pk_fma_f16 v223, v73, v84, v229 op_sel:[0,1,0]
	v_pk_fma_f16 v224, v74, v83, v224 op_sel_hi:[1,0,1]
	v_pk_fma_f16 v225, v74, v83, v225 op_sel:[0,1,0]
	v_pk_fma_f16 v226, v74, v84, v226 op_sel_hi:[1,0,1]
	v_pk_fma_f16 v228, v74, v84, v230 op_sel:[0,1,0]
	v_pk_fma_f16 v227, v71, v83, v227 op_sel_hi:[1,0,1]
	v_pk_fma_f16 v83, v71, v83, v231 op_sel:[0,1,0]
	v_pk_fma_f16 v84, v71, v84, v232 op_sel_hi:[1,0,1]
	global_load_b128 v[71:74], v[4:5], off
	v_pk_fma_f16 v4, v75, v86, v10 op_sel:[0,1,0]
	v_pk_fma_f16 v5, v76, v85, v11 op_sel_hi:[1,0,1]
	v_pk_fma_f16 v10, v76, v85, v28 op_sel:[0,1,0]
	v_pk_fma_f16 v11, v76, v86, v30 op_sel_hi:[1,0,1]
	;; [unrolled: 2-line block ×184, first 2 shown]
	s_waitcnt vmcnt(3)
	ds_store_b128 v196, v[63:66]
	s_waitcnt vmcnt(2)
	ds_store_b128 v197, v[67:70]
	;; [unrolled: 2-line block ×4, first 2 shown]
	s_waitcnt lgkmcnt(0)
	s_barrier
	buffer_gl0_inv
	ds_load_2addr_b64 v[156:159], v195 offset1:32
	ds_load_b128 v[148:151], v194 offset:256
	ds_load_b128 v[12:15], v194 offset:272
	ds_load_b128 v[8:11], v194 offset:288
	ds_load_b128 v[4:7], v194 offset:304
	ds_load_2addr_b64 v[152:155], v195 offset0:64 offset1:96
	ds_load_2addr_b64 v[128:131], v195 offset0:128 offset1:160
	;; [unrolled: 1-line block ×3, first 2 shown]
	ds_load_2addr_b64 v[88:91], v202 offset1:32
	ds_load_2addr_b64 v[28:31], v202 offset0:64 offset1:96
	ds_load_2addr_b64 v[16:19], v202 offset0:128 offset1:160
	;; [unrolled: 1-line block ×3, first 2 shown]
	ds_load_2addr_b64 v[32:35], v203 offset1:32
	ds_load_2addr_b64 v[36:39], v203 offset0:64 offset1:96
	ds_load_2addr_b64 v[40:43], v203 offset0:128 offset1:160
	ds_load_b128 v[64:67], v194 offset:320
	ds_load_b128 v[20:23], v194 offset:336
	ds_load_2addr_b64 v[48:51], v203 offset0:192 offset1:224
	ds_load_2addr_b64 v[52:55], v204 offset1:32
	ds_load_2addr_b64 v[56:59], v204 offset0:64 offset1:96
	ds_load_2addr_b64 v[60:63], v204 offset0:128 offset1:160
	ds_load_b128 v[92:95], v194 offset:352
	ds_load_b128 v[44:47], v194 offset:368
	ds_load_2addr_b64 v[72:75], v204 offset0:192 offset1:224
	;; [unrolled: 6-line block ×4, first 2 shown]
	ds_load_2addr_b64 v[132:135], v207 offset1:32
	ds_load_2addr_b64 v[136:139], v207 offset0:64 offset1:96
	ds_load_2addr_b64 v[140:143], v207 offset0:128 offset1:160
	s_waitcnt lgkmcnt(37)
	v_pk_fma_f16 v226, v156, v148, v226 op_sel_hi:[1,0,1]
	v_pk_fma_f16 v227, v156, v148, v227 op_sel:[0,1,0]
	v_pk_fma_f16 v228, v156, v149, v228 op_sel_hi:[1,0,1]
	v_pk_fma_f16 v213, v156, v149, v213 op_sel:[0,1,0]
	v_pk_fma_f16 v214, v157, v148, v214 op_sel_hi:[1,0,1]
	v_pk_fma_f16 v215, v157, v148, v215 op_sel:[0,1,0]
	v_pk_fma_f16 v216, v157, v149, v216 op_sel_hi:[1,0,1]
	v_pk_fma_f16 v217, v157, v149, v217 op_sel:[0,1,0]
	v_pk_fma_f16 v218, v158, v148, v218 op_sel_hi:[1,0,1]
	v_pk_fma_f16 v219, v158, v148, v219 op_sel:[0,1,0]
	v_pk_fma_f16 v220, v158, v149, v220 op_sel_hi:[1,0,1]
	v_pk_fma_f16 v221, v158, v149, v221 op_sel:[0,1,0]
	v_pk_fma_f16 v222, v159, v148, v222 op_sel_hi:[1,0,1]
	v_pk_fma_f16 v148, v159, v148, v223 op_sel:[0,1,0]
	v_pk_fma_f16 v223, v159, v149, v224 op_sel_hi:[1,0,1]
	v_pk_fma_f16 v149, v159, v149, v225 op_sel:[0,1,0]
	s_waitcnt lgkmcnt(33)
	v_pk_fma_f16 v224, v152, v150, v226 op_sel_hi:[1,0,1]
	v_pk_fma_f16 v225, v152, v150, v227 op_sel:[0,1,0]
	v_pk_fma_f16 v226, v152, v151, v228 op_sel_hi:[1,0,1]
	v_pk_fma_f16 v213, v152, v151, v213 op_sel:[0,1,0]
	v_pk_fma_f16 v214, v153, v150, v214 op_sel_hi:[1,0,1]
	v_pk_fma_f16 v215, v153, v150, v215 op_sel:[0,1,0]
	v_pk_fma_f16 v216, v153, v151, v216 op_sel_hi:[1,0,1]
	v_pk_fma_f16 v217, v153, v151, v217 op_sel:[0,1,0]
	v_pk_fma_f16 v218, v154, v150, v218 op_sel_hi:[1,0,1]
	v_pk_fma_f16 v219, v154, v150, v219 op_sel:[0,1,0]
	v_pk_fma_f16 v220, v154, v151, v220 op_sel_hi:[1,0,1]
	v_pk_fma_f16 v221, v154, v151, v221 op_sel:[0,1,0]
	v_pk_fma_f16 v222, v155, v150, v222 op_sel_hi:[1,0,1]
	v_pk_fma_f16 v227, v155, v150, v148 op_sel:[0,1,0]
	v_pk_fma_f16 v223, v155, v151, v223 op_sel_hi:[1,0,1]
	v_pk_fma_f16 v228, v155, v151, v149 op_sel:[0,1,0]
	;; [unrolled: 17-line block ×9, first 2 shown]
	v_pk_fma_f16 v7, v36, v66, v7 op_sel_hi:[1,0,1]
	v_pk_fma_f16 v19, v36, v66, v19 op_sel:[0,1,0]
	v_pk_fma_f16 v27, v36, v67, v27 op_sel_hi:[1,0,1]
	v_pk_fma_f16 v16, v36, v67, v16 op_sel:[0,1,0]
	v_pk_fma_f16 v24, v37, v66, v24 op_sel_hi:[1,0,1]
	v_pk_fma_f16 v28, v37, v66, v28 op_sel:[0,1,0]
	v_pk_fma_f16 v30, v37, v67, v30 op_sel_hi:[1,0,1]
	v_pk_fma_f16 v17, v37, v67, v17 op_sel:[0,1,0]
	v_pk_fma_f16 v25, v38, v66, v25 op_sel_hi:[1,0,1]
	v_pk_fma_f16 v29, v38, v66, v29 op_sel:[0,1,0]
	v_pk_fma_f16 v31, v38, v67, v31 op_sel_hi:[1,0,1]
	v_pk_fma_f16 v18, v38, v67, v18 op_sel:[0,1,0]
	v_pk_fma_f16 v26, v39, v66, v26 op_sel_hi:[1,0,1]
	v_pk_fma_f16 v4, v39, v66, v4 op_sel:[0,1,0]
	v_pk_fma_f16 v6, v39, v67, v6 op_sel_hi:[1,0,1]
	v_pk_fma_f16 v5, v39, v67, v5 op_sel:[0,1,0]
	s_waitcnt lgkmcnt(22)
	v_pk_fma_f16 v7, v40, v20, v7 op_sel_hi:[1,0,1]
	v_pk_fma_f16 v19, v40, v20, v19 op_sel:[0,1,0]
	v_pk_fma_f16 v27, v40, v21, v27 op_sel_hi:[1,0,1]
	v_pk_fma_f16 v16, v40, v21, v16 op_sel:[0,1,0]
	v_pk_fma_f16 v24, v41, v20, v24 op_sel_hi:[1,0,1]
	v_pk_fma_f16 v28, v41, v20, v28 op_sel:[0,1,0]
	v_pk_fma_f16 v30, v41, v21, v30 op_sel_hi:[1,0,1]
	v_pk_fma_f16 v17, v41, v21, v17 op_sel:[0,1,0]
	v_pk_fma_f16 v25, v42, v20, v25 op_sel_hi:[1,0,1]
	v_pk_fma_f16 v29, v42, v20, v29 op_sel:[0,1,0]
	v_pk_fma_f16 v31, v42, v21, v31 op_sel_hi:[1,0,1]
	v_pk_fma_f16 v18, v42, v21, v18 op_sel:[0,1,0]
	v_pk_fma_f16 v26, v43, v20, v26 op_sel_hi:[1,0,1]
	v_pk_fma_f16 v4, v43, v20, v4 op_sel:[0,1,0]
	v_pk_fma_f16 v6, v43, v21, v6 op_sel_hi:[1,0,1]
	v_pk_fma_f16 v5, v43, v21, v5 op_sel:[0,1,0]
	s_waitcnt lgkmcnt(21)
	;; [unrolled: 17-line block ×3, first 2 shown]
	v_pk_fma_f16 v7, v52, v92, v7 op_sel_hi:[1,0,1]
	v_pk_fma_f16 v19, v52, v92, v19 op_sel:[0,1,0]
	v_pk_fma_f16 v20, v52, v93, v20 op_sel_hi:[1,0,1]
	v_pk_fma_f16 v16, v52, v93, v16 op_sel:[0,1,0]
	;; [unrolled: 2-line block ×16, first 2 shown]
	s_waitcnt lgkmcnt(16)
	v_pk_fma_f16 v7, v60, v44, v7 op_sel_hi:[1,0,1]
	v_pk_fma_f16 v19, v60, v44, v19 op_sel:[0,1,0]
	v_pk_fma_f16 v20, v60, v45, v20 op_sel_hi:[1,0,1]
	v_pk_fma_f16 v16, v60, v45, v16 op_sel:[0,1,0]
	v_pk_fma_f16 v21, v61, v44, v21 op_sel_hi:[1,0,1]
	v_pk_fma_f16 v22, v61, v44, v22 op_sel:[0,1,0]
	v_pk_fma_f16 v23, v61, v45, v23 op_sel_hi:[1,0,1]
	v_pk_fma_f16 v17, v61, v45, v17 op_sel:[0,1,0]
	v_pk_fma_f16 v24, v62, v44, v24 op_sel_hi:[1,0,1]
	v_pk_fma_f16 v25, v62, v44, v25 op_sel:[0,1,0]
	v_pk_fma_f16 v27, v62, v45, v27 op_sel_hi:[1,0,1]
	v_pk_fma_f16 v18, v62, v45, v18 op_sel:[0,1,0]
	v_pk_fma_f16 v26, v63, v44, v26 op_sel_hi:[1,0,1]
	v_pk_fma_f16 v4, v63, v44, v4 op_sel:[0,1,0]
	v_pk_fma_f16 v6, v63, v45, v6 op_sel_hi:[1,0,1]
	v_pk_fma_f16 v5, v63, v45, v5 op_sel:[0,1,0]
	s_waitcnt lgkmcnt(15)
	v_pk_fma_f16 v7, v72, v46, v7 op_sel_hi:[1,0,1]
	v_pk_fma_f16 v19, v72, v46, v19 op_sel:[0,1,0]
	v_pk_fma_f16 v20, v72, v47, v20 op_sel_hi:[1,0,1]
	v_pk_fma_f16 v16, v72, v47, v16 op_sel:[0,1,0]
	v_pk_fma_f16 v21, v73, v46, v21 op_sel_hi:[1,0,1]
	v_pk_fma_f16 v22, v73, v46, v22 op_sel:[0,1,0]
	v_pk_fma_f16 v23, v73, v47, v23 op_sel_hi:[1,0,1]
	v_pk_fma_f16 v17, v73, v47, v17 op_sel:[0,1,0]
	v_pk_fma_f16 v24, v74, v46, v24 op_sel_hi:[1,0,1]
	v_pk_fma_f16 v25, v74, v46, v25 op_sel:[0,1,0]
	v_pk_fma_f16 v27, v74, v47, v27 op_sel_hi:[1,0,1]
	v_pk_fma_f16 v18, v74, v47, v18 op_sel:[0,1,0]
	v_pk_fma_f16 v26, v75, v46, v26 op_sel_hi:[1,0,1]
	v_pk_fma_f16 v4, v75, v46, v4 op_sel:[0,1,0]
	v_pk_fma_f16 v6, v75, v47, v6 op_sel_hi:[1,0,1]
	v_pk_fma_f16 v5, v75, v47, v5 op_sel:[0,1,0]
	;; [unrolled: 17-line block ×3, first 2 shown]
	v_pk_fma_f16 v7, v80, v122, v7 op_sel_hi:[1,0,1]
	v_pk_fma_f16 v19, v80, v122, v19 op_sel:[0,1,0]
	v_pk_fma_f16 v20, v80, v123, v20 op_sel_hi:[1,0,1]
	v_pk_fma_f16 v16, v80, v123, v16 op_sel:[0,1,0]
	;; [unrolled: 2-line block ×8, first 2 shown]
	s_waitcnt lgkmcnt(10)
	v_pk_fma_f16 v7, v84, v68, v7 op_sel_hi:[1,0,1]
	v_pk_fma_f16 v19, v84, v68, v19 op_sel:[0,1,0]
	v_pk_fma_f16 v20, v84, v69, v20 op_sel_hi:[1,0,1]
	v_pk_fma_f16 v16, v84, v69, v16 op_sel:[0,1,0]
	;; [unrolled: 2-line block ×8, first 2 shown]
	s_waitcnt lgkmcnt(9)
	v_pk_fma_f16 v7, v104, v70, v7 op_sel_hi:[1,0,1]
	v_pk_fma_f16 v19, v104, v70, v19 op_sel:[0,1,0]
	v_pk_fma_f16 v20, v104, v71, v20 op_sel_hi:[1,0,1]
	v_pk_fma_f16 v16, v104, v71, v16 op_sel:[0,1,0]
	;; [unrolled: 2-line block ×8, first 2 shown]
	ds_load_b128 v[156:159], v194 offset:448
	s_waitcnt lgkmcnt(6)
	v_pk_fma_f16 v7, v108, v144, v7 op_sel_hi:[1,0,1]
	v_pk_fma_f16 v19, v108, v144, v19 op_sel:[0,1,0]
	v_pk_fma_f16 v20, v108, v145, v20 op_sel_hi:[1,0,1]
	v_pk_fma_f16 v16, v108, v145, v16 op_sel:[0,1,0]
	;; [unrolled: 2-line block ×16, first 2 shown]
	s_waitcnt lgkmcnt(5)
	v_pk_fma_f16 v7, v116, v96, v7 op_sel_hi:[1,0,1]
	v_pk_fma_f16 v19, v116, v96, v19 op_sel:[0,1,0]
	v_pk_fma_f16 v20, v116, v97, v20 op_sel_hi:[1,0,1]
	v_pk_fma_f16 v16, v116, v97, v16 op_sel:[0,1,0]
	;; [unrolled: 2-line block ×8, first 2 shown]
	ds_load_b128 v[148:151], v194 offset:464
	ds_load_2addr_b64 v[152:155], v207 offset0:192 offset1:224
	s_waitcnt lgkmcnt(6)
	v_pk_fma_f16 v7, v124, v98, v7 op_sel_hi:[1,0,1]
	v_pk_fma_f16 v19, v124, v98, v19 op_sel:[0,1,0]
	v_pk_fma_f16 v20, v124, v99, v20 op_sel_hi:[1,0,1]
	v_pk_fma_f16 v16, v124, v99, v16 op_sel:[0,1,0]
	;; [unrolled: 2-line block ×8, first 2 shown]
	ds_load_2addr_b64 v[128:131], v208 offset1:32
	ds_load_2addr_b64 v[12:15], v208 offset0:64 offset1:96
	ds_load_2addr_b64 v[100:103], v208 offset0:128 offset1:160
	ds_load_b128 v[88:91], v194 offset:480
	s_waitcnt lgkmcnt(6)
	v_pk_fma_f16 v7, v132, v156, v7 op_sel_hi:[1,0,1]
	v_pk_fma_f16 v19, v132, v156, v19 op_sel:[0,1,0]
	v_pk_fma_f16 v20, v132, v157, v20 op_sel_hi:[1,0,1]
	v_pk_fma_f16 v16, v132, v157, v16 op_sel:[0,1,0]
	;; [unrolled: 2-line block ×16, first 2 shown]
	s_waitcnt lgkmcnt(5)
	v_pk_fma_f16 v7, v140, v148, v7 op_sel_hi:[1,0,1]
	v_pk_fma_f16 v19, v140, v148, v19 op_sel:[0,1,0]
	v_pk_fma_f16 v20, v140, v149, v20 op_sel_hi:[1,0,1]
	v_pk_fma_f16 v16, v140, v149, v16 op_sel:[0,1,0]
	;; [unrolled: 2-line block ×8, first 2 shown]
	ds_load_b128 v[8:11], v194 offset:496
	ds_load_2addr_b64 v[213:216], v208 offset0:192 offset1:224
	s_waitcnt lgkmcnt(0)
	s_barrier
	buffer_gl0_inv
	s_load_b32 s2, s[34:35], 0x4
	v_pk_fma_f16 v7, v152, v150, v7 op_sel_hi:[1,0,1]
	v_pk_fma_f16 v19, v152, v150, v19 op_sel:[0,1,0]
	v_pk_fma_f16 v20, v152, v151, v20 op_sel_hi:[1,0,1]
	v_pk_fma_f16 v16, v152, v151, v16 op_sel:[0,1,0]
	;; [unrolled: 2-line block ×32, first 2 shown]
	s_waitcnt lgkmcnt(0)
	s_lshl_b32 s2, s2, 6
	v_pk_fma_f16 v38, v213, v10, v7 op_sel_hi:[1,0,1]
	v_pk_fma_f16 v34, v213, v10, v15 op_sel:[0,1,0]
	v_pk_fma_f16 v30, v213, v11, v19 op_sel_hi:[1,0,1]
	v_pk_fma_f16 v28, v213, v11, v12 op_sel:[0,1,0]
	;; [unrolled: 2-line block ×8, first 2 shown]
	s_add_i32 s29, s2, s29
	s_delay_alu instid0(SALU_CYCLE_1)
	s_cmp_ge_i32 s29, s28
	s_cbranch_scc0 .LBB0_9
; %bb.10:
	v_dual_mov_b32 v7, 32 :: v_dual_mov_b32 v8, v181
.LBB0_11:
	s_delay_alu instid0(VALU_DEP_1)
	v_cmp_lt_i32_e32 vcc_lo, v186, v7
	s_cmp_lg_u64 s[44:45], 0
	s_cselect_b32 s2, -1, 0
	s_cmp_eq_u32 s14, 0
	v_cndmask_b32_e32 v4, v8, v186, vcc_lo
	v_cmp_lt_i32_e32 vcc_lo, v185, v7
	s_cselect_b32 s3, -1, 0
	s_delay_alu instid0(SALU_CYCLE_1) | instskip(NEXT) | instid1(VALU_DEP_2)
	s_and_b32 s2, s3, s2
	v_lshlrev_b32_e32 v4, 2, v4
	ds_bpermute_b32 v9, v4, v212
	s_waitcnt lgkmcnt(0)
	v_add_f32_e32 v9, v212, v9
	ds_bpermute_b32 v5, v4, v210
	ds_bpermute_b32 v6, v4, v211
	;; [unrolled: 1-line block ×3, first 2 shown]
	s_waitcnt lgkmcnt(2)
	v_add_f32_e32 v5, v210, v5
	v_cndmask_b32_e32 v10, v8, v185, vcc_lo
	s_waitcnt lgkmcnt(0)
	v_add_f32_e32 v4, v209, v4
	v_cmp_lt_i32_e32 vcc_lo, v184, v7
	s_delay_alu instid0(VALU_DEP_3)
	v_lshlrev_b32_e32 v10, 2, v10
	ds_bpermute_b32 v13, v10, v9
	s_waitcnt lgkmcnt(0)
	v_add_f32_e32 v9, v9, v13
	ds_bpermute_b32 v11, v10, v5
	v_add_f32_e32 v6, v211, v6
	ds_bpermute_b32 v12, v10, v6
	ds_bpermute_b32 v10, v10, v4
	s_waitcnt lgkmcnt(2)
	v_dual_add_f32 v5, v5, v11 :: v_dual_cndmask_b32 v14, v8, v184
	v_cmp_lt_i32_e32 vcc_lo, v183, v7
	s_delay_alu instid0(VALU_DEP_2)
	v_lshlrev_b32_e32 v14, 2, v14
	s_waitcnt lgkmcnt(0)
	v_add_f32_e32 v4, v4, v10
	v_add_f32_e32 v6, v6, v12
	ds_bpermute_b32 v10, v14, v5
	ds_bpermute_b32 v12, v14, v9
	;; [unrolled: 1-line block ×4, first 2 shown]
	s_waitcnt lgkmcnt(3)
	v_dual_add_f32 v5, v5, v10 :: v_dual_cndmask_b32 v14, v8, v183
	v_cmp_lt_i32_e32 vcc_lo, v182, v7
	s_waitcnt lgkmcnt(2)
	s_delay_alu instid0(VALU_DEP_2)
	v_dual_add_f32 v9, v9, v12 :: v_dual_lshlrev_b32 v14, 2, v14
	v_cndmask_b32_e32 v7, v8, v182, vcc_lo
	s_and_b32 vcc_lo, exec_lo, s2
	ds_bpermute_b32 v10, v14, v5
	v_lshlrev_b32_e32 v7, 2, v7
	s_waitcnt lgkmcnt(2)
	v_add_f32_e32 v6, v6, v11
	ds_bpermute_b32 v12, v14, v9
	ds_bpermute_b32 v11, v14, v6
	s_waitcnt lgkmcnt(2)
	v_add_f32_e32 v5, v5, v10
	s_waitcnt lgkmcnt(1)
	v_add_f32_e32 v8, v9, v12
	;; [unrolled: 2-line block ×3, first 2 shown]
	ds_bpermute_b32 v11, v7, v8
	ds_bpermute_b32 v10, v7, v6
	v_add_f32_e32 v4, v4, v13
	ds_bpermute_b32 v13, v14, v4
	s_waitcnt lgkmcnt(0)
	v_add_f32_e32 v9, v4, v13
	ds_bpermute_b32 v4, v7, v5
	ds_bpermute_b32 v7, v7, v9
	s_waitcnt lgkmcnt(1)
	v_dual_add_f32 v4, v5, v4 :: v_dual_add_f32 v5, v6, v10
	v_add_f32_e32 v6, v8, v11
	s_waitcnt lgkmcnt(0)
	v_add_f32_e32 v7, v9, v7
	s_cbranch_vccz .LBB0_14
; %bb.12:
	v_dual_max_f32 v13, v1, v1 :: v_dual_add_nc_u32 v8, s52, v180
	s_delay_alu instid0(VALU_DEP_1) | instskip(NEXT) | instid1(VALU_DEP_1)
	v_ashrrev_i32_e32 v9, 31, v8
	v_lshlrev_b64 v[8:9], 2, v[8:9]
	s_delay_alu instid0(VALU_DEP_1) | instskip(NEXT) | instid1(VALU_DEP_2)
	v_add_co_u32 v8, vcc_lo, s44, v8
	v_add_co_ci_u32_e32 v9, vcc_lo, s45, v9, vcc_lo
	global_load_b128 v[8:11], v[8:9], off
	v_max_f32_e32 v12, v0, v0
	s_waitcnt vmcnt(0)
	v_dual_max_f32 v14, v2, v2 :: v_dual_max_f32 v15, v8, v8
	v_dual_max_f32 v17, v9, v9 :: v_dual_max_f32 v16, v3, v3
	;; [unrolled: 1-line block ×3, first 2 shown]
	s_delay_alu instid0(VALU_DEP_2) | instskip(NEXT) | instid1(VALU_DEP_2)
	v_dual_max_f32 v13, v13, v17 :: v_dual_max_f32 v12, v12, v15
	v_dual_max_f32 v14, v14, v18 :: v_dual_max_f32 v15, v16, v19
	s_delay_alu instid0(VALU_DEP_2) | instskip(SKIP_1) | instid1(VALU_DEP_3)
	v_dual_sub_f32 v17, v1, v13 :: v_dual_sub_f32 v16, v0, v12
	v_dual_sub_f32 v9, v9, v13 :: v_dual_sub_f32 v8, v8, v12
	;; [unrolled: 1-line block ×3, first 2 shown]
	v_dual_sub_f32 v11, v11, v15 :: v_dual_mov_b32 v0, v12
	v_dual_mov_b32 v3, v15 :: v_dual_sub_f32 v10, v10, v14
	v_dual_mov_b32 v1, v13 :: v_dual_mov_b32 v2, v14
	v_mul_f32_e32 v13, 0x3fb8aa3b, v8
	v_dual_mul_f32 v12, 0x3fb8aa3b, v16 :: v_dual_mul_f32 v15, 0x3fb8aa3b, v9
	s_delay_alu instid0(VALU_DEP_4) | instskip(NEXT) | instid1(VALU_DEP_3)
	v_dual_mul_f32 v14, 0x3fb8aa3b, v17 :: v_dual_mul_f32 v21, 0x3fb8aa3b, v10
	v_fma_f32 v42, 0x3fb8aa3b, v8, -v13
	s_delay_alu instid0(VALU_DEP_3)
	v_fma_f32 v24, 0x3fb8aa3b, v16, -v12
	v_rndne_f32_e32 v25, v12
	v_rndne_f32_e32 v43, v13
	;; [unrolled: 1-line block ×3, first 2 shown]
	v_fma_f32 v46, 0x3fb8aa3b, v9, -v15
	v_fmac_f32_e32 v24, 0x32a5705f, v16
	v_sub_f32_e32 v12, v12, v25
	v_fma_f32 v50, 0x3fb8aa3b, v10, -v21
	v_sub_f32_e32 v15, v15, v47
	v_rndne_f32_e32 v51, v21
	v_dual_fmac_f32 v42, 0x32a5705f, v8 :: v_dual_sub_f32 v13, v13, v43
	v_add_f32_e32 v12, v12, v24
	v_dual_mul_f32 v20, 0x3fb8aa3b, v18 :: v_dual_mul_f32 v23, 0x3fb8aa3b, v11
	v_fma_f32 v44, 0x3fb8aa3b, v17, -v14
	v_rndne_f32_e32 v45, v14
	v_dual_fmac_f32 v50, 0x32a5705f, v10 :: v_dual_sub_f32 v21, v21, v51
	v_dual_mul_f32 v22, 0x3fb8aa3b, v19 :: v_dual_add_f32 v13, v13, v42
	v_exp_f32_e32 v12, v12
	v_rndne_f32_e32 v55, v23
	v_cvt_i32_f32_e32 v25, v25
	v_fmac_f32_e32 v44, 0x32a5705f, v17
	v_dual_fmac_f32 v46, 0x32a5705f, v9 :: v_dual_add_f32 v21, v21, v50
	v_sub_f32_e32 v14, v14, v45
	v_exp_f32_e32 v13, v13
	v_fma_f32 v48, 0x3fb8aa3b, v18, -v20
	s_delay_alu instid0(VALU_DEP_3)
	v_add_f32_e32 v15, v15, v46
	v_rndne_f32_e32 v49, v20
	v_fma_f32 v54, 0x3fb8aa3b, v11, -v23
	v_cvt_i32_f32_e32 v43, v43
	v_dual_sub_f32 v23, v23, v55 :: v_dual_add_f32 v14, v14, v44
	v_ldexp_f32 v12, v12, v25
	v_cmp_ngt_f32_e32 vcc_lo, 0xc2ce8ed0, v16
	v_fmac_f32_e32 v54, 0x32a5705f, v11
	v_sub_f32_e32 v20, v20, v49
	v_exp_f32_e32 v14, v14
	v_ldexp_f32 v13, v13, v43
	v_cndmask_b32_e32 v12, 0, v12, vcc_lo
	v_cmp_ngt_f32_e32 vcc_lo, 0xc2ce8ed0, v8
	v_fmac_f32_e32 v48, 0x32a5705f, v18
	v_cvt_i32_f32_e32 v45, v45
	v_add_f32_e32 v23, v23, v54
	v_exp_f32_e32 v15, v15
	s_delay_alu instid0(VALU_DEP_3)
	v_dual_cndmask_b32 v13, 0, v13 :: v_dual_add_f32 v20, v20, v48
	v_cvt_i32_f32_e32 v47, v47
	v_ldexp_f32 v14, v14, v45
	v_cmp_ngt_f32_e32 vcc_lo, 0xc2ce8ed0, v17
	v_cvt_i32_f32_e32 v49, v49
	v_exp_f32_e32 v20, v20
	v_exp_f32_e32 v21, v21
	;; [unrolled: 1-line block ×3, first 2 shown]
	v_ldexp_f32 v15, v15, v47
	v_cndmask_b32_e32 v14, 0, v14, vcc_lo
	v_cmp_ngt_f32_e32 vcc_lo, 0xc2ce8ed0, v9
	v_fma_f32 v52, 0x3fb8aa3b, v19, -v22
	v_rndne_f32_e32 v53, v22
	v_cvt_i32_f32_e32 v51, v51
	v_cvt_i32_f32_e32 v42, v55
	v_ldexp_f32 v20, v20, v49
	v_cndmask_b32_e32 v15, 0, v15, vcc_lo
	v_cmp_ngt_f32_e32 vcc_lo, 0xc2ce8ed0, v18
	v_ldexp_f32 v21, v21, v51
	v_ldexp_f32 v23, v23, v42
	v_sub_f32_e32 v22, v22, v53
	v_cvt_i32_f32_e32 v24, v53
	v_cndmask_b32_e32 v20, 0, v20, vcc_lo
	v_cmp_ngt_f32_e32 vcc_lo, 0xc2ce8ed0, v10
	v_dual_fmac_f32 v52, 0x32a5705f, v19 :: v_dual_cndmask_b32 v21, 0, v21
	s_delay_alu instid0(VALU_DEP_1) | instskip(SKIP_1) | instid1(VALU_DEP_2)
	v_add_f32_e32 v22, v22, v52
	v_cmp_ngt_f32_e32 vcc_lo, 0xc2ce8ed0, v19
	v_exp_f32_e32 v22, v22
	s_waitcnt_depctr 0xfff
	v_ldexp_f32 v22, v22, v24
	s_delay_alu instid0(VALU_DEP_1)
	v_cndmask_b32_e32 v22, 0, v22, vcc_lo
	v_cmp_ngt_f32_e32 vcc_lo, 0xc2ce8ed0, v11
	v_cndmask_b32_e32 v23, 0, v23, vcc_lo
	v_cmp_nlt_f32_e32 vcc_lo, 0x42b17218, v16
	v_cndmask_b32_e32 v12, 0x7f800000, v12, vcc_lo
	v_cmp_nlt_f32_e32 vcc_lo, 0x42b17218, v8
	;; [unrolled: 2-line block ×3, first 2 shown]
	s_delay_alu instid0(VALU_DEP_2) | instskip(SKIP_4) | instid1(VALU_DEP_3)
	v_dual_fmac_f32 v8, v4, v12 :: v_dual_cndmask_b32 v13, 0x7f800000, v14
	v_cmp_nlt_f32_e32 vcc_lo, 0x42b17218, v9
	v_cvt_f16_f32_e32 v4, v12
	v_cndmask_b32_e32 v9, 0x7f800000, v15, vcc_lo
	v_cmp_nlt_f32_e32 vcc_lo, 0x42b17218, v18
	v_pk_mul_f16 v38, v4, v38 op_sel_hi:[0,1]
	v_pk_mul_f16 v41, v4, v41 op_sel_hi:[0,1]
	;; [unrolled: 1-line block ×3, first 2 shown]
	v_dual_fmac_f32 v9, v5, v13 :: v_dual_cndmask_b32 v14, 0x7f800000, v20
	v_cmp_nlt_f32_e32 vcc_lo, 0x42b17218, v10
	v_cvt_f16_f32_e32 v5, v13
	v_pk_mul_f16 v40, v4, v40 op_sel_hi:[0,1]
	v_mov_b32_e32 v4, v8
	v_cndmask_b32_e32 v10, 0x7f800000, v21, vcc_lo
	v_cmp_nlt_f32_e32 vcc_lo, 0x42b17218, v19
	v_pk_mul_f16 v34, v5, v34 op_sel_hi:[0,1]
	v_pk_mul_f16 v37, v5, v37 op_sel_hi:[0,1]
	;; [unrolled: 1-line block ×3, first 2 shown]
	v_fmac_f32_e32 v10, v6, v14
	v_cndmask_b32_e32 v15, 0x7f800000, v22, vcc_lo
	v_cmp_nlt_f32_e32 vcc_lo, 0x42b17218, v11
	v_cvt_f16_f32_e32 v6, v14
	v_pk_mul_f16 v36, v5, v36 op_sel_hi:[0,1]
	v_mov_b32_e32 v5, v9
	v_cndmask_b32_e32 v11, 0x7f800000, v23, vcc_lo
	s_delay_alu instid0(VALU_DEP_4)
	v_pk_mul_f16 v30, v6, v30 op_sel_hi:[0,1]
	v_pk_mul_f16 v33, v6, v33 op_sel_hi:[0,1]
	;; [unrolled: 1-line block ×4, first 2 shown]
	v_fmac_f32_e32 v11, v7, v15
	v_cvt_f16_f32_e32 v7, v15
	v_mov_b32_e32 v6, v10
	s_delay_alu instid0(VALU_DEP_2)
	v_pk_mul_f16 v28, v7, v28 op_sel_hi:[0,1]
	v_pk_mul_f16 v29, v7, v29 op_sel_hi:[0,1]
	;; [unrolled: 1-line block ×4, first 2 shown]
	v_mov_b32_e32 v7, v11
	s_mov_b32 s2, exec_lo
	v_cmpx_gt_i32_e64 s26, v160
	s_cbranch_execnz .LBB0_15
.LBB0_13:
	s_nop 0
	s_sendmsg sendmsg(MSG_DEALLOC_VGPRS)
	s_endpgm
.LBB0_14:
	s_delay_alu instid0(VALU_DEP_1)
	v_dual_mov_b32 v11, v7 :: v_dual_mov_b32 v10, v6
	v_dual_mov_b32 v9, v5 :: v_dual_mov_b32 v8, v4
	s_mov_b32 s2, exec_lo
	v_cmpx_gt_i32_e64 s26, v160
	s_cbranch_execz .LBB0_13
.LBB0_15:
	s_load_b32 s1, s[0:1], 0xd4
	v_mov_b32_e32 v14, 1.0
	s_waitcnt lgkmcnt(0)
	s_cmp_lg_u32 s1, 1
	s_cselect_b32 s3, -1, 0
	s_cmp_eq_u32 s1, 1
	s_cselect_b32 s2, -1, 0
	s_and_b32 vcc_lo, exec_lo, s3
	s_cbranch_vccnz .LBB0_17
; %bb.16:
	v_div_scale_f32 v12, null, v4, v4, 1.0
	s_delay_alu instid0(VALU_DEP_1) | instskip(SKIP_2) | instid1(VALU_DEP_1)
	v_rcp_f32_e32 v13, v12
	s_waitcnt_depctr 0xfff
	v_fma_f32 v14, -v12, v13, 1.0
	v_fmac_f32_e32 v13, v14, v13
	v_div_scale_f32 v14, vcc_lo, 1.0, v4, 1.0
	s_delay_alu instid0(VALU_DEP_1) | instskip(NEXT) | instid1(VALU_DEP_1)
	v_mul_f32_e32 v15, v14, v13
	v_fma_f32 v16, -v12, v15, v14
	s_delay_alu instid0(VALU_DEP_1) | instskip(NEXT) | instid1(VALU_DEP_1)
	v_fmac_f32_e32 v15, v16, v13
	v_fma_f32 v12, -v12, v15, v14
	s_delay_alu instid0(VALU_DEP_1) | instskip(NEXT) | instid1(VALU_DEP_1)
	v_div_fmas_f32 v12, v12, v13, v15
	v_div_fixup_f32 v14, v12, v4, 1.0
.LBB0_17:
	v_mad_u64_u32 v[12:13], null, s33, s26, v[160:161]
	v_lshrrev_b32_e32 v15, 16, v41
	v_cvt_f32_f16_e32 v16, v41
	v_lshrrev_b32_e32 v18, 16, v38
	v_mov_b32_e32 v24, 0
	v_lshrrev_b32_e32 v20, 16, v40
	v_cvt_f32_f16_e32 v19, v38
	v_mul_f32_e32 v17, v14, v16
	v_mul_lo_u32 v4, v12, s27
	v_cvt_f32_f16_e32 v22, v39
	v_cvt_f32_f16_e32 v25, v15
	;; [unrolled: 1-line block ×4, first 2 shown]
	v_mul_f32_e32 v15, v14, v19
	v_mul_f32_e32 v19, v14, v22
	v_cmp_eq_u32_e32 vcc_lo, 0, v161
	v_add3_u32 v4, s52, v180, v4
	v_mul_f32_e32 v16, v14, v16
	v_mul_f32_e32 v22, v14, v20
	;; [unrolled: 1-line block ×3, first 2 shown]
	s_delay_alu instid0(VALU_DEP_4) | instskip(SKIP_2) | instid1(VALU_DEP_2)
	v_mad_u64_u32 v[12:13], null, s1, v4, s[14:15]
	v_cvt_f32_f16_e32 v4, v40
	v_lshrrev_b32_e32 v13, 16, v39
	v_mul_f32_e32 v21, v14, v4
	s_delay_alu instid0(VALU_DEP_4) | instskip(NEXT) | instid1(VALU_DEP_3)
	v_lshl_add_u32 v23, v12, 8, v179
	v_cvt_f32_f16_e32 v4, v13
	s_delay_alu instid0(VALU_DEP_2) | instskip(NEXT) | instid1(VALU_DEP_2)
	v_lshlrev_b64 v[38:39], 2, v[23:24]
	v_dual_mul_f32 v20, v14, v4 :: v_dual_add_nc_u32 v23, 0x80, v23
	s_delay_alu instid0(VALU_DEP_1) | instskip(NEXT) | instid1(VALU_DEP_3)
	v_lshlrev_b64 v[13:14], 2, v[23:24]
	v_add_co_u32 v23, s0, s48, v38
	s_delay_alu instid0(VALU_DEP_1) | instskip(NEXT) | instid1(VALU_DEP_3)
	v_add_co_ci_u32_e64 v24, s0, s49, v39, s0
	v_add_co_u32 v13, s0, s48, v13
	s_delay_alu instid0(VALU_DEP_1)
	v_add_co_ci_u32_e64 v14, s0, s49, v14, s0
	s_and_b32 s0, vcc_lo, s3
	s_clause 0x1
	global_store_b128 v[23:24], v[15:18], off
	global_store_b128 v[13:14], v[19:22], off
	s_and_saveexec_b32 s3, s0
	s_cbranch_execz .LBB0_19
; %bb.18:
	v_ashrrev_i32_e32 v13, 31, v12
	v_mov_b32_e32 v15, v0
	v_mov_b32_e32 v16, v8
	s_delay_alu instid0(VALU_DEP_3) | instskip(NEXT) | instid1(VALU_DEP_1)
	v_lshlrev_b64 v[13:14], 3, v[12:13]
	v_add_co_u32 v13, vcc_lo, s50, v13
	s_delay_alu instid0(VALU_DEP_2)
	v_add_co_ci_u32_e32 v14, vcc_lo, s51, v14, vcc_lo
	global_store_b64 v[13:14], v[15:16], off
.LBB0_19:
	s_or_b32 exec_lo, exec_lo, s3
	v_cndmask_b32_e64 v13, 0, 1, s2
	v_mov_b32_e32 v0, 1.0
	s_and_not1_b32 vcc_lo, exec_lo, s2
	s_cbranch_vccnz .LBB0_21
; %bb.20:
	v_div_scale_f32 v0, null, v5, v5, 1.0
	s_delay_alu instid0(VALU_DEP_1) | instskip(SKIP_2) | instid1(VALU_DEP_1)
	v_rcp_f32_e32 v4, v0
	s_waitcnt_depctr 0xfff
	v_fma_f32 v8, -v0, v4, 1.0
	v_fmac_f32_e32 v4, v8, v4
	v_div_scale_f32 v8, vcc_lo, 1.0, v5, 1.0
	s_delay_alu instid0(VALU_DEP_1) | instskip(NEXT) | instid1(VALU_DEP_1)
	v_mul_f32_e32 v14, v8, v4
	v_fma_f32 v15, -v0, v14, v8
	s_delay_alu instid0(VALU_DEP_1) | instskip(NEXT) | instid1(VALU_DEP_1)
	v_fmac_f32_e32 v14, v15, v4
	v_fma_f32 v0, -v0, v14, v8
	s_delay_alu instid0(VALU_DEP_1) | instskip(NEXT) | instid1(VALU_DEP_1)
	v_div_fmas_f32 v0, v0, v4, v14
	v_div_fixup_f32 v0, v0, v5, 1.0
.LBB0_21:
	v_lshrrev_b32_e32 v5, 16, v37
	v_dual_mov_b32 v19, 0 :: v_dual_add_nc_u32 v4, s1, v12
	v_lshrrev_b32_e32 v8, 16, v34
	v_cvt_f32_f16_e32 v12, v37
	s_delay_alu instid0(VALU_DEP_4) | instskip(NEXT) | instid1(VALU_DEP_4)
	v_cvt_f32_f16_e32 v5, v5
	v_lshl_add_u32 v18, v4, 8, v179
	v_cvt_f32_f16_e32 v14, v34
	v_cvt_f32_f16_e32 v8, v8
	v_mul_f32_e32 v16, v0, v12
	v_mul_f32_e32 v17, v0, v5
	v_lshlrev_b64 v[20:21], 2, v[18:19]
	s_delay_alu instid0(VALU_DEP_4) | instskip(SKIP_3) | instid1(VALU_DEP_4)
	v_dual_mul_f32 v15, v0, v8 :: v_dual_add_nc_u32 v18, 0x80, v18
	v_lshrrev_b32_e32 v5, 16, v36
	v_lshrrev_b32_e32 v8, 16, v35
	v_cvt_f32_f16_e32 v12, v36
	v_lshlrev_b64 v[24:25], 2, v[18:19]
	v_add_co_u32 v22, vcc_lo, s48, v20
	v_cvt_f32_f16_e32 v5, v5
	v_cvt_f32_f16_e32 v8, v8
	v_cvt_f32_f16_e32 v34, v35
	v_add_co_ci_u32_e32 v23, vcc_lo, s49, v21, vcc_lo
	v_add_co_u32 v24, vcc_lo, s48, v24
	v_mul_f32_e32 v14, v0, v14
	v_mul_f32_e32 v21, v0, v5
	;; [unrolled: 1-line block ×5, first 2 shown]
	v_add_co_ci_u32_e32 v25, vcc_lo, s49, v25, vcc_lo
	s_clause 0x1
	global_store_b128 v[22:23], v[14:17], off
	global_store_b128 v[24:25], v[18:21], off
	s_and_saveexec_b32 s2, s0
	s_cbranch_execz .LBB0_23
; %bb.22:
	v_ashrrev_i32_e32 v5, 31, v4
	v_mov_b32_e32 v8, v1
	s_delay_alu instid0(VALU_DEP_2) | instskip(NEXT) | instid1(VALU_DEP_1)
	v_lshlrev_b64 v[14:15], 3, v[4:5]
	v_add_co_u32 v14, vcc_lo, s50, v14
	s_delay_alu instid0(VALU_DEP_2)
	v_add_co_ci_u32_e32 v15, vcc_lo, s51, v15, vcc_lo
	global_store_b64 v[14:15], v[8:9], off
.LBB0_23:
	s_or_b32 exec_lo, exec_lo, s2
	v_cmp_ne_u32_e32 vcc_lo, 1, v13
	v_mov_b32_e32 v1, 1.0
	s_cbranch_vccnz .LBB0_25
; %bb.24:
	v_div_scale_f32 v0, null, v6, v6, 1.0
	s_delay_alu instid0(VALU_DEP_1) | instskip(SKIP_2) | instid1(VALU_DEP_1)
	v_rcp_f32_e32 v1, v0
	s_waitcnt_depctr 0xfff
	v_fma_f32 v5, -v0, v1, 1.0
	v_fmac_f32_e32 v1, v5, v1
	v_div_scale_f32 v5, vcc_lo, 1.0, v6, 1.0
	s_delay_alu instid0(VALU_DEP_1) | instskip(NEXT) | instid1(VALU_DEP_1)
	v_mul_f32_e32 v8, v5, v1
	v_fma_f32 v9, -v0, v8, v5
	s_delay_alu instid0(VALU_DEP_1) | instskip(NEXT) | instid1(VALU_DEP_1)
	v_fmac_f32_e32 v8, v9, v1
	v_fma_f32 v0, -v0, v8, v5
	s_delay_alu instid0(VALU_DEP_1) | instskip(NEXT) | instid1(VALU_DEP_1)
	v_div_fmas_f32 v0, v0, v1, v8
	v_div_fixup_f32 v1, v0, v6, 1.0
.LBB0_25:
	v_lshrrev_b32_e32 v6, 16, v33
	v_dual_mov_b32 v5, 0 :: v_dual_add_nc_u32 v0, s1, v4
	v_lshrrev_b32_e32 v8, 16, v30
	v_cvt_f32_f16_e32 v9, v33
	s_delay_alu instid0(VALU_DEP_4) | instskip(NEXT) | instid1(VALU_DEP_4)
	v_cvt_f32_f16_e32 v6, v6
	v_lshl_add_u32 v4, v0, 8, v179
	v_cvt_f32_f16_e32 v14, v30
	v_cvt_f32_f16_e32 v12, v8
	v_mul_f32_e32 v16, v1, v9
	v_mul_f32_e32 v17, v1, v6
	v_lshlrev_b64 v[8:9], 2, v[4:5]
	v_add_nc_u32_e32 v4, 0x80, v4
	v_mul_f32_e32 v15, v1, v12
	v_lshrrev_b32_e32 v6, 16, v32
	v_lshrrev_b32_e32 v12, 16, v31
	v_cvt_f32_f16_e32 v18, v32
	v_lshlrev_b64 v[4:5], 2, v[4:5]
	v_add_co_u32 v8, vcc_lo, s48, v8
	v_cvt_f32_f16_e32 v6, v6
	v_cvt_f32_f16_e32 v12, v12
	v_cvt_f32_f16_e32 v22, v31
	v_add_co_ci_u32_e32 v9, vcc_lo, s49, v9, vcc_lo
	v_add_co_u32 v4, vcc_lo, s48, v4
	v_mul_f32_e32 v14, v1, v14
	v_mul_f32_e32 v21, v1, v6
	;; [unrolled: 1-line block ×5, first 2 shown]
	v_add_co_ci_u32_e32 v5, vcc_lo, s49, v5, vcc_lo
	s_clause 0x1
	global_store_b128 v[8:9], v[14:17], off
	global_store_b128 v[4:5], v[18:21], off
	s_and_saveexec_b32 s2, s0
	s_cbranch_execz .LBB0_27
; %bb.26:
	v_ashrrev_i32_e32 v1, 31, v0
	v_mov_b32_e32 v9, v2
	s_delay_alu instid0(VALU_DEP_2) | instskip(NEXT) | instid1(VALU_DEP_1)
	v_lshlrev_b64 v[4:5], 3, v[0:1]
	v_add_co_u32 v4, vcc_lo, s50, v4
	s_delay_alu instid0(VALU_DEP_2)
	v_add_co_ci_u32_e32 v5, vcc_lo, s51, v5, vcc_lo
	global_store_b64 v[4:5], v[9:10], off
.LBB0_27:
	s_or_b32 exec_lo, exec_lo, s2
	v_cmp_ne_u32_e32 vcc_lo, 1, v13
	v_mov_b32_e32 v1, 1.0
	s_cbranch_vccnz .LBB0_29
; %bb.28:
	v_div_scale_f32 v1, null, v7, v7, 1.0
	s_delay_alu instid0(VALU_DEP_1) | instskip(SKIP_2) | instid1(VALU_DEP_1)
	v_rcp_f32_e32 v2, v1
	s_waitcnt_depctr 0xfff
	v_fma_f32 v4, -v1, v2, 1.0
	v_fmac_f32_e32 v2, v4, v2
	v_div_scale_f32 v4, vcc_lo, 1.0, v7, 1.0
	s_delay_alu instid0(VALU_DEP_1) | instskip(NEXT) | instid1(VALU_DEP_1)
	v_mul_f32_e32 v5, v4, v2
	v_fma_f32 v6, -v1, v5, v4
	s_delay_alu instid0(VALU_DEP_1) | instskip(NEXT) | instid1(VALU_DEP_1)
	v_fmac_f32_e32 v5, v6, v2
	v_fma_f32 v1, -v1, v5, v4
	s_delay_alu instid0(VALU_DEP_1) | instskip(NEXT) | instid1(VALU_DEP_1)
	v_div_fmas_f32 v1, v1, v2, v5
	v_div_fixup_f32 v1, v1, v7, 1.0
.LBB0_29:
	v_lshrrev_b32_e32 v2, 16, v29
	v_dual_mov_b32 v9, 0 :: v_dual_add_nc_u32 v0, s1, v0
	v_lshrrev_b32_e32 v4, 16, v28
	v_cvt_f32_f16_e32 v5, v29
	s_delay_alu instid0(VALU_DEP_4) | instskip(NEXT) | instid1(VALU_DEP_4)
	v_cvt_f32_f16_e32 v2, v2
	v_lshl_add_u32 v8, v0, 8, v179
	v_cvt_f32_f16_e32 v10, v28
	v_cvt_f32_f16_e32 v4, v4
	v_mul_f32_e32 v6, v1, v5
	v_mul_f32_e32 v7, v1, v2
	v_lshlrev_b64 v[12:13], 2, v[8:9]
	v_add_nc_u32_e32 v8, 0x80, v8
	v_mul_f32_e32 v5, v1, v4
	v_mul_f32_e32 v4, v1, v10
	v_lshrrev_b32_e32 v2, 16, v26
	v_lshrrev_b32_e32 v10, 16, v27
	v_lshlrev_b64 v[8:9], 2, v[8:9]
	v_add_co_u32 v16, vcc_lo, s48, v12
	s_delay_alu instid0(VALU_DEP_4)
	v_cvt_f32_f16_e32 v2, v2
	v_cvt_f32_f16_e32 v12, v26
	;; [unrolled: 1-line block ×4, first 2 shown]
	v_add_co_ci_u32_e32 v17, vcc_lo, s49, v13, vcc_lo
	v_mul_f32_e32 v15, v1, v2
	v_mul_f32_e32 v14, v1, v12
	;; [unrolled: 1-line block ×4, first 2 shown]
	v_add_co_u32 v1, vcc_lo, s48, v8
	v_add_co_ci_u32_e32 v2, vcc_lo, s49, v9, vcc_lo
	s_clause 0x1
	global_store_b128 v[16:17], v[4:7], off
	global_store_b128 v[1:2], v[12:15], off
	s_and_b32 exec_lo, exec_lo, s0
	s_cbranch_execz .LBB0_13
; %bb.30:
	v_ashrrev_i32_e32 v1, 31, v0
	v_mov_b32_e32 v10, v3
	s_delay_alu instid0(VALU_DEP_2) | instskip(NEXT) | instid1(VALU_DEP_1)
	v_lshlrev_b64 v[0:1], 3, v[0:1]
	v_add_co_u32 v0, vcc_lo, s50, v0
	s_delay_alu instid0(VALU_DEP_2)
	v_add_co_ci_u32_e32 v1, vcc_lo, s51, v1, vcc_lo
	global_store_b64 v[0:1], v[10:11], off
	s_nop 0
	s_sendmsg sendmsg(MSG_DEALLOC_VGPRS)
	s_endpgm
	.section	.rodata,"a",@progbits
	.p2align	6, 0x0
	.amdhsa_kernel _ZL15flash_attn_tileILi256ELi256ELi4ELi8ELb0EEvPKcS1_S1_S1_S1_PKiPfP15HIP_vector_typeIfLj2EEffffjfiS5_IjLj3EEiiiiiiiiiiiliiliiiiil
		.amdhsa_group_segment_fixed_size 37888
		.amdhsa_private_segment_fixed_size 0
		.amdhsa_kernarg_size 464
		.amdhsa_user_sgpr_count 13
		.amdhsa_user_sgpr_dispatch_ptr 0
		.amdhsa_user_sgpr_queue_ptr 0
		.amdhsa_user_sgpr_kernarg_segment_ptr 1
		.amdhsa_user_sgpr_dispatch_id 0
		.amdhsa_user_sgpr_private_segment_size 0
		.amdhsa_wavefront_size32 1
		.amdhsa_uses_dynamic_stack 0
		.amdhsa_enable_private_segment 0
		.amdhsa_system_sgpr_workgroup_id_x 1
		.amdhsa_system_sgpr_workgroup_id_y 1
		.amdhsa_system_sgpr_workgroup_id_z 1
		.amdhsa_system_sgpr_workgroup_info 0
		.amdhsa_system_vgpr_workitem_id 1
		.amdhsa_next_free_vgpr 233
		.amdhsa_next_free_sgpr 53
		.amdhsa_reserve_vcc 1
		.amdhsa_float_round_mode_32 0
		.amdhsa_float_round_mode_16_64 0
		.amdhsa_float_denorm_mode_32 3
		.amdhsa_float_denorm_mode_16_64 3
		.amdhsa_dx10_clamp 1
		.amdhsa_ieee_mode 1
		.amdhsa_fp16_overflow 0
		.amdhsa_workgroup_processor_mode 1
		.amdhsa_memory_ordered 1
		.amdhsa_forward_progress 0
		.amdhsa_shared_vgpr_count 0
		.amdhsa_exception_fp_ieee_invalid_op 0
		.amdhsa_exception_fp_denorm_src 0
		.amdhsa_exception_fp_ieee_div_zero 0
		.amdhsa_exception_fp_ieee_overflow 0
		.amdhsa_exception_fp_ieee_underflow 0
		.amdhsa_exception_fp_ieee_inexact 0
		.amdhsa_exception_int_div_zero 0
	.end_amdhsa_kernel
	.section	.text._ZL15flash_attn_tileILi256ELi256ELi4ELi8ELb0EEvPKcS1_S1_S1_S1_PKiPfP15HIP_vector_typeIfLj2EEffffjfiS5_IjLj3EEiiiiiiiiiiiliiliiiiil,"axG",@progbits,_ZL15flash_attn_tileILi256ELi256ELi4ELi8ELb0EEvPKcS1_S1_S1_S1_PKiPfP15HIP_vector_typeIfLj2EEffffjfiS5_IjLj3EEiiiiiiiiiiiliiliiiiil,comdat
.Lfunc_end0:
	.size	_ZL15flash_attn_tileILi256ELi256ELi4ELi8ELb0EEvPKcS1_S1_S1_S1_PKiPfP15HIP_vector_typeIfLj2EEffffjfiS5_IjLj3EEiiiiiiiiiiiliiliiiiil, .Lfunc_end0-_ZL15flash_attn_tileILi256ELi256ELi4ELi8ELb0EEvPKcS1_S1_S1_S1_PKiPfP15HIP_vector_typeIfLj2EEffffjfiS5_IjLj3EEiiiiiiiiiiiliiliiiiil
                                        ; -- End function
	.section	.AMDGPU.csdata,"",@progbits
; Kernel info:
; codeLenInByte = 40340
; NumSgprs: 55
; NumVgprs: 233
; ScratchSize: 0
; MemoryBound: 0
; FloatMode: 240
; IeeeMode: 1
; LDSByteSize: 37888 bytes/workgroup (compile time only)
; SGPRBlocks: 6
; VGPRBlocks: 29
; NumSGPRsForWavesPerEU: 55
; NumVGPRsForWavesPerEU: 233
; Occupancy: 6
; WaveLimiterHint : 1
; COMPUTE_PGM_RSRC2:SCRATCH_EN: 0
; COMPUTE_PGM_RSRC2:USER_SGPR: 13
; COMPUTE_PGM_RSRC2:TRAP_HANDLER: 0
; COMPUTE_PGM_RSRC2:TGID_X_EN: 1
; COMPUTE_PGM_RSRC2:TGID_Y_EN: 1
; COMPUTE_PGM_RSRC2:TGID_Z_EN: 1
; COMPUTE_PGM_RSRC2:TIDIG_COMP_CNT: 1
	.section	.text._ZL25flash_attn_mask_to_KV_maxILi4EEvPK7__half2Piiii,"axG",@progbits,_ZL25flash_attn_mask_to_KV_maxILi4EEvPK7__half2Piiii,comdat
	.globl	_ZL25flash_attn_mask_to_KV_maxILi4EEvPK7__half2Piiii ; -- Begin function _ZL25flash_attn_mask_to_KV_maxILi4EEvPK7__half2Piiii
	.p2align	8
	.type	_ZL25flash_attn_mask_to_KV_maxILi4EEvPK7__half2Piiii,@function
_ZL25flash_attn_mask_to_KV_maxILi4EEvPK7__half2Piiii: ; @_ZL25flash_attn_mask_to_KV_maxILi4EEvPK7__half2Piiii
; %bb.0:
	s_load_b128 s[4:7], s[0:1], 0x0
	s_mov_b32 s2, exec_lo
	v_cmpx_gt_u32_e32 32, v0
	s_cbranch_execz .LBB1_2
; %bb.1:
	v_dual_mov_b32 v2, 1 :: v_dual_lshlrev_b32 v1, 2, v0
	ds_store_b32 v1, v2
.LBB1_2:
	s_or_b32 exec_lo, exec_lo, s2
	s_clause 0x1
	s_load_b128 s[8:11], s[0:1], 0x10
	s_load_b32 s1, s[0:1], 0x20
	v_dual_mov_b32 v2, 0 :: v_dual_and_b32 v1, 31, v0
	v_lshrrev_b32_e32 v5, 3, v0
	s_waitcnt lgkmcnt(0)
	s_barrier
	s_delay_alu instid0(VALU_DEP_2) | instskip(SKIP_4) | instid1(SALU_CYCLE_1)
	v_lshlrev_b32_e32 v6, 2, v1
	buffer_gl0_inv
	s_mul_i32 s0, s14, s9
	s_mul_i32 s2, s15, s10
	s_lshl_b32 s0, s0, 2
	s_add_i32 s2, s2, s0
	v_cmp_eq_u32_e64 s0, 0, v1
	s_ashr_i32 s3, s2, 31
	s_delay_alu instid0(SALU_CYCLE_1) | instskip(NEXT) | instid1(SALU_CYCLE_1)
	s_lshl_b64 s[10:11], s[2:3], 2
	s_add_u32 s3, s4, s10
	s_addc_u32 s4, s5, s11
	s_lshl_b32 s5, s8, 8
	s_branch .LBB1_4
.LBB1_3:                                ;   in Loop: Header=BB1_4 Depth=1
	s_or_b32 exec_lo, exec_lo, s10
	s_waitcnt lgkmcnt(0)
	s_barrier
	buffer_gl0_inv
	ds_load_b32 v1, v6
	s_waitcnt lgkmcnt(0)
	s_barrier
	buffer_gl0_inv
	;;#ASMSTART
	;;#ASMEND
	v_cmp_ne_u32_e32 vcc_lo, 0, v1
	s_cmp_lg_u32 vcc_lo, exec_lo
	s_cselect_b32 s8, -1, 0
	s_delay_alu instid0(SALU_CYCLE_1)
	s_and_b32 vcc_lo, exec_lo, s8
	s_cbranch_vccnz .LBB1_20
.LBB1_4:                                ; =>This Inner Loop Header: Depth=1
	s_mov_b32 s2, s5
	s_addk_i32 s5, 0xff00
	s_delay_alu instid0(SALU_CYCLE_1)
	s_cmp_lt_i32 s5, 0
	s_cbranch_scc1 .LBB1_19
; %bb.5:                                ;   in Loop: Header=BB1_4 Depth=1
	s_lshr_b32 s8, s5, 1
	s_mov_b32 s10, 0
	v_add_nc_u32_e32 v1, s8, v0
	s_delay_alu instid0(VALU_DEP_1) | instskip(NEXT) | instid1(VALU_DEP_1)
	v_lshlrev_b64 v[3:4], 2, v[1:2]
	v_add_co_u32 v3, vcc_lo, s3, v3
	s_delay_alu instid0(VALU_DEP_2) | instskip(SKIP_4) | instid1(VALU_DEP_2)
	v_add_co_ci_u32_e32 v4, vcc_lo, s4, v4, vcc_lo
	global_load_b32 v3, v[3:4], off
	s_waitcnt vmcnt(0)
	v_lshrrev_b32_e32 v4, 16, v3
	v_cmp_class_f16_e64 s8, v3, 0x204
	v_and_b32_e32 v4, 0x7fff, v4
	s_delay_alu instid0(VALU_DEP_1) | instskip(NEXT) | instid1(VALU_DEP_3)
	v_cmp_eq_f16_e32 vcc_lo, 0x7c00, v4
	s_and_b32 s11, s8, vcc_lo
	s_delay_alu instid0(SALU_CYCLE_1)
	s_and_saveexec_b32 s8, s11
	s_cbranch_execz .LBB1_17
; %bb.6:                                ;   in Loop: Header=BB1_4 Depth=1
	v_add_nc_u32_e32 v3, s9, v1
	s_mov_b32 s11, 0
	s_delay_alu instid0(VALU_DEP_1) | instskip(NEXT) | instid1(VALU_DEP_1)
	v_ashrrev_i32_e32 v4, 31, v3
	v_lshlrev_b64 v[7:8], 2, v[3:4]
	s_delay_alu instid0(VALU_DEP_1) | instskip(NEXT) | instid1(VALU_DEP_2)
	v_add_co_u32 v7, vcc_lo, s3, v7
	v_add_co_ci_u32_e32 v8, vcc_lo, s4, v8, vcc_lo
	global_load_b32 v1, v[7:8], off
	s_waitcnt vmcnt(0)
	v_cmp_class_f16_e64 s12, v1, 0x204
	s_delay_alu instid0(VALU_DEP_1)
	s_and_saveexec_b32 s10, s12
	s_cbranch_execz .LBB1_16
; %bb.7:                                ;   in Loop: Header=BB1_4 Depth=1
	v_lshrrev_b32_e32 v1, 16, v1
	s_mov_b32 s12, 0
	s_delay_alu instid0(VALU_DEP_1) | instskip(NEXT) | instid1(VALU_DEP_1)
	v_cmp_class_f16_e64 s13, v1, 0x204
	s_and_saveexec_b32 s11, s13
	s_cbranch_execz .LBB1_15
; %bb.8:                                ;   in Loop: Header=BB1_4 Depth=1
	v_add_nc_u32_e32 v3, s9, v3
	s_mov_b32 s13, 0
	s_delay_alu instid0(VALU_DEP_1) | instskip(NEXT) | instid1(VALU_DEP_1)
	v_ashrrev_i32_e32 v4, 31, v3
	v_lshlrev_b64 v[7:8], 2, v[3:4]
	s_delay_alu instid0(VALU_DEP_1) | instskip(NEXT) | instid1(VALU_DEP_2)
	v_add_co_u32 v7, vcc_lo, s3, v7
	v_add_co_ci_u32_e32 v8, vcc_lo, s4, v8, vcc_lo
	global_load_b32 v1, v[7:8], off
	s_waitcnt vmcnt(0)
	v_cmp_class_f16_e64 s16, v1, 0x204
	s_delay_alu instid0(VALU_DEP_1)
	s_and_saveexec_b32 s12, s16
	s_cbranch_execz .LBB1_14
; %bb.9:                                ;   in Loop: Header=BB1_4 Depth=1
	v_lshrrev_b32_e32 v1, 16, v1
	s_mov_b32 s16, 0
	s_delay_alu instid0(VALU_DEP_1) | instskip(NEXT) | instid1(VALU_DEP_1)
	v_cmp_class_f16_e64 s17, v1, 0x204
	s_and_saveexec_b32 s13, s17
	s_cbranch_execz .LBB1_13
; %bb.10:                               ;   in Loop: Header=BB1_4 Depth=1
	v_add_nc_u32_e32 v3, s9, v3
	s_delay_alu instid0(VALU_DEP_1) | instskip(NEXT) | instid1(VALU_DEP_1)
	v_ashrrev_i32_e32 v4, 31, v3
	v_lshlrev_b64 v[3:4], 2, v[3:4]
	s_delay_alu instid0(VALU_DEP_1) | instskip(NEXT) | instid1(VALU_DEP_2)
	v_add_co_u32 v3, vcc_lo, s3, v3
	v_add_co_ci_u32_e32 v4, vcc_lo, s4, v4, vcc_lo
	global_load_b32 v1, v[3:4], off
	s_waitcnt vmcnt(0)
	v_cmp_class_f16_e64 s18, v1, 0x204
	s_delay_alu instid0(VALU_DEP_1)
	s_and_saveexec_b32 s17, s18
; %bb.11:                               ;   in Loop: Header=BB1_4 Depth=1
	v_lshrrev_b32_e32 v1, 16, v1
	s_delay_alu instid0(VALU_DEP_1) | instskip(NEXT) | instid1(VALU_DEP_1)
	v_cmp_class_f16_e64 s16, v1, 0x204
	s_and_b32 s16, s16, exec_lo
; %bb.12:                               ;   in Loop: Header=BB1_4 Depth=1
	s_or_b32 exec_lo, exec_lo, s17
	s_delay_alu instid0(SALU_CYCLE_1)
	s_and_b32 s16, s16, exec_lo
.LBB1_13:                               ;   in Loop: Header=BB1_4 Depth=1
	s_or_b32 exec_lo, exec_lo, s13
	s_delay_alu instid0(SALU_CYCLE_1)
	s_and_b32 s13, s16, exec_lo
.LBB1_14:                               ;   in Loop: Header=BB1_4 Depth=1
	s_or_b32 exec_lo, exec_lo, s12
	s_delay_alu instid0(SALU_CYCLE_1)
	s_and_b32 s12, s13, exec_lo
.LBB1_15:                               ;   in Loop: Header=BB1_4 Depth=1
	s_or_b32 exec_lo, exec_lo, s11
	s_delay_alu instid0(SALU_CYCLE_1)
	s_and_b32 s11, s12, exec_lo
.LBB1_16:                               ;   in Loop: Header=BB1_4 Depth=1
	s_or_b32 exec_lo, exec_lo, s10
	s_delay_alu instid0(SALU_CYCLE_1)
	s_and_b32 s10, s11, exec_lo
.LBB1_17:                               ;   in Loop: Header=BB1_4 Depth=1
	s_or_b32 exec_lo, exec_lo, s8
	v_cndmask_b32_e64 v1, 0, 1, s10
	;;#ASMSTART
	;;#ASMEND
	s_delay_alu instid0(VALU_DEP_1)
	v_cmp_ne_u32_e32 vcc_lo, 0, v1
	s_mov_b32 s8, exec_lo
	s_and_saveexec_b32 s10, s0
	s_cbranch_execz .LBB1_3
; %bb.18:                               ;   in Loop: Header=BB1_4 Depth=1
	s_cmp_eq_u32 vcc_lo, s8
	s_cselect_b32 s8, -1, 0
	s_delay_alu instid0(SALU_CYCLE_1)
	v_cndmask_b32_e64 v1, 0, 1, s8
	ds_store_b32 v5, v1
	s_branch .LBB1_3
.LBB1_19:                               ;   in Loop: Header=BB1_4 Depth=1
                                        ; implicit-def: $sgpr5
	s_cbranch_execz .LBB1_4
.LBB1_20:
	s_mov_b32 s0, exec_lo
	v_cmpx_eq_u32_e32 0, v0
	s_cbranch_execz .LBB1_22
; %bb.21:
	s_mul_i32 s0, s1, s15
	v_dual_mov_b32 v0, 0 :: v_dual_mov_b32 v1, s2
	s_add_i32 s0, s0, s14
	s_delay_alu instid0(SALU_CYCLE_1) | instskip(NEXT) | instid1(SALU_CYCLE_1)
	s_ashr_i32 s1, s0, 31
	s_lshl_b64 s[0:1], s[0:1], 2
	s_delay_alu instid0(SALU_CYCLE_1)
	s_add_u32 s0, s6, s0
	s_addc_u32 s1, s7, s1
	global_store_b32 v0, v1, s[0:1]
.LBB1_22:
	s_nop 0
	s_sendmsg sendmsg(MSG_DEALLOC_VGPRS)
	s_endpgm
	.section	.rodata,"a",@progbits
	.p2align	6, 0x0
	.amdhsa_kernel _ZL25flash_attn_mask_to_KV_maxILi4EEvPK7__half2Piiii
		.amdhsa_group_segment_fixed_size 128
		.amdhsa_private_segment_fixed_size 0
		.amdhsa_kernarg_size 288
		.amdhsa_user_sgpr_count 14
		.amdhsa_user_sgpr_dispatch_ptr 0
		.amdhsa_user_sgpr_queue_ptr 0
		.amdhsa_user_sgpr_kernarg_segment_ptr 1
		.amdhsa_user_sgpr_dispatch_id 0
		.amdhsa_user_sgpr_private_segment_size 0
		.amdhsa_wavefront_size32 1
		.amdhsa_uses_dynamic_stack 0
		.amdhsa_enable_private_segment 0
		.amdhsa_system_sgpr_workgroup_id_x 1
		.amdhsa_system_sgpr_workgroup_id_y 1
		.amdhsa_system_sgpr_workgroup_id_z 0
		.amdhsa_system_sgpr_workgroup_info 0
		.amdhsa_system_vgpr_workitem_id 0
		.amdhsa_next_free_vgpr 9
		.amdhsa_next_free_sgpr 19
		.amdhsa_reserve_vcc 1
		.amdhsa_float_round_mode_32 0
		.amdhsa_float_round_mode_16_64 0
		.amdhsa_float_denorm_mode_32 3
		.amdhsa_float_denorm_mode_16_64 3
		.amdhsa_dx10_clamp 1
		.amdhsa_ieee_mode 1
		.amdhsa_fp16_overflow 0
		.amdhsa_workgroup_processor_mode 1
		.amdhsa_memory_ordered 1
		.amdhsa_forward_progress 0
		.amdhsa_shared_vgpr_count 0
		.amdhsa_exception_fp_ieee_invalid_op 0
		.amdhsa_exception_fp_denorm_src 0
		.amdhsa_exception_fp_ieee_div_zero 0
		.amdhsa_exception_fp_ieee_overflow 0
		.amdhsa_exception_fp_ieee_underflow 0
		.amdhsa_exception_fp_ieee_inexact 0
		.amdhsa_exception_int_div_zero 0
	.end_amdhsa_kernel
	.section	.text._ZL25flash_attn_mask_to_KV_maxILi4EEvPK7__half2Piiii,"axG",@progbits,_ZL25flash_attn_mask_to_KV_maxILi4EEvPK7__half2Piiii,comdat
.Lfunc_end1:
	.size	_ZL25flash_attn_mask_to_KV_maxILi4EEvPK7__half2Piiii, .Lfunc_end1-_ZL25flash_attn_mask_to_KV_maxILi4EEvPK7__half2Piiii
                                        ; -- End function
	.section	.AMDGPU.csdata,"",@progbits
; Kernel info:
; codeLenInByte = 848
; NumSgprs: 21
; NumVgprs: 9
; ScratchSize: 0
; MemoryBound: 0
; FloatMode: 240
; IeeeMode: 1
; LDSByteSize: 128 bytes/workgroup (compile time only)
; SGPRBlocks: 2
; VGPRBlocks: 1
; NumSGPRsForWavesPerEU: 21
; NumVGPRsForWavesPerEU: 9
; Occupancy: 16
; WaveLimiterHint : 0
; COMPUTE_PGM_RSRC2:SCRATCH_EN: 0
; COMPUTE_PGM_RSRC2:USER_SGPR: 14
; COMPUTE_PGM_RSRC2:TRAP_HANDLER: 0
; COMPUTE_PGM_RSRC2:TGID_X_EN: 1
; COMPUTE_PGM_RSRC2:TGID_Y_EN: 1
; COMPUTE_PGM_RSRC2:TGID_Z_EN: 0
; COMPUTE_PGM_RSRC2:TIDIG_COMP_CNT: 0
	.section	.text._ZL33flash_attn_stream_k_fixup_uniformILi256ELi4ELi8EEvPfPK15HIP_vector_typeIfLj2EEiiiiiiS1_IjLj3EES5_S5_,"axG",@progbits,_ZL33flash_attn_stream_k_fixup_uniformILi256ELi4ELi8EEvPfPK15HIP_vector_typeIfLj2EEiiiiiiS1_IjLj3EES5_S5_,comdat
	.globl	_ZL33flash_attn_stream_k_fixup_uniformILi256ELi4ELi8EEvPfPK15HIP_vector_typeIfLj2EEiiiiiiS1_IjLj3EES5_S5_ ; -- Begin function _ZL33flash_attn_stream_k_fixup_uniformILi256ELi4ELi8EEvPfPK15HIP_vector_typeIfLj2EEiiiiiiS1_IjLj3EES5_S5_
	.p2align	8
	.type	_ZL33flash_attn_stream_k_fixup_uniformILi256ELi4ELi8EEvPfPK15HIP_vector_typeIfLj2EEiiiiiiS1_IjLj3EES5_S5_,@function
_ZL33flash_attn_stream_k_fixup_uniformILi256ELi4ELi8EEvPfPK15HIP_vector_typeIfLj2EEiiiiiiS1_IjLj3EES5_S5_: ; @_ZL33flash_attn_stream_k_fixup_uniformILi256ELi4ELi8EEvPfPK15HIP_vector_typeIfLj2EEiiiiiiS1_IjLj3EES5_S5_
; %bb.0:
	s_clause 0x1
	s_load_b256 s[4:11], s[0:1], 0x1c
	s_load_b128 s[16:19], s[0:1], 0x3c
	s_waitcnt lgkmcnt(0)
	s_mul_hi_u32 s2, s7, s13
	s_delay_alu instid0(SALU_CYCLE_1) | instskip(NEXT) | instid1(SALU_CYCLE_1)
	s_add_i32 s2, s13, s2
	s_lshr_b32 s2, s2, s8
	s_delay_alu instid0(SALU_CYCLE_1) | instskip(SKIP_2) | instid1(SALU_CYCLE_1)
	s_mul_i32 s3, s2, s9
	s_load_b64 s[8:9], s[0:1], 0x10
	s_sub_i32 s7, s13, s3
	s_mul_hi_u32 s3, s7, s10
	s_delay_alu instid0(SALU_CYCLE_1) | instskip(NEXT) | instid1(SALU_CYCLE_1)
	s_add_i32 s3, s7, s3
	s_lshr_b32 s3, s3, s11
	s_delay_alu instid0(SALU_CYCLE_1) | instskip(NEXT) | instid1(SALU_CYCLE_1)
	s_mul_i32 s10, s3, s16
	s_sub_i32 s7, s7, s10
	s_delay_alu instid0(SALU_CYCLE_1) | instskip(NEXT) | instid1(SALU_CYCLE_1)
	s_mul_hi_u32 s10, s7, s17
	s_add_i32 s10, s7, s10
	s_delay_alu instid0(SALU_CYCLE_1) | instskip(NEXT) | instid1(SALU_CYCLE_1)
	s_lshr_b32 s10, s10, s18
	s_mul_i32 s11, s10, s19
	s_lshl_b32 s10, s10, 3
	s_sub_i32 s7, s7, s11
	s_delay_alu instid0(SALU_CYCLE_1) | instskip(NEXT) | instid1(SALU_CYCLE_1)
	s_lshl_b32 s11, s7, 2
	s_add_i32 s11, s11, s14
	s_waitcnt lgkmcnt(0)
	s_cmp_lt_i32 s11, s8
	s_cselect_b32 s11, -1, 0
	s_add_i32 s12, s10, s15
	s_delay_alu instid0(SALU_CYCLE_1) | instskip(SKIP_1) | instid1(SALU_CYCLE_1)
	s_cmp_lt_i32 s12, s5
	s_cselect_b32 s12, -1, 0
	s_and_b32 s11, s11, s12
	s_delay_alu instid0(SALU_CYCLE_1)
	s_and_not1_b32 vcc_lo, exec_lo, s11
	s_cbranch_vccnz .LBB2_6
; %bb.1:
	s_mul_i32 s2, s2, s8
	s_mul_i32 s5, s3, s5
	s_add_i32 s2, s2, s14
	s_mul_i32 s7, s9, s7
	s_mul_i32 s2, s2, s9
	s_lshl_b32 s7, s7, 10
	s_add_i32 s8, s2, s15
	s_load_b128 s[0:3], s[0:1], 0x0
	s_add_i32 s5, s8, s5
	s_lshl_b32 s9, s14, 3
	s_add_i32 s5, s5, s10
	s_delay_alu instid0(SALU_CYCLE_1) | instskip(NEXT) | instid1(SALU_CYCLE_1)
	s_lshl_b32 s5, s5, 8
	s_add_i32 s7, s7, s5
	s_mul_i32 s5, s13, s6
	v_or_b32_e32 v1, s7, v0
	s_add_i32 s10, s5, s6
	s_delay_alu instid0(VALU_DEP_1) | instskip(NEXT) | instid1(VALU_DEP_1)
	v_ashrrev_i32_e32 v2, 31, v1
	v_lshlrev_b64 v[1:2], 2, v[1:2]
	s_waitcnt lgkmcnt(0)
	s_delay_alu instid0(VALU_DEP_1) | instskip(NEXT) | instid1(VALU_DEP_2)
	v_add_co_u32 v1, vcc_lo, s0, v1
	v_add_co_ci_u32_e32 v2, vcc_lo, s1, v2, vcc_lo
	s_add_i32 s0, s9, s15
	s_lshl_b32 s1, s10, 5
	s_delay_alu instid0(SALU_CYCLE_1) | instskip(SKIP_2) | instid1(SALU_CYCLE_1)
	s_add_i32 s0, s0, s1
	global_load_b32 v5, v[1:2], off
	s_sub_i32 s0, s0, 32
	s_ashr_i32 s1, s0, 31
	s_delay_alu instid0(SALU_CYCLE_1) | instskip(NEXT) | instid1(SALU_CYCLE_1)
	s_lshl_b64 s[0:1], s[0:1], 3
	s_add_u32 s0, s2, s0
	s_addc_u32 s1, s3, s1
	s_add_i32 s7, s10, -2
	s_load_b32 s11, s[0:1], 0x4
	s_cmp_lt_i32 s7, s5
	s_cbranch_scc1 .LBB2_4
; %bb.2:
	s_lshl_b32 s16, s4, 7
	s_load_b32 s12, s[0:1], 0x0
	s_ashr_i32 s17, s16, 31
	s_delay_alu instid0(SALU_CYCLE_1) | instskip(NEXT) | instid1(SALU_CYCLE_1)
	s_lshl_b64 s[0:1], s[16:17], 2
	s_add_u32 s7, s2, s0
	s_addc_u32 s8, s3, s1
	s_add_i32 s13, s13, 1
	s_lshl_b32 s0, s14, 11
	s_lshl_b32 s1, s15, 8
	s_mul_i32 s6, s6, s13
	s_add_i32 s0, s1, s0
	s_lshl_b32 s1, s6, 13
	s_delay_alu instid0(SALU_CYCLE_1)
	s_add_i32 s0, s0, s1
	s_lshl_b32 s1, s6, 5
	v_or_b32_e32 v0, s0, v0
	s_lshl_b32 s0, s4, 5
	s_add_i32 s1, s15, s1
	s_waitcnt lgkmcnt(0)
	v_mov_b32_e32 v6, s11
	s_add_i32 s0, s1, s0
	v_dual_mov_b32 v0, s12 :: v_dual_add_nc_u32 v3, 0xffffc000, v0
	s_add_i32 s0, s0, s9
	s_add_i32 s4, s10, -1
	s_sub_i32 s0, s0, 64
.LBB2_3:                                ; =>This Inner Loop Header: Depth=1
	s_delay_alu instid0(VALU_DEP_1) | instskip(SKIP_1) | instid1(SALU_CYCLE_1)
	v_ashrrev_i32_e32 v4, 31, v3
	s_ashr_i32 s1, s0, 31
	s_lshl_b64 s[10:11], s[0:1], 3
	s_delay_alu instid0(SALU_CYCLE_1) | instskip(NEXT) | instid1(VALU_DEP_1)
	s_add_u32 s10, s2, s10
	v_lshlrev_b64 v[7:8], 2, v[3:4]
	s_addc_u32 s11, s3, s11
	s_add_i32 s4, s4, -1
	s_sub_i32 s0, s0, 32
	s_cmp_le_i32 s4, s5
	s_load_b64 s[10:11], s[10:11], 0x0
	v_add_co_u32 v7, vcc_lo, s7, v7
	v_add_co_ci_u32_e32 v8, vcc_lo, s8, v8, vcc_lo
	global_load_b32 v4, v[7:8], off
	v_max_f32_e32 v7, v0, v0
	s_waitcnt lgkmcnt(0)
	v_max_f32_e64 v8, s10, s10
	s_delay_alu instid0(VALU_DEP_1) | instskip(NEXT) | instid1(VALU_DEP_1)
	v_max_f32_e32 v7, v7, v8
	v_sub_f32_e32 v8, s10, v7
	s_delay_alu instid0(VALU_DEP_1) | instskip(NEXT) | instid1(VALU_DEP_1)
	v_dual_sub_f32 v0, v0, v7 :: v_dual_mul_f32 v9, 0x3fb8aa3b, v8
	v_fma_f32 v10, 0x3fb8aa3b, v8, -v9
	v_rndne_f32_e32 v11, v9
	s_delay_alu instid0(VALU_DEP_3) | instskip(NEXT) | instid1(VALU_DEP_2)
	v_mul_f32_e32 v12, 0x3fb8aa3b, v0
	v_dual_fmac_f32 v10, 0x32a5705f, v8 :: v_dual_sub_f32 v9, v9, v11
	v_cvt_i32_f32_e32 v11, v11
	s_delay_alu instid0(VALU_DEP_3) | instskip(SKIP_1) | instid1(VALU_DEP_4)
	v_fma_f32 v13, 0x3fb8aa3b, v0, -v12
	v_rndne_f32_e32 v14, v12
	v_add_f32_e32 v9, v9, v10
	v_cmp_ngt_f32_e32 vcc_lo, 0xc2ce8ed0, v8
	s_delay_alu instid0(VALU_DEP_3) | instskip(NEXT) | instid1(VALU_DEP_3)
	v_sub_f32_e32 v10, v12, v14
	v_exp_f32_e32 v9, v9
	s_waitcnt_depctr 0xfff
	v_ldexp_f32 v9, v9, v11
	v_cvt_i32_f32_e32 v11, v14
	s_delay_alu instid0(VALU_DEP_2) | instskip(SKIP_1) | instid1(VALU_DEP_2)
	v_cndmask_b32_e32 v9, 0, v9, vcc_lo
	v_cmp_nlt_f32_e32 vcc_lo, 0x42b17218, v8
	v_cndmask_b32_e32 v9, 0x7f800000, v9, vcc_lo
	v_cmp_ngt_f32_e32 vcc_lo, 0xc2ce8ed0, v0
	v_fmac_f32_e32 v13, 0x32a5705f, v0
	s_delay_alu instid0(VALU_DEP_1) | instskip(NEXT) | instid1(VALU_DEP_1)
	v_add_f32_e32 v10, v10, v13
	v_exp_f32_e32 v10, v10
	s_waitcnt_depctr 0xfff
	v_ldexp_f32 v10, v10, v11
	s_delay_alu instid0(VALU_DEP_1)
	v_dual_mov_b32 v11, v6 :: v_dual_cndmask_b32 v10, 0, v10
	v_cmp_le_f32_e32 vcc_lo, 0xc1a00000, v8
	s_waitcnt vmcnt(1)
	v_dual_cndmask_b32 v8, 0, v9 :: v_dual_mov_b32 v9, v5
	v_cmp_nlt_f32_e32 vcc_lo, 0x42b17218, v0
	v_cndmask_b32_e32 v5, 0x7f800000, v10, vcc_lo
	s_delay_alu instid0(VALU_DEP_3) | instskip(SKIP_2) | instid1(VALU_DEP_3)
	v_mul_f32_e32 v10, s11, v8
	v_cmp_le_f32_e32 vcc_lo, 0xc1a00000, v0
	v_mov_b32_e32 v0, v7
	v_mov_b32_e32 v6, v10
	s_waitcnt vmcnt(0)
	v_dual_cndmask_b32 v12, 0, v5 :: v_dual_mul_f32 v5, v4, v8
	s_delay_alu instid0(VALU_DEP_1) | instskip(NEXT) | instid1(VALU_DEP_2)
	v_dual_fmac_f32 v6, v11, v12 :: v_dual_add_nc_u32 v3, 0xffffe000, v3
	v_fmac_f32_e32 v5, v9, v12
	s_cbranch_scc0 .LBB2_3
	s_branch .LBB2_5
.LBB2_4:
	s_waitcnt lgkmcnt(0)
	v_mov_b32_e32 v6, s11
.LBB2_5:
	s_waitcnt vmcnt(0)
	s_delay_alu instid0(VALU_DEP_1) | instskip(NEXT) | instid1(VALU_DEP_1)
	v_div_scale_f32 v0, null, v6, v6, v5
	v_rcp_f32_e32 v3, v0
	s_waitcnt_depctr 0xfff
	v_fma_f32 v4, -v0, v3, 1.0
	s_delay_alu instid0(VALU_DEP_1) | instskip(SKIP_1) | instid1(VALU_DEP_1)
	v_fmac_f32_e32 v3, v4, v3
	v_div_scale_f32 v4, vcc_lo, v5, v6, v5
	v_mul_f32_e32 v7, v4, v3
	s_delay_alu instid0(VALU_DEP_1) | instskip(NEXT) | instid1(VALU_DEP_1)
	v_fma_f32 v8, -v0, v7, v4
	v_fmac_f32_e32 v7, v8, v3
	s_delay_alu instid0(VALU_DEP_1) | instskip(NEXT) | instid1(VALU_DEP_1)
	v_fma_f32 v0, -v0, v7, v4
	v_div_fmas_f32 v0, v0, v3, v7
	s_delay_alu instid0(VALU_DEP_1)
	v_div_fixup_f32 v0, v0, v6, v5
	global_store_b32 v[1:2], v0, off
.LBB2_6:
	s_nop 0
	s_sendmsg sendmsg(MSG_DEALLOC_VGPRS)
	s_endpgm
	.section	.rodata,"a",@progbits
	.p2align	6, 0x0
	.amdhsa_kernel _ZL33flash_attn_stream_k_fixup_uniformILi256ELi4ELi8EEvPfPK15HIP_vector_typeIfLj2EEiiiiiiS1_IjLj3EES5_S5_
		.amdhsa_group_segment_fixed_size 0
		.amdhsa_private_segment_fixed_size 0
		.amdhsa_kernarg_size 76
		.amdhsa_user_sgpr_count 13
		.amdhsa_user_sgpr_dispatch_ptr 0
		.amdhsa_user_sgpr_queue_ptr 0
		.amdhsa_user_sgpr_kernarg_segment_ptr 1
		.amdhsa_user_sgpr_dispatch_id 0
		.amdhsa_user_sgpr_private_segment_size 0
		.amdhsa_wavefront_size32 1
		.amdhsa_uses_dynamic_stack 0
		.amdhsa_enable_private_segment 0
		.amdhsa_system_sgpr_workgroup_id_x 1
		.amdhsa_system_sgpr_workgroup_id_y 1
		.amdhsa_system_sgpr_workgroup_id_z 1
		.amdhsa_system_sgpr_workgroup_info 0
		.amdhsa_system_vgpr_workitem_id 0
		.amdhsa_next_free_vgpr 15
		.amdhsa_next_free_sgpr 20
		.amdhsa_reserve_vcc 1
		.amdhsa_float_round_mode_32 0
		.amdhsa_float_round_mode_16_64 0
		.amdhsa_float_denorm_mode_32 3
		.amdhsa_float_denorm_mode_16_64 3
		.amdhsa_dx10_clamp 1
		.amdhsa_ieee_mode 1
		.amdhsa_fp16_overflow 0
		.amdhsa_workgroup_processor_mode 1
		.amdhsa_memory_ordered 1
		.amdhsa_forward_progress 0
		.amdhsa_shared_vgpr_count 0
		.amdhsa_exception_fp_ieee_invalid_op 0
		.amdhsa_exception_fp_denorm_src 0
		.amdhsa_exception_fp_ieee_div_zero 0
		.amdhsa_exception_fp_ieee_overflow 0
		.amdhsa_exception_fp_ieee_underflow 0
		.amdhsa_exception_fp_ieee_inexact 0
		.amdhsa_exception_int_div_zero 0
	.end_amdhsa_kernel
	.section	.text._ZL33flash_attn_stream_k_fixup_uniformILi256ELi4ELi8EEvPfPK15HIP_vector_typeIfLj2EEiiiiiiS1_IjLj3EES5_S5_,"axG",@progbits,_ZL33flash_attn_stream_k_fixup_uniformILi256ELi4ELi8EEvPfPK15HIP_vector_typeIfLj2EEiiiiiiS1_IjLj3EES5_S5_,comdat
.Lfunc_end2:
	.size	_ZL33flash_attn_stream_k_fixup_uniformILi256ELi4ELi8EEvPfPK15HIP_vector_typeIfLj2EEiiiiiiS1_IjLj3EES5_S5_, .Lfunc_end2-_ZL33flash_attn_stream_k_fixup_uniformILi256ELi4ELi8EEvPfPK15HIP_vector_typeIfLj2EEiiiiiiS1_IjLj3EES5_S5_
                                        ; -- End function
	.section	.AMDGPU.csdata,"",@progbits
; Kernel info:
; codeLenInByte = 996
; NumSgprs: 22
; NumVgprs: 15
; ScratchSize: 0
; MemoryBound: 0
; FloatMode: 240
; IeeeMode: 1
; LDSByteSize: 0 bytes/workgroup (compile time only)
; SGPRBlocks: 2
; VGPRBlocks: 1
; NumSGPRsForWavesPerEU: 22
; NumVGPRsForWavesPerEU: 15
; Occupancy: 16
; WaveLimiterHint : 0
; COMPUTE_PGM_RSRC2:SCRATCH_EN: 0
; COMPUTE_PGM_RSRC2:USER_SGPR: 13
; COMPUTE_PGM_RSRC2:TRAP_HANDLER: 0
; COMPUTE_PGM_RSRC2:TGID_X_EN: 1
; COMPUTE_PGM_RSRC2:TGID_Y_EN: 1
; COMPUTE_PGM_RSRC2:TGID_Z_EN: 1
; COMPUTE_PGM_RSRC2:TIDIG_COMP_CNT: 0
	.section	.text._ZL33flash_attn_stream_k_fixup_generalILi256ELi4ELi8EEvPfPK15HIP_vector_typeIfLj2EEiiiiS1_IjLj3EES5_S5_S5_,"axG",@progbits,_ZL33flash_attn_stream_k_fixup_generalILi256ELi4ELi8EEvPfPK15HIP_vector_typeIfLj2EEiiiiS1_IjLj3EES5_S5_S5_,comdat
	.globl	_ZL33flash_attn_stream_k_fixup_generalILi256ELi4ELi8EEvPfPK15HIP_vector_typeIfLj2EEiiiiS1_IjLj3EES5_S5_S5_ ; -- Begin function _ZL33flash_attn_stream_k_fixup_generalILi256ELi4ELi8EEvPfPK15HIP_vector_typeIfLj2EEiiiiS1_IjLj3EES5_S5_S5_
	.p2align	8
	.type	_ZL33flash_attn_stream_k_fixup_generalILi256ELi4ELi8EEvPfPK15HIP_vector_typeIfLj2EEiiiiS1_IjLj3EES5_S5_S5_,@function
_ZL33flash_attn_stream_k_fixup_generalILi256ELi4ELi8EEvPfPK15HIP_vector_typeIfLj2EEiiiiS1_IjLj3EES5_S5_S5_: ; @_ZL33flash_attn_stream_k_fixup_generalILi256ELi4ELi8EEvPfPK15HIP_vector_typeIfLj2EEiiiiS1_IjLj3EES5_S5_S5_
; %bb.0:
	s_clause 0x1
	s_load_b128 s[4:7], s[0:1], 0x10
	s_load_b32 s20, s[0:1], 0x50
	s_mov_b32 s2, 0
	s_waitcnt lgkmcnt(0)
	s_mul_hi_i32 s3, s7, s13
	s_mul_i32 s12, s7, s13
	s_cmp_lg_u64 s[2:3], 0
	s_cbranch_scc0 .LBB3_21
; %bb.1:
	v_cvt_f32_ubyte0_e32 v1, 0
	v_cvt_f32_u32_e32 v2, s20
	s_sub_u32 s10, 0, s20
	s_subb_u32 s11, 0, 0
	s_delay_alu instid0(VALU_DEP_1) | instskip(NEXT) | instid1(VALU_DEP_1)
	v_fmamk_f32 v1, v1, 0x4f800000, v2
	v_rcp_f32_e32 v1, v1
	s_waitcnt_depctr 0xfff
	v_mul_f32_e32 v1, 0x5f7ffffc, v1
	s_delay_alu instid0(VALU_DEP_1) | instskip(NEXT) | instid1(VALU_DEP_1)
	v_mul_f32_e32 v2, 0x2f800000, v1
	v_trunc_f32_e32 v2, v2
	s_delay_alu instid0(VALU_DEP_1) | instskip(SKIP_1) | instid1(VALU_DEP_2)
	v_fmamk_f32 v1, v2, 0xcf800000, v1
	v_cvt_u32_f32_e32 v2, v2
	v_cvt_u32_f32_e32 v1, v1
	s_delay_alu instid0(VALU_DEP_2) | instskip(NEXT) | instid1(VALU_DEP_2)
	v_readfirstlane_b32 s8, v2
	v_readfirstlane_b32 s9, v1
	s_delay_alu instid0(VALU_DEP_2) | instskip(NEXT) | instid1(VALU_DEP_1)
	s_mul_i32 s16, s10, s8
	s_mul_hi_u32 s18, s10, s9
	s_mul_i32 s17, s11, s9
	s_add_i32 s16, s18, s16
	s_mul_i32 s19, s10, s9
	s_add_i32 s16, s16, s17
	s_mul_hi_u32 s18, s9, s19
	s_mul_hi_u32 s21, s8, s19
	s_mul_i32 s17, s8, s19
	s_mul_hi_u32 s19, s9, s16
	s_mul_i32 s9, s9, s16
	s_mul_hi_u32 s22, s8, s16
	s_add_u32 s9, s18, s9
	s_addc_u32 s18, 0, s19
	s_add_u32 s9, s9, s17
	s_mul_i32 s16, s8, s16
	s_addc_u32 s9, s18, s21
	s_addc_u32 s17, s22, 0
	s_add_u32 s9, s9, s16
	s_addc_u32 s16, 0, s17
	v_add_co_u32 v1, s9, v1, s9
	s_delay_alu instid0(VALU_DEP_1) | instskip(SKIP_1) | instid1(VALU_DEP_1)
	s_cmp_lg_u32 s9, 0
	s_addc_u32 s8, s8, s16
	v_readfirstlane_b32 s9, v1
	s_mul_i32 s16, s10, s8
	s_delay_alu instid0(VALU_DEP_1)
	s_mul_hi_u32 s17, s10, s9
	s_mul_i32 s11, s11, s9
	s_add_i32 s16, s17, s16
	s_mul_i32 s10, s10, s9
	s_add_i32 s16, s16, s11
	s_mul_hi_u32 s17, s8, s10
	s_mul_i32 s18, s8, s10
	s_mul_hi_u32 s10, s9, s10
	s_mul_hi_u32 s19, s9, s16
	s_mul_i32 s9, s9, s16
	s_mul_hi_u32 s11, s8, s16
	s_add_u32 s9, s10, s9
	s_addc_u32 s10, 0, s19
	s_add_u32 s9, s9, s18
	s_mul_i32 s16, s8, s16
	s_addc_u32 s9, s10, s17
	s_addc_u32 s10, s11, 0
	s_add_u32 s9, s9, s16
	s_addc_u32 s10, 0, s10
	v_add_co_u32 v1, s9, v1, s9
	s_delay_alu instid0(VALU_DEP_1) | instskip(SKIP_2) | instid1(SALU_CYCLE_1)
	s_cmp_lg_u32 s9, 0
	s_addc_u32 s16, s8, s10
	s_ashr_i32 s8, s3, 31
	s_add_u32 s10, s12, s8
	s_addc_u32 s11, s3, s8
	v_readfirstlane_b32 s3, v1
	s_mov_b32 s9, s8
	s_delay_alu instid0(SALU_CYCLE_1) | instskip(NEXT) | instid1(SALU_CYCLE_1)
	s_xor_b64 s[10:11], s[10:11], s[8:9]
	s_mul_i32 s18, s10, s16
	s_delay_alu instid0(VALU_DEP_1)
	s_mul_hi_u32 s19, s10, s3
	s_mul_hi_u32 s17, s10, s16
	;; [unrolled: 1-line block ×3, first 2 shown]
	s_mul_i32 s3, s11, s3
	s_add_u32 s18, s19, s18
	s_addc_u32 s17, 0, s17
	s_mul_hi_u32 s21, s11, s16
	s_add_u32 s3, s18, s3
	s_mul_i32 s16, s11, s16
	s_addc_u32 s3, s17, s22
	s_addc_u32 s17, s21, 0
	s_add_u32 s3, s3, s16
	s_addc_u32 s16, 0, s17
	s_mul_i32 s18, s20, s3
	s_add_u32 s17, s3, 1
	v_sub_co_u32 v1, s10, s10, s18
	s_mul_hi_u32 s18, s20, s3
	s_addc_u32 s19, s16, 0
	s_mul_i32 s21, s20, s16
	s_delay_alu instid0(VALU_DEP_1)
	v_sub_co_u32 v2, s22, v1, s20
	s_add_u32 s23, s3, 2
	s_addc_u32 s24, s16, 0
	s_add_i32 s18, s18, s21
	s_cmp_lg_u32 s10, 0
	v_readfirstlane_b32 s10, v2
	s_subb_u32 s11, s11, s18
	s_cmp_lg_u32 s22, 0
	s_subb_u32 s18, s11, 0
	s_delay_alu instid0(VALU_DEP_1) | instskip(SKIP_4) | instid1(SALU_CYCLE_1)
	s_cmp_ge_u32 s10, s20
	s_cselect_b32 s10, -1, 0
	s_cmp_eq_u32 s18, 0
	v_readfirstlane_b32 s18, v1
	s_cselect_b32 s10, s10, -1
	s_cmp_lg_u32 s10, 0
	s_cselect_b32 s10, s23, s17
	s_cselect_b32 s17, s24, s19
	s_cmp_ge_u32 s18, s20
	s_cselect_b32 s18, -1, 0
	s_cmp_eq_u32 s11, 0
	s_cselect_b32 s11, s18, -1
	s_delay_alu instid0(SALU_CYCLE_1) | instskip(SKIP_2) | instid1(SALU_CYCLE_1)
	s_cmp_lg_u32 s11, 0
	s_cselect_b32 s11, s17, s16
	s_cselect_b32 s10, s10, s3
	s_xor_b64 s[10:11], s[10:11], s[8:9]
	s_delay_alu instid0(SALU_CYCLE_1)
	s_sub_u32 s16, s10, s8
	s_load_b128 s[8:11], s[0:1], 0x44
	s_and_not1_b32 vcc_lo, exec_lo, s2
	s_cbranch_vccnz .LBB3_3
.LBB3_2:
	v_cvt_f32_u32_e32 v1, s20
	s_sub_i32 s3, 0, s20
	s_delay_alu instid0(VALU_DEP_1) | instskip(SKIP_2) | instid1(VALU_DEP_1)
	v_rcp_iflag_f32_e32 v1, v1
	s_waitcnt_depctr 0xfff
	v_mul_f32_e32 v1, 0x4f7ffffe, v1
	v_cvt_u32_f32_e32 v1, v1
	s_delay_alu instid0(VALU_DEP_1) | instskip(NEXT) | instid1(VALU_DEP_1)
	v_readfirstlane_b32 s2, v1
	s_mul_i32 s3, s3, s2
	s_delay_alu instid0(SALU_CYCLE_1) | instskip(NEXT) | instid1(SALU_CYCLE_1)
	s_mul_hi_u32 s3, s2, s3
	s_add_i32 s2, s2, s3
	s_delay_alu instid0(SALU_CYCLE_1) | instskip(NEXT) | instid1(SALU_CYCLE_1)
	s_mul_hi_u32 s2, s12, s2
	s_mul_i32 s3, s2, s20
	s_waitcnt lgkmcnt(0)
	s_add_i32 s11, s2, 1
	s_sub_i32 s3, s12, s3
	s_delay_alu instid0(SALU_CYCLE_1)
	s_sub_i32 s12, s3, s20
	s_cmp_ge_u32 s3, s20
	s_cselect_b32 s2, s11, s2
	s_cselect_b32 s3, s12, s3
	s_add_i32 s11, s2, 1
	s_cmp_ge_u32 s3, s20
	s_cselect_b32 s16, s11, s2
.LBB3_3:
	s_waitcnt lgkmcnt(0)
	s_add_i32 s11, s13, 1
	s_mov_b32 s2, 0
	s_mul_hi_i32 s3, s7, s11
	s_mul_i32 s11, s7, s11
	s_cmp_lg_u64 s[2:3], 0
	s_cbranch_scc0 .LBB3_22
; %bb.4:
	v_cvt_f32_ubyte0_e32 v1, 0
	v_cvt_f32_u32_e32 v2, s20
	s_sub_u32 s18, 0, s20
	s_subb_u32 s19, 0, 0
	s_delay_alu instid0(VALU_DEP_1) | instskip(NEXT) | instid1(VALU_DEP_1)
	v_fmamk_f32 v1, v1, 0x4f800000, v2
	v_rcp_f32_e32 v1, v1
	s_waitcnt_depctr 0xfff
	v_mul_f32_e32 v1, 0x5f7ffffc, v1
	s_delay_alu instid0(VALU_DEP_1) | instskip(NEXT) | instid1(VALU_DEP_1)
	v_mul_f32_e32 v2, 0x2f800000, v1
	v_trunc_f32_e32 v2, v2
	s_delay_alu instid0(VALU_DEP_1) | instskip(SKIP_1) | instid1(VALU_DEP_2)
	v_fmamk_f32 v1, v2, 0xcf800000, v1
	v_cvt_u32_f32_e32 v2, v2
	v_cvt_u32_f32_e32 v1, v1
	s_delay_alu instid0(VALU_DEP_2) | instskip(NEXT) | instid1(VALU_DEP_2)
	v_readfirstlane_b32 s12, v2
	v_readfirstlane_b32 s17, v1
	s_delay_alu instid0(VALU_DEP_2) | instskip(NEXT) | instid1(VALU_DEP_1)
	s_mul_i32 s21, s18, s12
	s_mul_hi_u32 s23, s18, s17
	s_mul_i32 s22, s19, s17
	s_add_i32 s21, s23, s21
	s_mul_i32 s24, s18, s17
	s_add_i32 s21, s21, s22
	s_mul_hi_u32 s23, s17, s24
	s_mul_hi_u32 s25, s12, s24
	s_mul_i32 s22, s12, s24
	s_mul_hi_u32 s24, s17, s21
	s_mul_i32 s17, s17, s21
	s_mul_hi_u32 s26, s12, s21
	s_add_u32 s17, s23, s17
	s_addc_u32 s23, 0, s24
	s_add_u32 s17, s17, s22
	s_mul_i32 s21, s12, s21
	s_addc_u32 s17, s23, s25
	s_addc_u32 s22, s26, 0
	s_add_u32 s17, s17, s21
	s_addc_u32 s21, 0, s22
	v_add_co_u32 v1, s17, v1, s17
	s_delay_alu instid0(VALU_DEP_1) | instskip(SKIP_1) | instid1(VALU_DEP_1)
	s_cmp_lg_u32 s17, 0
	s_addc_u32 s12, s12, s21
	v_readfirstlane_b32 s17, v1
	s_mul_i32 s21, s18, s12
	s_delay_alu instid0(VALU_DEP_1)
	s_mul_hi_u32 s22, s18, s17
	s_mul_i32 s19, s19, s17
	s_add_i32 s21, s22, s21
	s_mul_i32 s18, s18, s17
	s_add_i32 s21, s21, s19
	s_mul_hi_u32 s22, s12, s18
	s_mul_i32 s23, s12, s18
	s_mul_hi_u32 s18, s17, s18
	s_mul_hi_u32 s24, s17, s21
	s_mul_i32 s17, s17, s21
	s_mul_hi_u32 s19, s12, s21
	s_add_u32 s17, s18, s17
	s_addc_u32 s18, 0, s24
	s_add_u32 s17, s17, s23
	s_mul_i32 s21, s12, s21
	s_addc_u32 s17, s18, s22
	s_addc_u32 s18, s19, 0
	s_add_u32 s17, s17, s21
	s_addc_u32 s18, 0, s18
	v_add_co_u32 v1, s17, v1, s17
	s_delay_alu instid0(VALU_DEP_1) | instskip(SKIP_2) | instid1(SALU_CYCLE_1)
	s_cmp_lg_u32 s17, 0
	s_addc_u32 s12, s12, s18
	s_ashr_i32 s18, s3, 31
	s_add_u32 s22, s11, s18
	s_addc_u32 s23, s3, s18
	v_readfirstlane_b32 s3, v1
	s_mov_b32 s19, s18
	s_delay_alu instid0(SALU_CYCLE_1) | instskip(NEXT) | instid1(SALU_CYCLE_1)
	s_xor_b64 s[22:23], s[22:23], s[18:19]
	s_mul_i32 s21, s22, s12
	s_delay_alu instid0(VALU_DEP_1)
	s_mul_hi_u32 s24, s22, s3
	s_mul_hi_u32 s17, s22, s12
	;; [unrolled: 1-line block ×3, first 2 shown]
	s_mul_i32 s3, s23, s3
	s_add_u32 s21, s24, s21
	s_addc_u32 s17, 0, s17
	s_mul_hi_u32 s25, s23, s12
	s_add_u32 s3, s21, s3
	s_mul_i32 s12, s23, s12
	s_addc_u32 s3, s17, s26
	s_addc_u32 s17, s25, 0
	s_add_u32 s3, s3, s12
	s_addc_u32 s12, 0, s17
	s_mul_i32 s21, s20, s3
	s_add_u32 s17, s3, 1
	v_sub_co_u32 v1, s21, s22, s21
	s_mul_hi_u32 s22, s20, s3
	s_addc_u32 s24, s12, 0
	s_mul_i32 s25, s20, s12
	s_delay_alu instid0(VALU_DEP_1)
	v_sub_co_u32 v2, s26, v1, s20
	s_add_u32 s27, s3, 2
	s_addc_u32 s28, s12, 0
	s_add_i32 s22, s22, s25
	s_cmp_lg_u32 s21, 0
	v_readfirstlane_b32 s21, v2
	s_subb_u32 s22, s23, s22
	s_cmp_lg_u32 s26, 0
	s_subb_u32 s23, s22, 0
	s_delay_alu instid0(VALU_DEP_1) | instskip(SKIP_4) | instid1(SALU_CYCLE_1)
	s_cmp_ge_u32 s21, s20
	s_cselect_b32 s21, -1, 0
	s_cmp_eq_u32 s23, 0
	v_readfirstlane_b32 s23, v1
	s_cselect_b32 s21, s21, -1
	s_cmp_lg_u32 s21, 0
	s_cselect_b32 s17, s27, s17
	s_cselect_b32 s21, s28, s24
	s_cmp_ge_u32 s23, s20
	s_cselect_b32 s23, -1, 0
	s_cmp_eq_u32 s22, 0
	s_cselect_b32 s22, s23, -1
	s_delay_alu instid0(SALU_CYCLE_1) | instskip(SKIP_2) | instid1(SALU_CYCLE_1)
	s_cmp_lg_u32 s22, 0
	s_cselect_b32 s23, s21, s12
	s_cselect_b32 s22, s17, s3
	s_xor_b64 s[22:23], s[22:23], s[18:19]
	s_delay_alu instid0(SALU_CYCLE_1)
	s_sub_u32 s18, s22, s18
	s_and_not1_b32 vcc_lo, exec_lo, s2
	s_cbranch_vccnz .LBB3_6
.LBB3_5:
	v_cvt_f32_u32_e32 v1, s20
	s_sub_i32 s3, 0, s20
	s_delay_alu instid0(VALU_DEP_1) | instskip(SKIP_2) | instid1(VALU_DEP_1)
	v_rcp_iflag_f32_e32 v1, v1
	s_waitcnt_depctr 0xfff
	v_mul_f32_e32 v1, 0x4f7ffffe, v1
	v_cvt_u32_f32_e32 v1, v1
	s_delay_alu instid0(VALU_DEP_1) | instskip(NEXT) | instid1(VALU_DEP_1)
	v_readfirstlane_b32 s2, v1
	s_mul_i32 s3, s3, s2
	s_delay_alu instid0(SALU_CYCLE_1) | instskip(NEXT) | instid1(SALU_CYCLE_1)
	s_mul_hi_u32 s3, s2, s3
	s_add_i32 s2, s2, s3
	s_delay_alu instid0(SALU_CYCLE_1) | instskip(NEXT) | instid1(SALU_CYCLE_1)
	s_mul_hi_u32 s2, s11, s2
	s_mul_i32 s3, s2, s20
	s_delay_alu instid0(SALU_CYCLE_1)
	s_sub_i32 s3, s11, s3
	s_add_i32 s11, s2, 1
	s_sub_i32 s12, s3, s20
	s_cmp_ge_u32 s3, s20
	s_cselect_b32 s2, s11, s2
	s_cselect_b32 s3, s12, s3
	s_add_i32 s11, s2, 1
	s_cmp_ge_u32 s3, s20
	s_cselect_b32 s18, s11, s2
.LBB3_6:
	s_delay_alu instid0(SALU_CYCLE_1) | instskip(SKIP_3) | instid1(SALU_CYCLE_1)
	s_cmp_eq_u32 s16, s18
	s_mul_hi_u32 s2, s16, s8
	s_cselect_b32 s3, -1, 0
	s_add_i32 s2, s2, s16
	s_lshr_b32 s11, s2, s9
	s_delay_alu instid0(SALU_CYCLE_1) | instskip(NEXT) | instid1(SALU_CYCLE_1)
	s_mul_i32 s2, s11, s10
	s_cmp_eq_u32 s2, s16
	s_mul_hi_u32 s2, s18, s8
	s_cselect_b32 s12, -1, 0
	s_add_i32 s2, s2, s18
	s_delay_alu instid0(SALU_CYCLE_1) | instskip(NEXT) | instid1(SALU_CYCLE_1)
	s_lshr_b32 s2, s2, s9
	s_cmp_eq_u32 s11, s2
	s_mul_i32 s2, s2, s10
	s_cselect_b32 s17, -1, 0
	s_cmp_lg_u32 s2, s18
	s_cselect_b32 s2, -1, 0
	s_or_b32 s3, s3, s12
	s_and_b32 s2, s17, s2
	s_delay_alu instid0(SALU_CYCLE_1) | instskip(NEXT) | instid1(SALU_CYCLE_1)
	s_or_b32 s2, s3, s2
	s_and_b32 vcc_lo, exec_lo, s2
	s_cbranch_vccnz .LBB3_24
; %bb.7:
	s_load_b256 s[24:31], s[0:1], 0x20
	s_waitcnt lgkmcnt(0)
	s_mul_hi_u32 s2, s16, s24
	s_delay_alu instid0(SALU_CYCLE_1) | instskip(NEXT) | instid1(SALU_CYCLE_1)
	s_add_i32 s2, s2, s16
	s_lshr_b32 s17, s2, s25
	s_load_b32 s2, s[0:1], 0x40
	s_mul_i32 s3, s17, s26
	s_delay_alu instid0(SALU_CYCLE_1) | instskip(NEXT) | instid1(SALU_CYCLE_1)
	s_sub_i32 s3, s16, s3
	s_mul_hi_u32 s12, s3, s27
	s_delay_alu instid0(SALU_CYCLE_1) | instskip(NEXT) | instid1(SALU_CYCLE_1)
	s_add_i32 s12, s3, s12
	s_lshr_b32 s21, s12, s28
	s_delay_alu instid0(SALU_CYCLE_1) | instskip(NEXT) | instid1(SALU_CYCLE_1)
	s_mul_i32 s12, s21, s29
	s_sub_i32 s3, s3, s12
	s_delay_alu instid0(SALU_CYCLE_1) | instskip(NEXT) | instid1(SALU_CYCLE_1)
	s_mul_hi_u32 s12, s3, s30
	s_add_i32 s12, s3, s12
	s_delay_alu instid0(SALU_CYCLE_1)
	s_lshr_b32 s12, s12, s31
	s_waitcnt lgkmcnt(0)
	s_mul_i32 s2, s12, s2
	s_lshl_b32 s23, s12, 3
	s_sub_i32 s2, s3, s2
	s_mov_b32 s12, 0
	s_mul_hi_u32 s3, s2, s8
	s_delay_alu instid0(SALU_CYCLE_1) | instskip(NEXT) | instid1(SALU_CYCLE_1)
	s_add_i32 s2, s2, s3
	s_lshr_b32 s22, s2, s9
	s_delay_alu instid0(SALU_CYCLE_1) | instskip(NEXT) | instid1(SALU_CYCLE_1)
	s_lshl_b32 s2, s22, 2
	s_add_i32 s2, s2, s14
	s_delay_alu instid0(SALU_CYCLE_1) | instskip(SKIP_2) | instid1(SALU_CYCLE_1)
	s_cmp_lt_i32 s2, s4
	s_cselect_b32 s2, -1, 0
	s_add_i32 s3, s23, s15
	s_cmp_lt_i32 s3, s6
	s_cselect_b32 s3, -1, 0
	s_delay_alu instid0(SALU_CYCLE_1) | instskip(NEXT) | instid1(SALU_CYCLE_1)
	s_and_b32 s2, s2, s3
	s_and_not1_b32 vcc_lo, exec_lo, s2
	s_cbranch_vccnz .LBB3_24
; %bb.8:
	s_load_b128 s[0:3], s[0:1], 0x0
	s_lshl_b32 s18, s20, 7
	s_mov_b32 s19, s12
	s_lshl_b32 s24, s14, 3
	s_lshl_b64 s[18:19], s[18:19], 2
	s_mul_i32 s4, s17, s4
	s_add_i32 s17, s24, s15
	s_mul_i32 s21, s21, s6
	v_cvt_f32_ubyte0_e32 v4, 0
	v_cvt_f32_u32_e32 v5, s20
	s_waitcnt lgkmcnt(0)
	s_add_u32 s18, s2, s18
	s_addc_u32 s19, s3, s19
	s_add_i32 s4, s4, s14
	s_delay_alu instid0(SALU_CYCLE_1) | instskip(SKIP_4) | instid1(SALU_CYCLE_1)
	s_mul_i32 s4, s4, s5
	s_mul_i32 s5, s5, s22
	s_add_i32 s4, s4, s15
	s_lshl_b32 s5, s5, 10
	s_add_i32 s4, s4, s21
	s_add_i32 s4, s4, s23
	s_delay_alu instid0(SALU_CYCLE_1) | instskip(NEXT) | instid1(SALU_CYCLE_1)
	s_lshl_b32 s4, s4, 8
	s_add_i32 s5, s5, s4
	s_delay_alu instid0(SALU_CYCLE_1) | instskip(SKIP_1) | instid1(VALU_DEP_2)
	v_or_b32_e32 v1, s5, v0
	v_lshl_or_b32 v0, s17, 8, v0
	v_ashrrev_i32_e32 v2, 31, v1
	s_delay_alu instid0(VALU_DEP_1) | instskip(NEXT) | instid1(VALU_DEP_1)
	v_lshlrev_b64 v[1:2], 2, v[1:2]
	v_add_co_u32 v1, vcc_lo, s0, v1
	s_delay_alu instid0(VALU_DEP_2) | instskip(SKIP_1) | instid1(SALU_CYCLE_1)
	v_add_co_ci_u32_e32 v2, vcc_lo, s1, v2, vcc_lo
	s_lshl_b32 s0, s13, 5
	s_add_i32 s0, s17, s0
	global_load_b32 v3, v[1:2], off
	s_ashr_i32 s1, s0, 31
	s_delay_alu instid0(SALU_CYCLE_1) | instskip(NEXT) | instid1(SALU_CYCLE_1)
	s_lshl_b64 s[0:1], s[0:1], 3
	s_add_u32 s0, s2, s0
	s_addc_u32 s1, s3, s1
	s_add_i32 s14, s13, -1
	s_load_b64 s[0:1], s[0:1], 0x0
	v_fmac_f32_e32 v5, 0x4f800000, v4
	s_sub_i32 s6, 0, s20
	s_waitcnt lgkmcnt(0)
	v_mov_b32_e32 v8, s0
	s_delay_alu instid0(VALU_DEP_2) | instskip(SKIP_2) | instid1(VALU_DEP_2)
	v_rcp_f32_e32 v4, v5
	v_cvt_f32_u32_e32 v5, s20
	v_mov_b32_e32 v7, s1
	v_rcp_iflag_f32_e32 v5, v5
	s_waitcnt_depctr 0xfff
	v_mul_f32_e32 v4, 0x5f7ffffc, v4
	s_delay_alu instid0(VALU_DEP_1) | instskip(SKIP_1) | instid1(VALU_DEP_2)
	v_mul_f32_e32 v6, 0x2f800000, v4
	v_mul_f32_e32 v9, 0x4f7ffffe, v5
	v_trunc_f32_e32 v6, v6
	s_delay_alu instid0(VALU_DEP_1) | instskip(SKIP_1) | instid1(VALU_DEP_4)
	v_fmac_f32_e32 v4, 0xcf800000, v6
	v_cvt_u32_f32_e32 v5, v6
	v_cvt_u32_f32_e32 v6, v9
	s_delay_alu instid0(VALU_DEP_3)
	v_cvt_u32_f32_e32 v4, v4
.LBB3_9:                                ; =>This Inner Loop Header: Depth=1
	s_mul_hi_i32 s13, s14, s7
	s_mul_i32 s4, s14, s7
	s_cmp_lg_u64 s[12:13], 0
	s_mov_b32 s5, -1
                                        ; implicit-def: $sgpr0_sgpr1
	s_cbranch_scc0 .LBB3_11
; %bb.10:                               ;   in Loop: Header=BB3_9 Depth=1
	v_readfirstlane_b32 s0, v4
	v_readfirstlane_b32 s1, v5
	s_sub_u32 s5, 0, s20
	s_subb_u32 s15, 0, 0
	s_delay_alu instid0(VALU_DEP_2) | instskip(NEXT) | instid1(VALU_DEP_1)
	s_mul_hi_u32 s21, s5, s0
	s_mul_i32 s22, s5, s1
	s_mul_i32 s23, s15, s0
	s_add_i32 s21, s21, s22
	s_mul_i32 s22, s5, s0
	s_add_i32 s21, s21, s23
	s_mul_hi_u32 s23, s0, s22
	s_mul_i32 s24, s0, s21
	s_mul_hi_u32 s0, s0, s21
	s_add_u32 s23, s23, s24
	s_mul_i32 s25, s1, s22
	s_addc_u32 s0, 0, s0
	s_mul_hi_u32 s22, s1, s22
	s_mul_hi_u32 s24, s1, s21
	s_add_u32 s23, s23, s25
	s_addc_u32 s0, s0, s22
	s_mul_i32 s21, s1, s21
	s_addc_u32 s22, s24, 0
	s_add_u32 s0, s0, s21
	s_addc_u32 s21, 0, s22
	v_add_co_u32 v9, s0, v4, s0
	s_delay_alu instid0(VALU_DEP_1) | instskip(SKIP_1) | instid1(VALU_DEP_1)
	s_cmp_lg_u32 s0, 0
	s_addc_u32 s1, s1, s21
	v_readfirstlane_b32 s0, v9
	s_mul_i32 s21, s5, s1
	s_delay_alu instid0(VALU_DEP_1)
	s_mul_hi_u32 s22, s5, s0
	s_mul_i32 s15, s15, s0
	s_add_i32 s21, s22, s21
	s_mul_i32 s5, s5, s0
	s_add_i32 s21, s21, s15
	s_mul_hi_u32 s15, s1, s5
	s_mul_i32 s23, s1, s5
	s_mul_i32 s24, s0, s21
	s_mul_hi_u32 s5, s0, s5
	s_mul_hi_u32 s0, s0, s21
	s_add_u32 s5, s5, s24
	s_addc_u32 s0, 0, s0
	s_mul_hi_u32 s22, s1, s21
	s_add_u32 s5, s5, s23
	s_addc_u32 s0, s0, s15
	s_mul_i32 s5, s1, s21
	s_addc_u32 s15, s22, 0
	s_add_u32 s0, s0, s5
	s_addc_u32 s5, 0, s15
	v_add_co_u32 v9, s0, v9, s0
	s_delay_alu instid0(VALU_DEP_1) | instskip(SKIP_2) | instid1(SALU_CYCLE_1)
	s_cmp_lg_u32 s0, 0
	s_addc_u32 s5, s1, s5
	s_ashr_i32 s0, s13, 31
	s_add_u32 s22, s4, s0
	s_addc_u32 s23, s13, s0
	v_readfirstlane_b32 s13, v9
	s_mov_b32 s1, s0
	s_delay_alu instid0(SALU_CYCLE_1) | instskip(NEXT) | instid1(SALU_CYCLE_1)
	s_xor_b64 s[22:23], s[22:23], s[0:1]
	s_mul_i32 s15, s22, s5
	s_delay_alu instid0(VALU_DEP_1)
	s_mul_hi_u32 s21, s22, s13
	s_mul_hi_u32 s24, s22, s5
	s_add_u32 s15, s21, s15
	s_mul_i32 s25, s23, s13
	s_addc_u32 s21, 0, s24
	s_mul_hi_u32 s13, s23, s13
	s_mul_hi_u32 s24, s23, s5
	s_add_u32 s15, s15, s25
	s_addc_u32 s13, s21, s13
	s_mul_i32 s5, s23, s5
	s_addc_u32 s15, s24, 0
	s_add_u32 s5, s13, s5
	s_addc_u32 s13, 0, s15
	s_mul_i32 s21, s20, s5
	s_add_u32 s15, s5, 1
	v_sub_co_u32 v9, s21, s22, s21
	s_addc_u32 s22, s13, 0
	s_mul_i32 s25, s20, s13
	s_mul_hi_u32 s27, s20, s5
	s_delay_alu instid0(VALU_DEP_1)
	v_sub_co_u32 v10, s26, v9, s20
	s_add_u32 s24, s5, 2
	s_addc_u32 s28, s13, 0
	s_add_i32 s27, s27, s25
	s_cmp_lg_u32 s21, 0
	v_readfirstlane_b32 s21, v10
	s_subb_u32 s23, s23, s27
	s_cmp_lg_u32 s26, 0
	s_subb_u32 s25, s23, 0
	s_delay_alu instid0(VALU_DEP_1) | instskip(SKIP_4) | instid1(SALU_CYCLE_1)
	s_cmp_ge_u32 s21, s20
	s_cselect_b32 s21, -1, 0
	s_cmp_eq_u32 s25, 0
	v_readfirstlane_b32 s25, v9
	s_cselect_b32 s21, s21, -1
	s_cmp_lg_u32 s21, 0
	s_cselect_b32 s15, s24, s15
	s_cselect_b32 s21, s28, s22
	s_cmp_ge_u32 s25, s20
	s_cselect_b32 s22, -1, 0
	s_cmp_eq_u32 s23, 0
	s_cselect_b32 s22, s22, -1
	s_delay_alu instid0(SALU_CYCLE_1) | instskip(SKIP_4) | instid1(SALU_CYCLE_1)
	s_cmp_lg_u32 s22, 0
	s_cselect_b32 s23, s21, s13
	s_cselect_b32 s22, s15, s5
	s_mov_b32 s5, 0
	s_xor_b64 s[22:23], s[22:23], s[0:1]
	s_sub_u32 s0, s22, s0
.LBB3_11:                               ;   in Loop: Header=BB3_9 Depth=1
	s_and_not1_b32 vcc_lo, exec_lo, s5
	s_cbranch_vccnz .LBB3_13
; %bb.12:                               ;   in Loop: Header=BB3_9 Depth=1
	v_readfirstlane_b32 s0, v6
	s_delay_alu instid0(VALU_DEP_1) | instskip(NEXT) | instid1(SALU_CYCLE_1)
	s_mul_i32 s1, s6, s0
	s_mul_hi_u32 s1, s0, s1
	s_delay_alu instid0(SALU_CYCLE_1) | instskip(NEXT) | instid1(SALU_CYCLE_1)
	s_add_i32 s0, s0, s1
	s_mul_hi_u32 s0, s4, s0
	s_delay_alu instid0(SALU_CYCLE_1) | instskip(NEXT) | instid1(SALU_CYCLE_1)
	s_mul_i32 s1, s0, s20
	s_sub_i32 s1, s4, s1
	s_add_i32 s4, s0, 1
	s_sub_i32 s5, s1, s20
	s_cmp_ge_u32 s1, s20
	s_cselect_b32 s0, s4, s0
	s_cselect_b32 s1, s5, s1
	s_add_i32 s4, s0, 1
	s_cmp_ge_u32 s1, s20
	s_cselect_b32 s0, s4, s0
.LBB3_13:                               ;   in Loop: Header=BB3_9 Depth=1
	s_delay_alu instid0(SALU_CYCLE_1)
	s_cmp_lg_u32 s16, s0
	s_cbranch_scc0 .LBB3_17
; %bb.14:                               ;   in Loop: Header=BB3_9 Depth=1
	s_add_i32 s1, s14, s20
	s_mov_b32 s5, s12
	s_lshl_b32 s1, s1, 5
	s_mov_b32 s15, s16
	s_add_i32 s4, s1, s17
	s_mul_hi_u32 s1, s0, s8
	s_lshl_b64 s[4:5], s[4:5], 3
	s_delay_alu instid0(SALU_CYCLE_1) | instskip(SKIP_2) | instid1(SALU_CYCLE_1)
	s_add_u32 s4, s2, s4
	s_addc_u32 s5, s3, s5
	s_add_i32 s1, s1, s0
	s_lshr_b32 s1, s1, s9
	s_delay_alu instid0(SALU_CYCLE_1) | instskip(NEXT) | instid1(SALU_CYCLE_1)
	s_mul_i32 s13, s1, s10
	s_cmp_eq_u32 s13, s0
	s_cselect_b32 s13, -1, 0
	s_cmp_lt_u32 s1, s11
	s_cselect_b32 s1, -1, 0
	s_delay_alu instid0(SALU_CYCLE_1)
	s_or_b32 s1, s1, s13
	s_mov_b32 s13, -1
	s_and_b32 vcc_lo, exec_lo, s1
	s_mov_b32 s1, s14
	s_cbranch_vccnz .LBB3_16
; %bb.15:                               ;   in Loop: Header=BB3_9 Depth=1
	s_add_i32 s1, s14, -1
	s_mov_b32 s13, 0
	s_mov_b32 s15, s0
.LBB3_16:                               ;   in Loop: Header=BB3_9 Depth=1
	v_lshl_add_u32 v9, s14, 13, v0
	s_load_b64 s[4:5], s[4:5], 0x0
	s_delay_alu instid0(VALU_DEP_1) | instskip(NEXT) | instid1(VALU_DEP_1)
	v_ashrrev_i32_e32 v10, 31, v9
	v_lshlrev_b64 v[9:10], 2, v[9:10]
	s_delay_alu instid0(VALU_DEP_1) | instskip(NEXT) | instid1(VALU_DEP_2)
	v_add_co_u32 v9, vcc_lo, s18, v9
	v_add_co_ci_u32_e32 v10, vcc_lo, s19, v10, vcc_lo
	s_waitcnt lgkmcnt(0)
	v_max_f32_e64 v11, s4, s4
	global_load_b32 v10, v[9:10], off
	v_max_f32_e32 v9, v8, v8
	s_delay_alu instid0(VALU_DEP_1) | instskip(NEXT) | instid1(VALU_DEP_1)
	v_max_f32_e32 v9, v9, v11
	v_sub_f32_e32 v12, v8, v9
	s_delay_alu instid0(VALU_DEP_1) | instskip(NEXT) | instid1(VALU_DEP_1)
	v_dual_mul_f32 v14, 0x3fb8aa3b, v12 :: v_dual_sub_f32 v11, s4, v9
	v_rndne_f32_e32 v18, v14
	s_delay_alu instid0(VALU_DEP_2) | instskip(SKIP_2) | instid1(VALU_DEP_4)
	v_mul_f32_e32 v13, 0x3fb8aa3b, v11
	v_fma_f32 v17, 0x3fb8aa3b, v12, -v14
	v_cmp_ngt_f32_e32 vcc_lo, 0xc2ce8ed0, v11
	v_sub_f32_e32 v14, v14, v18
	s_delay_alu instid0(VALU_DEP_4) | instskip(SKIP_2) | instid1(VALU_DEP_3)
	v_fma_f32 v15, 0x3fb8aa3b, v11, -v13
	v_rndne_f32_e32 v16, v13
	v_fmac_f32_e32 v17, 0x32a5705f, v12
	v_fmac_f32_e32 v15, 0x32a5705f, v11
	s_delay_alu instid0(VALU_DEP_2) | instskip(NEXT) | instid1(VALU_DEP_1)
	v_dual_sub_f32 v13, v13, v16 :: v_dual_add_f32 v14, v14, v17
	v_add_f32_e32 v13, v13, v15
	s_delay_alu instid0(VALU_DEP_2) | instskip(SKIP_2) | instid1(VALU_DEP_3)
	v_exp_f32_e32 v14, v14
	v_cvt_i32_f32_e32 v15, v16
	v_cvt_i32_f32_e32 v16, v18
	v_exp_f32_e32 v13, v13
	s_waitcnt_depctr 0xfff
	v_ldexp_f32 v14, v14, v16
	v_ldexp_f32 v13, v13, v15
	s_delay_alu instid0(VALU_DEP_1) | instskip(SKIP_1) | instid1(VALU_DEP_4)
	v_cndmask_b32_e32 v13, 0, v13, vcc_lo
	v_cmp_ngt_f32_e32 vcc_lo, 0xc2ce8ed0, v12
	v_cndmask_b32_e32 v14, 0, v14, vcc_lo
	v_cmp_nlt_f32_e32 vcc_lo, 0x42b17218, v11
	s_delay_alu instid0(VALU_DEP_4) | instskip(SKIP_1) | instid1(VALU_DEP_4)
	v_cndmask_b32_e32 v13, 0x7f800000, v13, vcc_lo
	v_cmp_nlt_f32_e32 vcc_lo, 0x42b17218, v12
	v_cndmask_b32_e32 v14, 0x7f800000, v14, vcc_lo
	v_cmp_le_f32_e32 vcc_lo, 0xc1a00000, v11
	s_delay_alu instid0(VALU_DEP_4) | instskip(SKIP_1) | instid1(VALU_DEP_4)
	v_cndmask_b32_e32 v11, 0, v13, vcc_lo
	v_cmp_le_f32_e32 vcc_lo, 0xc1a00000, v12
	v_cndmask_b32_e32 v12, 0, v14, vcc_lo
	s_waitcnt vmcnt(0)
	s_delay_alu instid0(VALU_DEP_3) | instskip(NEXT) | instid1(VALU_DEP_1)
	v_mul_f32_e32 v10, v10, v11
	v_dual_mul_f32 v11, s5, v11 :: v_dual_fmac_f32 v10, v3, v12
	s_delay_alu instid0(VALU_DEP_1)
	v_fmac_f32_e32 v11, v7, v12
	s_cbranch_execz .LBB3_18
	s_branch .LBB3_19
.LBB3_17:                               ;   in Loop: Header=BB3_9 Depth=1
                                        ; implicit-def: $sgpr13
                                        ; implicit-def: $vgpr10
                                        ; implicit-def: $vgpr9
                                        ; implicit-def: $vgpr11
                                        ; implicit-def: $sgpr1
                                        ; implicit-def: $sgpr15
.LBB3_18:                               ;   in Loop: Header=BB3_9 Depth=1
	v_mov_b32_e32 v11, v7
	s_waitcnt vmcnt(0)
	v_dual_mov_b32 v9, v8 :: v_dual_mov_b32 v10, v3
	s_add_i32 s1, s14, -1
	s_mov_b32 s13, 0
	s_mov_b32 s15, s16
.LBB3_19:                               ;   in Loop: Header=BB3_9 Depth=1
	s_and_not1_b32 vcc_lo, exec_lo, s13
	s_cbranch_vccz .LBB3_23
; %bb.20:                               ;   in Loop: Header=BB3_9 Depth=1
	v_dual_mov_b32 v7, v11 :: v_dual_mov_b32 v8, v9
	s_waitcnt vmcnt(0)
	v_mov_b32_e32 v3, v10
	s_mov_b32 s16, s15
	s_mov_b32 s14, s1
	s_branch .LBB3_9
.LBB3_21:
                                        ; implicit-def: $sgpr16_sgpr17
	s_load_b128 s[8:11], s[0:1], 0x44
	s_branch .LBB3_2
.LBB3_22:
                                        ; implicit-def: $sgpr18_sgpr19
	s_branch .LBB3_5
.LBB3_23:
	v_div_scale_f32 v0, null, v11, v11, v10
	s_waitcnt vmcnt(0)
	s_delay_alu instid0(VALU_DEP_1) | instskip(SKIP_2) | instid1(VALU_DEP_1)
	v_rcp_f32_e32 v3, v0
	s_waitcnt_depctr 0xfff
	v_fma_f32 v4, -v0, v3, 1.0
	v_fmac_f32_e32 v3, v4, v3
	v_div_scale_f32 v4, vcc_lo, v10, v11, v10
	s_delay_alu instid0(VALU_DEP_1) | instskip(NEXT) | instid1(VALU_DEP_1)
	v_mul_f32_e32 v5, v4, v3
	v_fma_f32 v6, -v0, v5, v4
	s_delay_alu instid0(VALU_DEP_1) | instskip(NEXT) | instid1(VALU_DEP_1)
	v_fmac_f32_e32 v5, v6, v3
	v_fma_f32 v0, -v0, v5, v4
	s_delay_alu instid0(VALU_DEP_1) | instskip(NEXT) | instid1(VALU_DEP_1)
	v_div_fmas_f32 v0, v0, v3, v5
	v_div_fixup_f32 v0, v0, v11, v10
	global_store_b32 v[1:2], v0, off
.LBB3_24:
	s_nop 0
	s_sendmsg sendmsg(MSG_DEALLOC_VGPRS)
	s_endpgm
	.section	.rodata,"a",@progbits
	.p2align	6, 0x0
	.amdhsa_kernel _ZL33flash_attn_stream_k_fixup_generalILi256ELi4ELi8EEvPfPK15HIP_vector_typeIfLj2EEiiiiS1_IjLj3EES5_S5_S5_
		.amdhsa_group_segment_fixed_size 0
		.amdhsa_private_segment_fixed_size 0
		.amdhsa_kernarg_size 336
		.amdhsa_user_sgpr_count 13
		.amdhsa_user_sgpr_dispatch_ptr 0
		.amdhsa_user_sgpr_queue_ptr 0
		.amdhsa_user_sgpr_kernarg_segment_ptr 1
		.amdhsa_user_sgpr_dispatch_id 0
		.amdhsa_user_sgpr_private_segment_size 0
		.amdhsa_wavefront_size32 1
		.amdhsa_uses_dynamic_stack 0
		.amdhsa_enable_private_segment 0
		.amdhsa_system_sgpr_workgroup_id_x 1
		.amdhsa_system_sgpr_workgroup_id_y 1
		.amdhsa_system_sgpr_workgroup_id_z 1
		.amdhsa_system_sgpr_workgroup_info 0
		.amdhsa_system_vgpr_workitem_id 0
		.amdhsa_next_free_vgpr 19
		.amdhsa_next_free_sgpr 32
		.amdhsa_reserve_vcc 1
		.amdhsa_float_round_mode_32 0
		.amdhsa_float_round_mode_16_64 0
		.amdhsa_float_denorm_mode_32 3
		.amdhsa_float_denorm_mode_16_64 3
		.amdhsa_dx10_clamp 1
		.amdhsa_ieee_mode 1
		.amdhsa_fp16_overflow 0
		.amdhsa_workgroup_processor_mode 1
		.amdhsa_memory_ordered 1
		.amdhsa_forward_progress 0
		.amdhsa_shared_vgpr_count 0
		.amdhsa_exception_fp_ieee_invalid_op 0
		.amdhsa_exception_fp_denorm_src 0
		.amdhsa_exception_fp_ieee_div_zero 0
		.amdhsa_exception_fp_ieee_overflow 0
		.amdhsa_exception_fp_ieee_underflow 0
		.amdhsa_exception_fp_ieee_inexact 0
		.amdhsa_exception_int_div_zero 0
	.end_amdhsa_kernel
	.section	.text._ZL33flash_attn_stream_k_fixup_generalILi256ELi4ELi8EEvPfPK15HIP_vector_typeIfLj2EEiiiiS1_IjLj3EES5_S5_S5_,"axG",@progbits,_ZL33flash_attn_stream_k_fixup_generalILi256ELi4ELi8EEvPfPK15HIP_vector_typeIfLj2EEiiiiS1_IjLj3EES5_S5_S5_,comdat
.Lfunc_end3:
	.size	_ZL33flash_attn_stream_k_fixup_generalILi256ELi4ELi8EEvPfPK15HIP_vector_typeIfLj2EEiiiiS1_IjLj3EES5_S5_S5_, .Lfunc_end3-_ZL33flash_attn_stream_k_fixup_generalILi256ELi4ELi8EEvPfPK15HIP_vector_typeIfLj2EEiiiiS1_IjLj3EES5_S5_S5_
                                        ; -- End function
	.section	.AMDGPU.csdata,"",@progbits
; Kernel info:
; codeLenInByte = 3224
; NumSgprs: 34
; NumVgprs: 19
; ScratchSize: 0
; MemoryBound: 0
; FloatMode: 240
; IeeeMode: 1
; LDSByteSize: 0 bytes/workgroup (compile time only)
; SGPRBlocks: 4
; VGPRBlocks: 2
; NumSGPRsForWavesPerEU: 34
; NumVGPRsForWavesPerEU: 19
; Occupancy: 16
; WaveLimiterHint : 0
; COMPUTE_PGM_RSRC2:SCRATCH_EN: 0
; COMPUTE_PGM_RSRC2:USER_SGPR: 13
; COMPUTE_PGM_RSRC2:TRAP_HANDLER: 0
; COMPUTE_PGM_RSRC2:TGID_X_EN: 1
; COMPUTE_PGM_RSRC2:TGID_Y_EN: 1
; COMPUTE_PGM_RSRC2:TGID_Z_EN: 1
; COMPUTE_PGM_RSRC2:TIDIG_COMP_CNT: 0
	.section	.text._ZL26flash_attn_combine_resultsILi256EEvPKfPK15HIP_vector_typeIfLj2EEPfi,"axG",@progbits,_ZL26flash_attn_combine_resultsILi256EEvPKfPK15HIP_vector_typeIfLj2EEPfi,comdat
	.globl	_ZL26flash_attn_combine_resultsILi256EEvPKfPK15HIP_vector_typeIfLj2EEPfi ; -- Begin function _ZL26flash_attn_combine_resultsILi256EEvPKfPK15HIP_vector_typeIfLj2EEPfi
	.p2align	8
	.type	_ZL26flash_attn_combine_resultsILi256EEvPKfPK15HIP_vector_typeIfLj2EEPfi,@function
_ZL26flash_attn_combine_resultsILi256EEvPKfPK15HIP_vector_typeIfLj2EEPfi: ; @_ZL26flash_attn_combine_resultsILi256EEvPKfPK15HIP_vector_typeIfLj2EEPfi
; %bb.0:
	s_clause 0x3
	s_load_b64 s[2:3], s[0:1], 0x20
	s_load_b32 s11, s[0:1], 0x18
	s_load_b128 s[4:7], s[0:1], 0x0
	s_load_b64 s[8:9], s[0:1], 0x10
	v_lshlrev_b32_e32 v5, 2, v0
	s_mov_b32 s12, exec_lo
	s_waitcnt lgkmcnt(0)
	s_mul_i32 s0, s2, s15
	s_lshl_b32 s1, s11, 1
	s_add_i32 s0, s0, s13
	s_delay_alu instid0(SALU_CYCLE_1) | instskip(NEXT) | instid1(SALU_CYCLE_1)
	s_mul_i32 s10, s0, s3
	s_add_i32 s10, s10, s14
	s_delay_alu instid0(SALU_CYCLE_1)
	s_mul_i32 s2, s10, s11
	v_cmpx_gt_i32_e64 s1, v0
	s_cbranch_execz .LBB4_3
; %bb.1:
	s_ashr_i32 s3, s2, 31
	v_dual_mov_b32 v4, v0 :: v_dual_add_nc_u32 v3, 0, v5
	s_lshl_b64 s[14:15], s[2:3], 3
	s_delay_alu instid0(SALU_CYCLE_1) | instskip(SKIP_2) | instid1(VALU_DEP_1)
	s_add_u32 s0, s6, s14
	s_addc_u32 s3, s7, s15
	v_add_co_u32 v1, s0, s0, v5
	v_add_co_ci_u32_e64 v2, null, s3, 0, s0
	s_mov_b32 s3, 0
	.p2align	6
.LBB4_2:                                ; =>This Inner Loop Header: Depth=1
	global_load_b32 v6, v[1:2], off
	v_add_nc_u32_e32 v4, 0x100, v4
	v_add_co_u32 v1, vcc_lo, 0x400, v1
	v_add_co_ci_u32_e32 v2, vcc_lo, 0, v2, vcc_lo
	s_delay_alu instid0(VALU_DEP_3) | instskip(NEXT) | instid1(VALU_DEP_1)
	v_cmp_le_i32_e64 s0, s1, v4
	s_or_b32 s3, s0, s3
	s_waitcnt vmcnt(0)
	ds_store_b32 v3, v6
	v_add_nc_u32_e32 v3, 0x400, v3
	s_and_not1_b32 exec_lo, exec_lo, s3
	s_cbranch_execnz .LBB4_2
.LBB4_3:
	s_or_b32 exec_lo, exec_lo, s12
	v_mov_b32_e32 v1, 0
	s_waitcnt lgkmcnt(0)
	s_barrier
	buffer_gl0_inv
	s_cmp_lt_i32 s11, 2
	ds_load_b32 v6, v1
	s_cbranch_scc1 .LBB4_11
; %bb.4:
	s_add_i32 s1, s11, -2
	s_add_i32 s0, s11, -1
	s_cmp_lt_u32 s1, 7
	s_cbranch_scc1 .LBB4_8
; %bb.5:
	s_mov_b32 s3, 0
	s_add_i32 s1, 0, 8
	s_and_b32 s6, s0, -8
	.p2align	6
.LBB4_6:                                ; =>This Inner Loop Header: Depth=1
	v_mov_b32_e32 v9, s1
	s_mov_b32 s7, s3
	s_add_i32 s3, s3, 8
	s_add_i32 s1, s1, 64
	s_cmp_eq_u32 s6, s3
	ds_load_2addr_b32 v[1:2], v9 offset1:2
	ds_load_2addr_b32 v[3:4], v9 offset0:4 offset1:6
	ds_load_2addr_b32 v[7:8], v9 offset0:8 offset1:10
	;; [unrolled: 1-line block ×3, first 2 shown]
	s_waitcnt lgkmcnt(3)
	v_max3_f32 v1, v6, v1, v2
	s_waitcnt lgkmcnt(2)
	s_delay_alu instid0(VALU_DEP_1) | instskip(SKIP_1) | instid1(VALU_DEP_1)
	v_max3_f32 v1, v1, v3, v4
	s_waitcnt lgkmcnt(1)
	v_max3_f32 v1, v1, v7, v8
	s_waitcnt lgkmcnt(0)
	s_delay_alu instid0(VALU_DEP_1)
	v_max3_f32 v6, v1, v9, v10
	s_cbranch_scc0 .LBB4_6
; %bb.7:
	s_add_i32 s1, s7, 9
	s_and_b32 s0, s0, 7
	s_delay_alu instid0(SALU_CYCLE_1)
	s_cmp_eq_u32 s0, 0
	s_cbranch_scc0 .LBB4_9
	s_branch .LBB4_11
.LBB4_8:
	s_mov_b32 s1, 1
	s_and_b32 s0, s0, 7
	s_delay_alu instid0(SALU_CYCLE_1)
	s_cmp_eq_u32 s0, 0
	s_cbranch_scc1 .LBB4_11
.LBB4_9:
	s_lshl_b32 s1, s1, 3
	s_delay_alu instid0(SALU_CYCLE_1)
	s_add_i32 s1, s1, 0
.LBB4_10:                               ; =>This Inner Loop Header: Depth=1
	s_waitcnt lgkmcnt(0)
	s_delay_alu instid0(VALU_DEP_1)
	v_dual_mov_b32 v1, s1 :: v_dual_max_f32 v2, v6, v6
	s_add_i32 s0, s0, -1
	s_add_i32 s1, s1, 8
	s_cmp_lg_u32 s0, 0
	ds_load_b32 v1, v1
	s_waitcnt lgkmcnt(0)
	v_max_f32_e32 v1, v1, v1
	s_delay_alu instid0(VALU_DEP_1)
	v_max_f32_e32 v6, v2, v1
	s_cbranch_scc1 .LBB4_10
.LBB4_11:
	s_cmp_lt_i32 s11, 1
	s_cbranch_scc1 .LBB4_16
; %bb.12:
	s_lshl_b32 s0, s2, 8
	v_mov_b32_e32 v7, 0
	s_ashr_i32 s1, s0, 31
	s_mov_b32 s13, 0
	s_lshl_b64 s[0:1], s[0:1], 2
	s_delay_alu instid0(SALU_CYCLE_1)
	s_add_u32 s6, s4, s0
	s_addc_u32 s7, s5, s1
	s_cmp_lt_u32 s11, 8
	s_cbranch_scc1 .LBB4_17
; %bb.13:
	v_or_b32_e32 v1, 0x700, v0
	v_dual_mov_b32 v4, 0 :: v_dual_mov_b32 v7, 0
	v_mov_b32_e32 v8, 0
	s_and_b32 s12, s11, 0x7ffffff8
	s_mov_b32 s14, 0
.LBB4_14:                               ; =>This Inner Loop Header: Depth=1
	s_delay_alu instid0(VALU_DEP_2) | instskip(SKIP_3) | instid1(VALU_DEP_2)
	v_dual_mov_b32 v2, v4 :: v_dual_add_nc_u32 v3, 0xfffff900, v1
	v_mov_b32_e32 v21, s13
	s_add_i32 s14, s14, 8
	s_add_i32 s13, s13, 64
	v_lshlrev_b64 v[9:10], 2, v[3:4]
	v_add_nc_u32_e32 v3, 0xfffffa00, v1
	v_lshlrev_b64 v[11:12], 2, v[1:2]
	s_cmp_eq_u32 s12, s14
	s_delay_alu instid0(VALU_DEP_2) | instskip(NEXT) | instid1(VALU_DEP_4)
	v_lshlrev_b64 v[13:14], 2, v[3:4]
	v_add_co_u32 v9, vcc_lo, s6, v9
	v_add_co_ci_u32_e32 v10, vcc_lo, s7, v10, vcc_lo
	v_add_nc_u32_e32 v3, 0xfffffb00, v1
	s_delay_alu instid0(VALU_DEP_4)
	v_add_co_u32 v13, vcc_lo, s6, v13
	global_load_b32 v25, v[9:10], off
	v_add_co_ci_u32_e32 v14, vcc_lo, s7, v14, vcc_lo
	v_lshlrev_b64 v[15:16], 2, v[3:4]
	v_add_nc_u32_e32 v3, 0xfffffc00, v1
	global_load_b32 v26, v[13:14], off
	v_add_co_u32 v13, vcc_lo, s6, v15
	v_add_co_ci_u32_e32 v14, vcc_lo, s7, v16, vcc_lo
	v_lshlrev_b64 v[9:10], 2, v[3:4]
	v_add_nc_u32_e32 v3, 0xfffffd00, v1
	global_load_b32 v27, v[13:14], off
	v_add_co_u32 v9, vcc_lo, s6, v9
	v_lshlrev_b64 v[15:16], 2, v[3:4]
	v_add_nc_u32_e32 v3, 0xfffffe00, v1
	v_add_co_ci_u32_e32 v10, vcc_lo, s7, v10, vcc_lo
	global_load_b32 v28, v[9:10], off
	v_lshlrev_b64 v[13:14], 2, v[3:4]
	v_add_nc_u32_e32 v3, 0xffffff00, v1
	v_add_co_u32 v9, vcc_lo, s6, v15
	v_add_co_ci_u32_e32 v10, vcc_lo, s7, v16, vcc_lo
	s_delay_alu instid0(VALU_DEP_4) | instskip(NEXT) | instid1(VALU_DEP_4)
	v_add_co_u32 v13, vcc_lo, s6, v13
	v_lshlrev_b64 v[2:3], 2, v[3:4]
	v_add_co_ci_u32_e32 v14, vcc_lo, s7, v14, vcc_lo
	s_clause 0x1
	global_load_b32 v29, v[9:10], off
	global_load_b32 v30, v[13:14], off
	v_add_co_u32 v2, vcc_lo, s6, v2
	v_add_co_ci_u32_e32 v3, vcc_lo, s7, v3, vcc_lo
	v_add_co_u32 v9, vcc_lo, s6, v11
	v_add_co_ci_u32_e32 v10, vcc_lo, s7, v12, vcc_lo
	s_clause 0x1
	global_load_b32 v2, v[2:3], off
	global_load_b32 v3, v[9:10], off
	ds_load_2addr_b64 v[9:12], v21 offset1:1
	ds_load_2addr_b64 v[13:16], v21 offset0:2 offset1:3
	ds_load_2addr_b64 v[17:20], v21 offset0:4 offset1:5
	;; [unrolled: 1-line block ×3, first 2 shown]
	v_add_nc_u32_e32 v1, 0x800, v1
	s_waitcnt lgkmcnt(1)
	v_sub_f32_e32 v19, v19, v6
	v_sub_f32_e32 v11, v11, v6
	s_waitcnt lgkmcnt(0)
	v_sub_f32_e32 v23, v23, v6
	s_delay_alu instid0(VALU_DEP_3) | instskip(NEXT) | instid1(VALU_DEP_3)
	v_dual_sub_f32 v13, v13, v6 :: v_dual_mul_f32 v36, 0x3fb8aa3b, v19
	v_mul_f32_e32 v32, 0x3fb8aa3b, v11
	s_delay_alu instid0(VALU_DEP_2) | instskip(SKIP_1) | instid1(VALU_DEP_4)
	v_dual_mul_f32 v38, 0x3fb8aa3b, v23 :: v_dual_mul_f32 v33, 0x3fb8aa3b, v13
	v_cmp_ngt_f32_e32 vcc_lo, 0xc2ce8ed0, v13
	v_fma_f32 v49, 0x3fb8aa3b, v19, -v36
	s_delay_alu instid0(VALU_DEP_4) | instskip(SKIP_4) | instid1(VALU_DEP_4)
	v_fma_f32 v41, 0x3fb8aa3b, v11, -v32
	v_rndne_f32_e32 v42, v32
	v_fma_f32 v43, 0x3fb8aa3b, v13, -v33
	v_rndne_f32_e32 v44, v33
	v_rndne_f32_e32 v50, v36
	v_dual_fmac_f32 v41, 0x32a5705f, v11 :: v_dual_sub_f32 v32, v32, v42
	v_sub_f32_e32 v15, v15, v6
	v_fmac_f32_e32 v43, 0x32a5705f, v13
	v_sub_f32_e32 v33, v33, v44
	v_cvt_i32_f32_e32 v42, v42
	v_dual_add_f32 v32, v32, v41 :: v_dual_sub_f32 v9, v9, v6
	v_mul_f32_e32 v34, 0x3fb8aa3b, v15
	s_delay_alu instid0(VALU_DEP_4) | instskip(SKIP_1) | instid1(VALU_DEP_4)
	v_add_f32_e32 v33, v33, v43
	v_cvt_i32_f32_e32 v44, v44
	v_exp_f32_e32 v32, v32
	v_mul_f32_e32 v31, 0x3fb8aa3b, v9
	v_fma_f32 v45, 0x3fb8aa3b, v15, -v34
	v_rndne_f32_e32 v46, v34
	v_exp_f32_e32 v33, v33
	v_cmp_ngt_f32_e64 s5, 0xc2ce8ed0, v9
	v_fma_f32 v39, 0x3fb8aa3b, v9, -v31
	v_rndne_f32_e32 v40, v31
	v_dual_fmac_f32 v45, 0x32a5705f, v15 :: v_dual_sub_f32 v34, v34, v46
	v_sub_f32_e32 v17, v17, v6
	s_delay_alu instid0(VALU_DEP_4) | instskip(NEXT) | instid1(VALU_DEP_4)
	v_fmac_f32_e32 v39, 0x32a5705f, v9
	v_sub_f32_e32 v31, v31, v40
	v_cvt_i32_f32_e32 v40, v40
	v_add_f32_e32 v34, v34, v45
	v_ldexp_f32 v32, v32, v42
	v_ldexp_f32 v33, v33, v44
	v_add_f32_e32 v31, v31, v39
	v_cvt_i32_f32_e32 v46, v46
	v_exp_f32_e32 v34, v34
	v_cmp_ngt_f32_e64 s0, 0xc2ce8ed0, v15
	v_fmac_f32_e32 v49, 0x32a5705f, v19
	v_exp_f32_e32 v31, v31
	v_sub_f32_e32 v36, v36, v50
	v_cvt_i32_f32_e32 v50, v50
	v_cmp_ngt_f32_e64 s1, 0xc2ce8ed0, v17
	v_rndne_f32_e32 v54, v38
	s_delay_alu instid0(VALU_DEP_4) | instskip(NEXT) | instid1(TRANS32_DEP_2)
	v_add_f32_e32 v36, v36, v49
	v_ldexp_f32 v34, v34, v46
	v_cmp_ngt_f32_e64 s2, 0xc2ce8ed0, v19
	s_delay_alu instid0(TRANS32_DEP_1) | instskip(NEXT) | instid1(VALU_DEP_4)
	v_ldexp_f32 v31, v31, v40
	v_exp_f32_e32 v36, v36
	s_delay_alu instid0(VALU_DEP_1) | instskip(SKIP_1) | instid1(VALU_DEP_1)
	v_cndmask_b32_e64 v31, 0, v31, s5
	v_cmp_ngt_f32_e64 s5, 0xc2ce8ed0, v11
	v_cndmask_b32_e64 v32, 0, v32, s5
	v_cmp_nlt_f32_e64 s5, 0x42b17218, v9
	s_waitcnt_depctr 0xfff
	v_ldexp_f32 v36, v36, v50
	v_cndmask_b32_e64 v9, 0x7f800000, v31, s5
	v_cndmask_b32_e32 v31, 0, v33, vcc_lo
	v_cmp_nlt_f32_e32 vcc_lo, 0x42b17218, v11
	s_delay_alu instid0(VALU_DEP_3) | instskip(SKIP_1) | instid1(VALU_DEP_2)
	v_dual_fmac_f32 v8, v9, v10 :: v_dual_cndmask_b32 v11, 0x7f800000, v32
	v_cmp_nlt_f32_e32 vcc_lo, 0x42b17218, v13
	v_fmac_f32_e32 v8, v11, v12
	v_cndmask_b32_e32 v10, 0x7f800000, v31, vcc_lo
	v_cmp_nlt_f32_e32 vcc_lo, 0x42b17218, v15
	v_fma_f32 v53, 0x3fb8aa3b, v23, -v38
	v_sub_f32_e32 v38, v38, v54
	v_cvt_i32_f32_e32 v54, v54
	v_fmac_f32_e32 v8, v10, v14
	v_cmp_ngt_f32_e64 s4, 0xc2ce8ed0, v23
	v_fmac_f32_e32 v53, 0x32a5705f, v23
	s_delay_alu instid0(VALU_DEP_1) | instskip(NEXT) | instid1(VALU_DEP_1)
	v_dual_sub_f32 v21, v21, v6 :: v_dual_add_f32 v38, v38, v53
	v_cmp_ngt_f32_e64 s3, 0xc2ce8ed0, v21
	s_delay_alu instid0(VALU_DEP_2)
	v_exp_f32_e32 v38, v38
	s_waitcnt_depctr 0xfff
	v_ldexp_f32 v38, v38, v54
	s_waitcnt vmcnt(7)
	v_fmac_f32_e32 v7, v25, v9
	v_cndmask_b32_e64 v9, 0, v34, s0
	s_delay_alu instid0(VALU_DEP_1) | instskip(SKIP_1) | instid1(VALU_DEP_3)
	v_cndmask_b32_e32 v9, 0x7f800000, v9, vcc_lo
	s_waitcnt vmcnt(6)
	v_fmac_f32_e32 v7, v26, v11
	v_cmp_nlt_f32_e32 vcc_lo, 0x42b17218, v17
	s_delay_alu instid0(VALU_DEP_3) | instskip(SKIP_1) | instid1(VALU_DEP_3)
	v_dual_fmac_f32 v8, v9, v16 :: v_dual_mul_f32 v35, 0x3fb8aa3b, v17
	s_waitcnt vmcnt(5)
	v_fmac_f32_e32 v7, v27, v10
	s_delay_alu instid0(VALU_DEP_2) | instskip(SKIP_2) | instid1(VALU_DEP_3)
	v_fma_f32 v47, 0x3fb8aa3b, v17, -v35
	v_rndne_f32_e32 v48, v35
	v_cndmask_b32_e64 v10, 0, v36, s2
	v_fmac_f32_e32 v47, 0x32a5705f, v17
	s_delay_alu instid0(VALU_DEP_3) | instskip(SKIP_1) | instid1(VALU_DEP_2)
	v_sub_f32_e32 v35, v35, v48
	v_cvt_i32_f32_e32 v48, v48
	v_add_f32_e32 v35, v35, v47
	s_waitcnt vmcnt(4)
	v_fmac_f32_e32 v7, v28, v9
	s_delay_alu instid0(VALU_DEP_2) | instskip(SKIP_2) | instid1(VALU_DEP_1)
	v_exp_f32_e32 v35, v35
	s_waitcnt_depctr 0xfff
	v_ldexp_f32 v35, v35, v48
	v_cndmask_b32_e64 v11, 0, v35, s1
	s_delay_alu instid0(VALU_DEP_1) | instskip(SKIP_1) | instid1(VALU_DEP_2)
	v_cndmask_b32_e32 v11, 0x7f800000, v11, vcc_lo
	v_cmp_nlt_f32_e32 vcc_lo, 0x42b17218, v19
	v_fmac_f32_e32 v8, v11, v18
	v_cndmask_b32_e32 v10, 0x7f800000, v10, vcc_lo
	v_mul_f32_e32 v37, 0x3fb8aa3b, v21
	s_waitcnt vmcnt(3)
	v_fmac_f32_e32 v7, v29, v11
	v_cmp_nlt_f32_e32 vcc_lo, 0x42b17218, v21
	v_cndmask_b32_e64 v11, 0, v38, s4
	v_fmac_f32_e32 v8, v10, v20
	v_fma_f32 v51, 0x3fb8aa3b, v21, -v37
	v_rndne_f32_e32 v52, v37
	s_waitcnt vmcnt(2)
	v_fmac_f32_e32 v7, v30, v10
	s_delay_alu instid0(VALU_DEP_3) | instskip(NEXT) | instid1(VALU_DEP_3)
	v_fmac_f32_e32 v51, 0x32a5705f, v21
	v_sub_f32_e32 v37, v37, v52
	v_cvt_i32_f32_e32 v52, v52
	s_delay_alu instid0(VALU_DEP_2) | instskip(NEXT) | instid1(VALU_DEP_1)
	v_add_f32_e32 v37, v37, v51
	v_exp_f32_e32 v37, v37
	s_waitcnt_depctr 0xfff
	v_ldexp_f32 v37, v37, v52
	s_delay_alu instid0(VALU_DEP_1) | instskip(NEXT) | instid1(VALU_DEP_1)
	v_cndmask_b32_e64 v9, 0, v37, s3
	v_cndmask_b32_e32 v9, 0x7f800000, v9, vcc_lo
	v_cmp_nlt_f32_e32 vcc_lo, 0x42b17218, v23
	s_delay_alu instid0(VALU_DEP_2) | instskip(SKIP_3) | instid1(VALU_DEP_1)
	v_fmac_f32_e32 v8, v9, v22
	s_waitcnt vmcnt(1)
	v_dual_cndmask_b32 v10, 0x7f800000, v11 :: v_dual_fmac_f32 v7, v2, v9
	s_waitcnt vmcnt(0)
	v_dual_fmac_f32 v8, v10, v24 :: v_dual_fmac_f32 v7, v3, v10
	s_cbranch_scc0 .LBB4_14
; %bb.15:
	s_and_b32 s0, s11, 7
	s_delay_alu instid0(SALU_CYCLE_1)
	s_cmp_eq_u32 s0, 0
	s_cbranch_scc0 .LBB4_18
	s_branch .LBB4_20
.LBB4_16:
	v_mov_b32_e32 v0, 0x7fc00000
	s_branch .LBB4_21
.LBB4_17:
	v_mov_b32_e32 v8, 0
	s_mov_b32 s12, 0
	s_and_b32 s0, s11, 7
	s_delay_alu instid0(SALU_CYCLE_1)
	s_cmp_eq_u32 s0, 0
	s_cbranch_scc1 .LBB4_20
.LBB4_18:
	v_lshl_or_b32 v0, s12, 8, v0
	v_mov_b32_e32 v1, 0
	s_lshl_b32 s1, s12, 3
	s_delay_alu instid0(SALU_CYCLE_1)
	s_add_i32 s1, s1, 0
	s_set_inst_prefetch_distance 0x1
	.p2align	6
.LBB4_19:                               ; =>This Inner Loop Header: Depth=1
	s_delay_alu instid0(VALU_DEP_1) | instskip(SKIP_2) | instid1(VALU_DEP_2)
	v_lshlrev_b64 v[2:3], 2, v[0:1]
	s_add_i32 s0, s0, -1
	v_add_nc_u32_e32 v0, 0x100, v0
	v_add_co_u32 v2, vcc_lo, s6, v2
	s_delay_alu instid0(VALU_DEP_3)
	v_add_co_ci_u32_e32 v3, vcc_lo, s7, v3, vcc_lo
	global_load_b32 v4, v[2:3], off
	v_mov_b32_e32 v2, s1
	s_add_i32 s1, s1, 8
	s_cmp_lg_u32 s0, 0
	ds_load_b64 v[2:3], v2
	s_waitcnt lgkmcnt(0)
	v_sub_f32_e32 v2, v2, v6
	s_delay_alu instid0(VALU_DEP_1) | instskip(SKIP_1) | instid1(VALU_DEP_2)
	v_mul_f32_e32 v9, 0x3fb8aa3b, v2
	v_cmp_ngt_f32_e32 vcc_lo, 0xc2ce8ed0, v2
	v_fma_f32 v10, 0x3fb8aa3b, v2, -v9
	v_rndne_f32_e32 v11, v9
	s_delay_alu instid0(VALU_DEP_1) | instskip(NEXT) | instid1(VALU_DEP_1)
	v_dual_fmac_f32 v10, 0x32a5705f, v2 :: v_dual_sub_f32 v9, v9, v11
	v_add_f32_e32 v9, v9, v10
	v_cvt_i32_f32_e32 v10, v11
	s_delay_alu instid0(VALU_DEP_2) | instskip(SKIP_2) | instid1(VALU_DEP_1)
	v_exp_f32_e32 v9, v9
	s_waitcnt_depctr 0xfff
	v_ldexp_f32 v9, v9, v10
	v_cndmask_b32_e32 v9, 0, v9, vcc_lo
	v_cmp_nlt_f32_e32 vcc_lo, 0x42b17218, v2
	s_delay_alu instid0(VALU_DEP_2) | instskip(SKIP_1) | instid1(VALU_DEP_1)
	v_cndmask_b32_e32 v2, 0x7f800000, v9, vcc_lo
	s_waitcnt vmcnt(0)
	v_dual_fmac_f32 v8, v2, v3 :: v_dual_fmac_f32 v7, v4, v2
	s_cbranch_scc1 .LBB4_19
.LBB4_20:
	s_set_inst_prefetch_distance 0x2
	s_delay_alu instid0(VALU_DEP_1) | instskip(NEXT) | instid1(VALU_DEP_1)
	v_div_scale_f32 v0, null, v8, v8, v7
	v_rcp_f32_e32 v1, v0
	s_waitcnt_depctr 0xfff
	v_fma_f32 v2, -v0, v1, 1.0
	s_delay_alu instid0(VALU_DEP_1) | instskip(SKIP_1) | instid1(VALU_DEP_1)
	v_fmac_f32_e32 v1, v2, v1
	v_div_scale_f32 v2, vcc_lo, v7, v8, v7
	v_mul_f32_e32 v3, v2, v1
	s_delay_alu instid0(VALU_DEP_1) | instskip(NEXT) | instid1(VALU_DEP_1)
	v_fma_f32 v4, -v0, v3, v2
	v_fmac_f32_e32 v3, v4, v1
	s_delay_alu instid0(VALU_DEP_1) | instskip(NEXT) | instid1(VALU_DEP_1)
	v_fma_f32 v0, -v0, v3, v2
	v_div_fmas_f32 v0, v0, v1, v3
	s_delay_alu instid0(VALU_DEP_1)
	v_div_fixup_f32 v0, v0, v8, v7
.LBB4_21:
	s_lshl_b32 s0, s10, 8
	s_delay_alu instid0(SALU_CYCLE_1) | instskip(NEXT) | instid1(SALU_CYCLE_1)
	s_ashr_i32 s1, s0, 31
	s_lshl_b64 s[0:1], s[0:1], 2
	s_delay_alu instid0(SALU_CYCLE_1)
	s_add_u32 s0, s8, s0
	s_addc_u32 s1, s9, s1
	global_store_b32 v5, v0, s[0:1]
	s_nop 0
	s_sendmsg sendmsg(MSG_DEALLOC_VGPRS)
	s_endpgm
	.section	.rodata,"a",@progbits
	.p2align	6, 0x0
	.amdhsa_kernel _ZL26flash_attn_combine_resultsILi256EEvPKfPK15HIP_vector_typeIfLj2EEPfi
		.amdhsa_group_segment_fixed_size 0
		.amdhsa_private_segment_fixed_size 0
		.amdhsa_kernarg_size 288
		.amdhsa_user_sgpr_count 13
		.amdhsa_user_sgpr_dispatch_ptr 0
		.amdhsa_user_sgpr_queue_ptr 0
		.amdhsa_user_sgpr_kernarg_segment_ptr 1
		.amdhsa_user_sgpr_dispatch_id 0
		.amdhsa_user_sgpr_private_segment_size 0
		.amdhsa_wavefront_size32 1
		.amdhsa_uses_dynamic_stack 0
		.amdhsa_enable_private_segment 0
		.amdhsa_system_sgpr_workgroup_id_x 1
		.amdhsa_system_sgpr_workgroup_id_y 1
		.amdhsa_system_sgpr_workgroup_id_z 1
		.amdhsa_system_sgpr_workgroup_info 0
		.amdhsa_system_vgpr_workitem_id 0
		.amdhsa_next_free_vgpr 55
		.amdhsa_next_free_sgpr 16
		.amdhsa_reserve_vcc 1
		.amdhsa_float_round_mode_32 0
		.amdhsa_float_round_mode_16_64 0
		.amdhsa_float_denorm_mode_32 3
		.amdhsa_float_denorm_mode_16_64 3
		.amdhsa_dx10_clamp 1
		.amdhsa_ieee_mode 1
		.amdhsa_fp16_overflow 0
		.amdhsa_workgroup_processor_mode 1
		.amdhsa_memory_ordered 1
		.amdhsa_forward_progress 0
		.amdhsa_shared_vgpr_count 0
		.amdhsa_exception_fp_ieee_invalid_op 0
		.amdhsa_exception_fp_denorm_src 0
		.amdhsa_exception_fp_ieee_div_zero 0
		.amdhsa_exception_fp_ieee_overflow 0
		.amdhsa_exception_fp_ieee_underflow 0
		.amdhsa_exception_fp_ieee_inexact 0
		.amdhsa_exception_int_div_zero 0
	.end_amdhsa_kernel
	.section	.text._ZL26flash_attn_combine_resultsILi256EEvPKfPK15HIP_vector_typeIfLj2EEPfi,"axG",@progbits,_ZL26flash_attn_combine_resultsILi256EEvPKfPK15HIP_vector_typeIfLj2EEPfi,comdat
.Lfunc_end4:
	.size	_ZL26flash_attn_combine_resultsILi256EEvPKfPK15HIP_vector_typeIfLj2EEPfi, .Lfunc_end4-_ZL26flash_attn_combine_resultsILi256EEvPKfPK15HIP_vector_typeIfLj2EEPfi
                                        ; -- End function
	.section	.AMDGPU.csdata,"",@progbits
; Kernel info:
; codeLenInByte = 2352
; NumSgprs: 18
; NumVgprs: 55
; ScratchSize: 0
; MemoryBound: 0
; FloatMode: 240
; IeeeMode: 1
; LDSByteSize: 0 bytes/workgroup (compile time only)
; SGPRBlocks: 2
; VGPRBlocks: 6
; NumSGPRsForWavesPerEU: 18
; NumVGPRsForWavesPerEU: 55
; Occupancy: 16
; WaveLimiterHint : 0
; COMPUTE_PGM_RSRC2:SCRATCH_EN: 0
; COMPUTE_PGM_RSRC2:USER_SGPR: 13
; COMPUTE_PGM_RSRC2:TRAP_HANDLER: 0
; COMPUTE_PGM_RSRC2:TGID_X_EN: 1
; COMPUTE_PGM_RSRC2:TGID_Y_EN: 1
; COMPUTE_PGM_RSRC2:TGID_Z_EN: 1
; COMPUTE_PGM_RSRC2:TIDIG_COMP_CNT: 0
	.section	.text._ZL15flash_attn_tileILi256ELi256ELi2ELi8ELb0EEvPKcS1_S1_S1_S1_PKiPfP15HIP_vector_typeIfLj2EEffffjfiS5_IjLj3EEiiiiiiiiiiiliiliiiiil,"axG",@progbits,_ZL15flash_attn_tileILi256ELi256ELi2ELi8ELb0EEvPKcS1_S1_S1_S1_PKiPfP15HIP_vector_typeIfLj2EEffffjfiS5_IjLj3EEiiiiiiiiiiiliiliiiiil,comdat
	.globl	_ZL15flash_attn_tileILi256ELi256ELi2ELi8ELb0EEvPKcS1_S1_S1_S1_PKiPfP15HIP_vector_typeIfLj2EEffffjfiS5_IjLj3EEiiiiiiiiiiiliiliiiiil ; -- Begin function _ZL15flash_attn_tileILi256ELi256ELi2ELi8ELb0EEvPKcS1_S1_S1_S1_PKiPfP15HIP_vector_typeIfLj2EEffffjfiS5_IjLj3EEiiiiiiiiiiiliiliiiiil
	.p2align	8
	.type	_ZL15flash_attn_tileILi256ELi256ELi2ELi8ELb0EEvPKcS1_S1_S1_S1_PKiPfP15HIP_vector_typeIfLj2EEffffjfiS5_IjLj3EEiiiiiiiiiiiliiliiiiil,@function
_ZL15flash_attn_tileILi256ELi256ELi2ELi8ELb0EEvPKcS1_S1_S1_S1_PKiPfP15HIP_vector_typeIfLj2EEffffjfiS5_IjLj3EEiiiiiiiiiiiliiliiiiil: ; @_ZL15flash_attn_tileILi256ELi256ELi2ELi8ELb0EEvPKcS1_S1_S1_S1_PKiPfP15HIP_vector_typeIfLj2EEffffjfiS5_IjLj3EEiiiiiiiiiiiliiliiiiil
; %bb.0:
	s_clause 0x1
	s_load_b128 s[8:11], s[0:1], 0x5c
	s_load_b64 s[34:35], s[0:1], 0x80
	s_mov_b64 s[36:37], 0
	s_waitcnt lgkmcnt(0)
	s_ashr_i32 s2, s11, 31
	s_delay_alu instid0(SALU_CYCLE_1) | instskip(NEXT) | instid1(SALU_CYCLE_1)
	s_lshr_b32 s2, s2, 29
	s_add_i32 s2, s11, s2
	s_delay_alu instid0(SALU_CYCLE_1) | instskip(NEXT) | instid1(SALU_CYCLE_1)
	s_ashr_i32 s2, s2, 3
	v_cvt_f32_u32_e32 v1, s2
	s_sub_i32 s4, 0, s2
	s_delay_alu instid0(VALU_DEP_1) | instskip(SKIP_2) | instid1(VALU_DEP_1)
	v_rcp_iflag_f32_e32 v1, v1
	s_waitcnt_depctr 0xfff
	v_mul_f32_e32 v1, 0x4f7ffffe, v1
	v_cvt_u32_f32_e32 v1, v1
	s_delay_alu instid0(VALU_DEP_1) | instskip(NEXT) | instid1(VALU_DEP_1)
	v_readfirstlane_b32 s3, v1
	s_mul_i32 s4, s4, s3
	s_delay_alu instid0(SALU_CYCLE_1) | instskip(NEXT) | instid1(SALU_CYCLE_1)
	s_mul_hi_u32 s4, s3, s4
	s_add_i32 s3, s3, s4
	s_delay_alu instid0(SALU_CYCLE_1) | instskip(NEXT) | instid1(SALU_CYCLE_1)
	s_mul_hi_u32 s3, s15, s3
	s_mul_i32 s4, s3, s2
	s_add_i32 s5, s3, 1
	s_sub_i32 s4, s15, s4
	s_delay_alu instid0(SALU_CYCLE_1)
	s_sub_i32 s6, s4, s2
	s_cmp_ge_u32 s4, s2
	s_cselect_b32 s3, s5, s3
	s_cselect_b32 s4, s6, s4
	s_add_i32 s5, s3, 1
	s_cmp_ge_u32 s4, s2
	s_cselect_b32 s33, s5, s3
	s_abs_i32 s2, s35
	s_abs_i32 s7, s11
	v_cvt_f32_u32_e32 v1, s2
	s_sub_i32 s4, 0, s2
	s_lshl_b32 s5, s15, 3
	s_mul_i32 s6, s33, s11
	s_delay_alu instid0(VALU_DEP_1) | instskip(SKIP_3) | instid1(VALU_DEP_1)
	v_rcp_iflag_f32_e32 v1, v1
	s_sub_i32 s15, s5, s6
	s_waitcnt_depctr 0xfff
	v_mul_f32_e32 v1, 0x4f7ffffe, v1
	v_cvt_u32_f32_e32 v1, v1
	s_delay_alu instid0(VALU_DEP_1) | instskip(NEXT) | instid1(VALU_DEP_1)
	v_readfirstlane_b32 s3, v1
	s_mul_i32 s4, s4, s3
	s_delay_alu instid0(SALU_CYCLE_1) | instskip(NEXT) | instid1(SALU_CYCLE_1)
	s_mul_hi_u32 s4, s3, s4
	s_add_i32 s3, s3, s4
	s_xor_b32 s4, s11, s35
	s_mul_hi_u32 s3, s7, s3
	s_ashr_i32 s4, s4, 31
	s_mul_i32 s5, s3, s2
	s_add_i32 s6, s3, 1
	s_sub_i32 s5, s7, s5
	s_delay_alu instid0(SALU_CYCLE_1)
	s_sub_i32 s7, s5, s2
	s_cmp_ge_u32 s5, s2
	s_cselect_b32 s3, s6, s3
	s_cselect_b32 s5, s7, s5
	s_add_i32 s6, s3, 1
	s_cmp_ge_u32 s5, s2
	s_cselect_b32 s2, s6, s3
	s_delay_alu instid0(SALU_CYCLE_1) | instskip(NEXT) | instid1(SALU_CYCLE_1)
	s_xor_b32 s2, s2, s4
	s_sub_i32 s35, s2, s4
	s_clause 0x1
	s_load_b512 s[16:31], s[0:1], 0x0
	s_load_b64 s[2:3], s[0:1], 0xb8
	s_abs_i32 s12, s35
	s_delay_alu instid0(SALU_CYCLE_1) | instskip(NEXT) | instid1(VALU_DEP_1)
	v_cvt_f32_u32_e32 v1, s12
	v_rcp_iflag_f32_e32 v1, v1
	s_waitcnt_depctr 0xfff
	v_mul_f32_e32 v1, 0x4f7ffffe, v1
	s_waitcnt lgkmcnt(0)
	s_cmp_eq_u64 s[22:23], 0
	s_delay_alu instid0(VALU_DEP_1) | instskip(NEXT) | instid1(VALU_DEP_1)
	v_cvt_u32_f32_e32 v1, v1
	v_readfirstlane_b32 s38, v1
	s_cbranch_scc1 .LBB5_2
; %bb.1:
	s_abs_i32 s2, s2
	s_abs_i32 s6, s33
	v_cvt_f32_u32_e32 v1, s2
	s_sub_i32 s5, 0, s2
	s_delay_alu instid0(VALU_DEP_1) | instskip(SKIP_2) | instid1(VALU_DEP_1)
	v_rcp_iflag_f32_e32 v1, v1
	s_waitcnt_depctr 0xfff
	v_mul_f32_e32 v1, 0x4f7ffffe, v1
	v_cvt_u32_f32_e32 v1, v1
	s_delay_alu instid0(VALU_DEP_1) | instskip(NEXT) | instid1(VALU_DEP_1)
	v_readfirstlane_b32 s4, v1
	s_mul_i32 s5, s5, s4
	s_delay_alu instid0(SALU_CYCLE_1) | instskip(NEXT) | instid1(SALU_CYCLE_1)
	s_mul_hi_u32 s5, s4, s5
	s_add_i32 s7, s4, s5
	s_load_b64 s[4:5], s[0:1], 0xc8
	s_mul_hi_u32 s7, s6, s7
	s_delay_alu instid0(SALU_CYCLE_1) | instskip(NEXT) | instid1(SALU_CYCLE_1)
	s_mul_i32 s7, s7, s2
	s_sub_i32 s6, s6, s7
	s_ashr_i32 s7, s33, 31
	s_sub_i32 s36, s6, s2
	s_cmp_ge_u32 s6, s2
	s_cselect_b32 s6, s36, s6
	s_delay_alu instid0(SALU_CYCLE_1) | instskip(SKIP_2) | instid1(SALU_CYCLE_1)
	s_sub_i32 s36, s6, s2
	s_cmp_ge_u32 s6, s2
	s_cselect_b32 s2, s36, s6
	s_xor_b32 s2, s2, s7
	s_delay_alu instid0(SALU_CYCLE_1)
	s_sub_i32 s2, s2, s7
	s_waitcnt lgkmcnt(0)
	s_mul_i32 s5, s2, s5
	s_mul_hi_u32 s6, s2, s4
	s_ashr_i32 s7, s2, 31
	s_add_i32 s5, s6, s5
	s_mul_i32 s7, s7, s4
	s_mul_i32 s2, s2, s4
	s_add_i32 s5, s5, s7
	s_add_u32 s36, s22, s2
	s_addc_u32 s37, s23, s5
.LBB5_2:
	v_bfe_u32 v1, v0, 10, 10
	s_load_b128 s[4:7], s[0:1], 0x70
	v_and_b32_e32 v17, 0x3ff, v0
	s_delay_alu instid0(VALU_DEP_2) | instskip(SKIP_2) | instid1(VALU_DEP_4)
	v_lshrrev_b32_e32 v2, 2, v1
	v_lshlrev_b32_e32 v5, 1, v1
	v_lshlrev_b32_e32 v22, 8, v1
	;; [unrolled: 1-line block ×3, first 2 shown]
	s_delay_alu instid0(VALU_DEP_4) | instskip(NEXT) | instid1(VALU_DEP_4)
	v_lshl_add_u32 v16, s13, 1, v2
	v_and_b32_e32 v38, 6, v5
	v_or_b32_e32 v15, 1, v5
	s_delay_alu instid0(VALU_DEP_3) | instskip(NEXT) | instid1(VALU_DEP_2)
	v_mul_hi_u32 v2, s8, v16
	v_and_b32_e32 v12, 7, v15
	v_lshlrev_b32_e32 v15, 7, v15
	s_waitcnt lgkmcnt(0)
	s_mul_i32 s2, s33, s6
	s_mul_i32 s6, s15, s5
	s_delay_alu instid0(VALU_DEP_3)
	v_add_nc_u32_e32 v2, v16, v2
	s_ashr_i32 s7, s2, 31
	s_add_u32 s2, s16, s2
	s_addc_u32 s7, s17, s7
	s_ashr_i32 s8, s6, 31
	v_lshrrev_b32_e32 v2, s9, v2
	s_add_u32 s2, s2, s6
	s_addc_u32 s6, s7, s8
	s_ashr_i32 s7, s4, 31
	s_delay_alu instid0(VALU_DEP_1) | instskip(SKIP_2) | instid1(SALU_CYCLE_1)
	v_mul_lo_u32 v2, v2, s10
	v_alignbit_b32 v6, s7, s4, 2
	s_ashr_i32 s4, s5, 31
	v_alignbit_b32 v9, s4, s5, 2
	s_lshr_b32 s5, s7, 2
	s_lshr_b32 s4, s4, 2
	s_cmp_eq_u64 s[26:27], 0
	s_delay_alu instid0(VALU_DEP_3) | instskip(SKIP_1) | instid1(VALU_DEP_2)
	v_sub_nc_u32_e32 v2, v16, v2
	v_mad_u64_u32 v[7:8], null, v9, v12, 0
	v_mad_u64_u32 v[3:4], null, v6, v2, 0
	v_mad_u64_u32 v[5:6], null, v9, v38, 0
	s_delay_alu instid0(VALU_DEP_1) | instskip(NEXT) | instid1(VALU_DEP_2)
	v_mad_u64_u32 v[9:10], null, s5, v2, v[4:5]
	v_mov_b32_e32 v4, v6
	v_mov_b32_e32 v6, v8
	s_mov_b32 s5, 0
	s_delay_alu instid0(VALU_DEP_2) | instskip(NEXT) | instid1(VALU_DEP_4)
	v_mad_u64_u32 v[10:11], null, s4, v38, v[4:5]
	v_mov_b32_e32 v4, v9
	s_delay_alu instid0(VALU_DEP_3) | instskip(NEXT) | instid1(VALU_DEP_2)
	v_mad_u64_u32 v[8:9], null, s4, v12, v[6:7]
	v_lshlrev_b64 v[3:4], 2, v[3:4]
	s_delay_alu instid0(VALU_DEP_4) | instskip(NEXT) | instid1(VALU_DEP_2)
	v_mov_b32_e32 v6, v10
	v_add_co_u32 v9, vcc_lo, s2, v3
	s_delay_alu instid0(VALU_DEP_3) | instskip(NEXT) | instid1(VALU_DEP_3)
	v_add_co_ci_u32_e32 v10, vcc_lo, s6, v4, vcc_lo
	v_lshlrev_b64 v[3:4], 2, v[5:6]
	s_delay_alu instid0(VALU_DEP_3) | instskip(NEXT) | instid1(VALU_DEP_3)
	v_add_co_u32 v0, vcc_lo, v9, v0
	v_add_co_ci_u32_e32 v9, vcc_lo, 0, v10, vcc_lo
	v_lshlrev_b64 v[5:6], 2, v[7:8]
	s_delay_alu instid0(VALU_DEP_3) | instskip(NEXT) | instid1(VALU_DEP_3)
	v_add_co_u32 v7, vcc_lo, v0, v3
	v_add_co_ci_u32_e32 v8, vcc_lo, v9, v4, vcc_lo
	s_load_b32 s2, s[0:1], 0x40
	s_delay_alu instid0(VALU_DEP_3) | instskip(NEXT) | instid1(VALU_DEP_4)
	v_add_co_u32 v18, vcc_lo, v0, v5
	v_add_co_ci_u32_e32 v19, vcc_lo, v9, v6, vcc_lo
	s_clause 0x3
	global_load_b128 v[3:6], v[7:8], off
	global_load_b128 v[7:10], v[7:8], off offset:512
	global_load_b128 v[11:14], v[18:19], off
	global_load_b128 v[18:21], v[18:19], off offset:512
	v_lshlrev_b32_e32 v0, 1, v17
	s_delay_alu instid0(VALU_DEP_1) | instskip(SKIP_1) | instid1(VALU_DEP_2)
	v_add_lshl_u32 v22, v22, v0, 2
	v_add_lshl_u32 v15, v15, v0, 2
	v_add_nc_u32_e32 v30, 0x4000, v22
	s_delay_alu instid0(VALU_DEP_2)
	v_add_nc_u32_e32 v15, 0x4000, v15
	s_waitcnt vmcnt(3) lgkmcnt(0)
	v_fma_mixlo_f16 v22, v3, s2, 0
	v_fma_mixlo_f16 v23, v5, s2, 0
	s_waitcnt vmcnt(2)
	v_fma_mixlo_f16 v24, v7, s2, 0
	v_fma_mixlo_f16 v25, v9, s2, 0
	s_waitcnt vmcnt(1)
	;; [unrolled: 3-line block ×3, first 2 shown]
	v_fma_mixlo_f16 v28, v18, s2, 0
	v_fma_mixlo_f16 v29, v20, s2, 0
	v_fma_mixhi_f16 v23, v6, s2, 0
	v_fma_mixhi_f16 v22, v4, s2, 0
	;; [unrolled: 1-line block ×8, first 2 shown]
	ds_store_2addr_b64 v30, v[22:23], v[24:25] offset0:64 offset1:96
	ds_store_2addr_b64 v15, v[26:27], v[28:29] offset0:64 offset1:96
	s_waitcnt lgkmcnt(0)
	s_barrier
	buffer_gl0_inv
	s_cbranch_scc1 .LBB5_4
; %bb.3:
	s_load_b32 s2, s[0:1], 0xd0
	s_waitcnt lgkmcnt(0)
	s_mul_i32 s2, s2, s33
	s_delay_alu instid0(SALU_CYCLE_1) | instskip(NEXT) | instid1(SALU_CYCLE_1)
	s_add_i32 s4, s2, s13
	s_lshl_b64 s[4:5], s[4:5], 2
	s_delay_alu instid0(SALU_CYCLE_1)
	s_add_u32 s4, s26, s4
	s_addc_u32 s5, s27, s5
	s_load_b32 s34, s[4:5], 0x0
.LBB5_4:
	v_lshlrev_b32_e32 v37, 2, v17
	v_mbcnt_lo_u32_b32 v39, -1, 0
	s_lshl_b32 s9, s14, 5
	s_waitcnt lgkmcnt(0)
	s_cmp_lt_i32 s9, s34
	s_cbranch_scc1 .LBB5_6
; %bb.5:
	v_mbcnt_lo_u32_b32 v3, -1, 0
	v_mov_b32_e32 v40, 32
	s_mov_b32 s2, 0
	s_mov_b32 s4, 0xfeffffff
	s_delay_alu instid0(VALU_DEP_2)
	v_xor_b32_e32 v45, 16, v3
	v_xor_b32_e32 v44, 8, v3
	v_xor_b32_e32 v43, 4, v3
	v_xor_b32_e32 v42, 2, v3
	v_xor_b32_e32 v41, 1, v3
	s_branch .LBB5_7
.LBB5_6:
	s_mov_b32 s2, -1
                                        ; implicit-def: $sgpr4
                                        ; implicit-def: $vgpr3
                                        ; implicit-def: $vgpr40
                                        ; implicit-def: $vgpr45
                                        ; implicit-def: $vgpr44
                                        ; implicit-def: $vgpr43
                                        ; implicit-def: $vgpr42
                                        ; implicit-def: $vgpr41
.LBB5_7:
	s_delay_alu instid0(SALU_CYCLE_1) | instskip(SKIP_2) | instid1(VALU_DEP_3)
	v_cndmask_b32_e64 v4, 0, 1, s2
	v_dual_mov_b32 v19, s4 :: v_dual_mov_b32 v72, s2
	v_dual_mov_b32 v69, s2 :: v_dual_mov_b32 v18, s4
	v_cmp_ne_u32_e32 vcc_lo, 1, v4
	v_dual_mov_b32 v46, s2 :: v_dual_mov_b32 v75, s2
	v_dual_mov_b32 v70, s2 :: v_dual_mov_b32 v61, s2
	;; [unrolled: 1-line block ×4, first 2 shown]
	s_cbranch_vccnz .LBB5_11
; %bb.8:
	s_clause 0x1
	s_load_b128 s[4:7], s[0:1], 0x98
	s_load_b64 s[22:23], s[0:1], 0x8c
	s_sub_i32 s2, 0, s12
	s_abs_i32 s8, s15
	s_mul_i32 s2, s2, s38
	s_ashr_i32 s13, s15, 31
	s_mul_hi_u32 s2, s38, s2
	s_ashr_i32 s35, s35, 31
	s_add_i32 s38, s38, s2
	s_ashr_i32 s2, s3, 1
	s_mul_hi_u32 s3, s8, s38
	s_ashr_i32 s38, s33, 31
	s_load_b64 s[26:27], s[0:1], 0xa8
	s_mul_i32 s39, s3, s12
	v_lshlrev_b32_e32 v47, 2, v37
	v_lshl_add_u32 v53, v1, 10, 0x4200
	v_lshl_add_u32 v54, v1, 7, 0x6200
	v_mad_u64_u32 v[20:21], null, v2, s2, v[17:18]
	v_mov_b32_e32 v18, 0xfeffffff
	s_waitcnt lgkmcnt(0)
	s_ashr_i32 s16, s6, 2
	s_mul_i32 s5, s33, s5
	s_mul_hi_u32 s6, s33, s4
	s_ashr_i32 s17, s22, 2
	s_mul_i32 s22, s38, s4
	s_add_i32 s5, s6, s5
	s_mul_i32 s4, s33, s4
	s_add_i32 s5, s5, s22
	s_add_u32 s4, s18, s4
	s_addc_u32 s5, s19, s5
	s_sub_i32 s8, s8, s39
	s_xor_b32 s6, s13, s35
	s_add_i32 s13, s3, 1
	s_sub_i32 s18, s8, s12
	s_cmp_ge_u32 s8, s12
	s_mul_i32 s38, s38, s26
	s_cselect_b32 s3, s13, s3
	s_cselect_b32 s8, s18, s8
	s_add_i32 s13, s3, 1
	s_cmp_ge_u32 s8, s12
	s_mul_i32 s8, s33, s27
	s_cselect_b32 s3, s13, s3
	s_mul_hi_u32 s12, s33, s26
	s_xor_b32 s3, s3, s6
	v_mul_lo_u32 v3, s17, v1
	s_sub_i32 s3, s3, s6
	v_mul_lo_u32 v7, s16, v1
	s_mul_i32 s13, s3, s23
	s_mul_i32 s6, s33, s26
	s_ashr_i32 s19, s13, 31
	s_add_u32 s18, s4, s13
	s_addc_u32 s19, s5, s19
	s_add_i32 s4, s12, s8
	s_mul_i32 s3, s3, s7
	s_add_i32 s4, s4, s38
	s_add_u32 s5, s20, s6
	s_addc_u32 s4, s21, s4
	s_ashr_i32 s6, s3, 31
	s_add_u32 s20, s5, s3
	s_addc_u32 s21, s4, s6
	s_lshl_b32 s3, s17, 3
	s_lshl_b32 s4, s16, 3
	v_dual_mov_b32 v46, 0 :: v_dual_add_nc_u32 v5, s3, v3
	v_dual_mov_b32 v70, 0 :: v_dual_add_nc_u32 v13, s4, v7
	v_mad_u32_u24 v48, 0x210, v1, v47
	s_delay_alu instid0(VALU_DEP_3) | instskip(SKIP_1) | instid1(VALU_DEP_4)
	v_dual_mov_b32 v40, 32 :: v_dual_add_nc_u32 v9, s3, v5
	v_lshl_add_u32 v55, v1, 9, v47
	v_dual_mov_b32 v72, 0 :: v_dual_add_nc_u32 v1, s4, v13
	s_delay_alu instid0(VALU_DEP_3) | instskip(SKIP_1) | instid1(VALU_DEP_3)
	v_dual_mov_b32 v76, 0 :: v_dual_add_nc_u32 v11, s3, v9
	v_ashrrev_i32_e32 v4, 31, v3
	v_add_nc_u32_e32 v35, s4, v1
	v_ashrrev_i32_e32 v6, 31, v5
	v_ashrrev_i32_e32 v10, 31, v9
	;; [unrolled: 1-line block ×7, first 2 shown]
	v_dual_mov_b32 v75, 0 :: v_dual_lshlrev_b32 v60, 2, v0
	v_lshlrev_b64 v[21:22], 2, v[3:4]
	v_lshlrev_b64 v[23:24], 2, v[5:6]
	;; [unrolled: 1-line block ×8, first 2 shown]
	v_mul_u32_u24_e32 v49, 0x210, v17
	v_dual_mov_b32 v71, 0 :: v_dual_add_nc_u32 v50, 0x1080, v48
	v_dual_mov_b32 v74, 0 :: v_dual_add_nc_u32 v51, 0x2100, v48
	v_dual_mov_b32 v73, 0 :: v_dual_add_nc_u32 v52, 0x3180, v48
	v_lshl_add_u32 v56, v0, 1, v54
	v_add_nc_u32_e32 v57, 0x1000, v55
	v_dual_mov_b32 v61, 0 :: v_dual_add_nc_u32 v58, 0x2000, v55
	v_add_nc_u32_e32 v59, 0x3000, v55
	v_xor_b32_e32 v45, 16, v39
	v_xor_b32_e32 v44, 8, v39
	;; [unrolled: 1-line block ×5, first 2 shown]
	v_dual_mov_b32 v69, 0 :: v_dual_add_nc_u32 v62, 0x800, v60
	v_add_nc_u32_e32 v63, 0x1000, v60
	v_add_nc_u32_e32 v64, 0x1800, v60
	;; [unrolled: 1-line block ×6, first 2 shown]
	v_mov_b32_e32 v19, 0xfeffffff
	s_add_u32 s12, s0, 0xd0
	s_addc_u32 s13, s1, 0
.LBB5_9:                                ; =>This Inner Loop Header: Depth=1
	s_mul_hi_i32 s3, s9, s17
	s_mul_i32 s2, s9, s17
	v_mov_b32_e32 v77, 0
	s_lshl_b64 s[2:3], s[2:3], 2
	v_dual_mov_b32 v78, 0 :: v_dual_add_nc_u32 v79, s9, v20
	s_add_u32 s4, s18, s2
	s_addc_u32 s5, s19, s3
	v_add_co_u32 v0, vcc_lo, s4, v23
	v_add_co_u32 v1, s2, s4, v25
	v_add_co_u32 v2, s3, s4, v27
	;; [unrolled: 1-line block ×3, first 2 shown]
	s_delay_alu instid0(VALU_DEP_1)
	v_add_co_ci_u32_e64 v5, s4, s5, v22, s4
	v_add_co_ci_u32_e32 v6, vcc_lo, s5, v24, vcc_lo
	v_add_co_ci_u32_e64 v7, vcc_lo, s5, v26, s2
	v_add_co_ci_u32_e64 v10, vcc_lo, s5, v28, s3
	v_add_co_u32 v4, vcc_lo, v0, v47
	v_add_co_u32 v0, s4, v3, v47
	v_add_co_u32 v8, s2, v1, v47
	v_add_co_ci_u32_e64 v1, s4, 0, v5, s4
	v_add_co_u32 v12, s3, v2, v47
	v_add_co_ci_u32_e32 v5, vcc_lo, 0, v6, vcc_lo
	v_add_co_ci_u32_e64 v9, vcc_lo, 0, v7, s2
	v_add_co_ci_u32_e64 v13, vcc_lo, 0, v10, s3
	s_clause 0x3
	global_load_b128 v[0:3], v[0:1], off
	global_load_b128 v[4:7], v[4:5], off
	;; [unrolled: 1-line block ×4, first 2 shown]
	v_ashrrev_i32_e32 v80, 31, v79
	v_cmp_gt_i32_e64 s2, 32, v44
	v_cmp_gt_i32_e64 s3, 32, v43
	;; [unrolled: 1-line block ×3, first 2 shown]
	s_mul_hi_i32 s7, s9, s16
	v_lshlrev_b64 v[79:80], 1, v[79:80]
	s_mul_i32 s6, s9, s16
	v_cmp_gt_i32_e64 s5, 32, v41
	v_dual_mov_b32 v81, v18 :: v_dual_mov_b32 v82, v72
	s_waitcnt vmcnt(3)
	ds_store_b128 v48, v[0:3]
	s_waitcnt vmcnt(2)
	ds_store_b128 v50, v[4:7]
	;; [unrolled: 2-line block ×4, first 2 shown]
	s_waitcnt lgkmcnt(0)
	s_barrier
	buffer_gl0_inv
	ds_load_b128 v[0:3], v49
	ds_load_b128 v[4:7], v53
	ds_load_b128 v[8:11], v53 offset:512
	s_waitcnt lgkmcnt(1)
	;;#ASMSTART
	v_dot2_f32_f16 v77, v0, v4, v77
	;;#ASMEND
	;;#ASMSTART
	v_dot2_f32_f16 v77, v1, v5, v77
	;;#ASMEND
	;;#ASMSTART
	v_dot2_f32_f16 v77, v2, v6, v77
	;;#ASMEND
	;;#ASMSTART
	v_dot2_f32_f16 v77, v3, v7, v77
	;;#ASMEND
	s_waitcnt lgkmcnt(0)
	;;#ASMSTART
	v_dot2_f32_f16 v78, v0, v8, v78
	;;#ASMEND
	;;#ASMSTART
	v_dot2_f32_f16 v78, v1, v9, v78
	;;#ASMEND
	;;#ASMSTART
	v_dot2_f32_f16 v78, v2, v10, v78
	;;#ASMEND
	;;#ASMSTART
	v_dot2_f32_f16 v78, v3, v11, v78
	;;#ASMEND
	ds_load_b128 v[0:3], v49 offset:16
	ds_load_b128 v[4:7], v53 offset:16
	ds_load_b128 v[8:11], v53 offset:528
	s_waitcnt lgkmcnt(1)
	;;#ASMSTART
	v_dot2_f32_f16 v77, v0, v4, v77
	;;#ASMEND
	;;#ASMSTART
	v_dot2_f32_f16 v77, v1, v5, v77
	;;#ASMEND
	;;#ASMSTART
	v_dot2_f32_f16 v77, v2, v6, v77
	;;#ASMEND
	;;#ASMSTART
	v_dot2_f32_f16 v77, v3, v7, v77
	;;#ASMEND
	s_waitcnt lgkmcnt(0)
	;;#ASMSTART
	v_dot2_f32_f16 v78, v0, v8, v78
	;;#ASMEND
	;;#ASMSTART
	v_dot2_f32_f16 v78, v1, v9, v78
	;;#ASMEND
	;;#ASMSTART
	v_dot2_f32_f16 v78, v2, v10, v78
	;;#ASMEND
	;;#ASMSTART
	v_dot2_f32_f16 v78, v3, v11, v78
	;;#ASMEND
	ds_load_b128 v[0:3], v49 offset:32
	ds_load_b128 v[4:7], v53 offset:32
	;; [unrolled: 29-line block ×31, first 2 shown]
	ds_load_b128 v[8:11], v53 offset:1008
	v_add_co_u32 v79, vcc_lo, s36, v79
	s_waitcnt lgkmcnt(1)
	;;#ASMSTART
	v_dot2_f32_f16 v77, v0, v4, v77
	;;#ASMEND
	v_add_co_ci_u32_e32 v80, vcc_lo, s37, v80, vcc_lo
	;;#ASMSTART
	v_dot2_f32_f16 v77, v1, v5, v77
	;;#ASMEND
	;;#ASMSTART
	v_dot2_f32_f16 v77, v2, v6, v77
	;;#ASMEND
	;; [unrolled: 3-line block ×3, first 2 shown]
	s_waitcnt lgkmcnt(0)
	;;#ASMSTART
	v_dot2_f32_f16 v78, v0, v8, v78
	;;#ASMEND
	;;#ASMSTART
	v_dot2_f32_f16 v78, v1, v9, v78
	;;#ASMEND
	;; [unrolled: 3-line block ×4, first 2 shown]
	flat_load_u16 v79, v[79:80]
	v_cmp_gt_i32_e32 vcc_lo, 32, v45
	v_cndmask_b32_e64 v1, v39, v44, s2
	v_cndmask_b32_e64 v2, v39, v43, s3
	s_lshl_b64 s[2:3], s[6:7], 2
	v_cndmask_b32_e64 v3, v39, v42, s4
	v_cndmask_b32_e32 v0, v39, v45, vcc_lo
	s_add_u32 s4, s20, s2
	v_cndmask_b32_e64 v4, v39, v41, s5
	s_addc_u32 s5, s21, s3
	v_lshlrev_b32_e32 v85, 2, v3
	v_add_co_u32 v5, vcc_lo, s4, v31
	v_add_co_u32 v6, s2, s4, v33
	v_add_co_u32 v7, s3, s4, v35
	;; [unrolled: 1-line block ×3, first 2 shown]
	s_waitcnt vmcnt(0) lgkmcnt(0)
	s_barrier
	buffer_gl0_inv
	v_dual_mov_b32 v80, v19 :: v_dual_max_f32 v19, v81, v81
	s_delay_alu instid0(VALU_DEP_1) | instskip(SKIP_3) | instid1(VALU_DEP_3)
	v_max_f32_e32 v18, v80, v80
	v_cvt_f32_f16_e32 v79, v79
	v_lshlrev_b32_e32 v83, 2, v1
	v_add_co_ci_u32_e64 v1, s4, s5, v30, s4
	v_dual_add_f32 v77, v77, v79 :: v_dual_lshlrev_b32 v72, 2, v0
	v_lshlrev_b32_e32 v84, 2, v2
	v_add_co_ci_u32_e32 v2, vcc_lo, s5, v32, vcc_lo
	v_add_co_ci_u32_e64 v3, vcc_lo, s5, v34, s2
	v_add_co_ci_u32_e64 v10, vcc_lo, s5, v36, s3
	v_add_co_u32 v0, s4, v9, v47
	v_dual_add_f32 v78, v78, v79 :: v_dual_add_f32 v79, 0x40051340, v77
	v_lshlrev_b32_e32 v86, 2, v4
	v_add_co_u32 v4, vcc_lo, v5, v47
	s_delay_alu instid0(VALU_DEP_3)
	v_add_f32_e32 v87, 0x40051340, v78
	v_add_co_u32 v8, s2, v6, v47
	v_add_co_ci_u32_e64 v1, s4, 0, v1, s4
	v_add_co_u32 v12, s3, v7, v47
	v_add_co_ci_u32_e32 v5, vcc_lo, 0, v2, vcc_lo
	v_add_co_ci_u32_e64 v9, vcc_lo, 0, v3, s2
	v_add_co_ci_u32_e64 v13, vcc_lo, 0, v10, s3
	s_clause 0x3
	global_load_b128 v[0:3], v[0:1], off
	global_load_b128 v[4:7], v[4:5], off
	;; [unrolled: 1-line block ×4, first 2 shown]
	v_max_f32_e32 v19, v19, v79
	v_max_f32_e32 v18, v18, v87
	ds_bpermute_b32 v79, v72, v19
	ds_bpermute_b32 v72, v72, v18
	s_waitcnt lgkmcnt(0)
	v_dual_max_f32 v72, v72, v72 :: v_dual_max_f32 v79, v79, v79
	s_delay_alu instid0(VALU_DEP_1) | instskip(SKIP_4) | instid1(VALU_DEP_1)
	v_dual_max_f32 v18, v18, v72 :: v_dual_max_f32 v19, v19, v79
	ds_bpermute_b32 v79, v83, v18
	ds_bpermute_b32 v72, v83, v19
	s_waitcnt lgkmcnt(0)
	v_max_f32_e32 v72, v72, v72
	v_max_f32_e32 v19, v19, v72
	ds_bpermute_b32 v72, v84, v19
	s_waitcnt lgkmcnt(0)
	v_dual_max_f32 v79, v79, v79 :: v_dual_max_f32 v72, v72, v72
	s_delay_alu instid0(VALU_DEP_1) | instskip(SKIP_4) | instid1(VALU_DEP_1)
	v_dual_max_f32 v18, v18, v79 :: v_dual_max_f32 v19, v19, v72
	ds_bpermute_b32 v79, v84, v18
	ds_bpermute_b32 v72, v85, v19
	s_waitcnt lgkmcnt(0)
	v_dual_max_f32 v79, v79, v79 :: v_dual_max_f32 v72, v72, v72
	v_dual_max_f32 v18, v18, v79 :: v_dual_max_f32 v19, v19, v72
	ds_bpermute_b32 v79, v85, v18
	s_waitcnt lgkmcnt(0)
	v_max_f32_e32 v79, v79, v79
	s_delay_alu instid0(VALU_DEP_1) | instskip(SKIP_3) | instid1(VALU_DEP_1)
	v_max_f32_e32 v72, v18, v79
	ds_bpermute_b32 v18, v86, v19
	s_waitcnt lgkmcnt(0)
	v_max_f32_e32 v18, v18, v18
	v_max_f32_e32 v18, v19, v18
	s_delay_alu instid0(VALU_DEP_1) | instskip(SKIP_4) | instid1(VALU_DEP_3)
	v_sub_f32_e32 v77, v77, v18
	ds_bpermute_b32 v79, v86, v72
	v_mul_f32_e32 v83, 0x3fb8aa3b, v77
	v_cmp_ngt_f32_e64 s2, 0xc2ce8ed0, v77
	v_cmp_nlt_f32_e64 s6, 0x42b17218, v77
	v_fma_f32 v89, 0x3fb8aa3b, v77, -v83
	v_rndne_f32_e32 v90, v83
	s_waitcnt lgkmcnt(0)
	v_max_f32_e32 v79, v79, v79
	s_delay_alu instid0(VALU_DEP_1) | instskip(NEXT) | instid1(VALU_DEP_1)
	v_dual_max_f32 v19, v72, v79 :: v_dual_sub_f32 v72, v81, v18
	v_sub_f32_e32 v78, v78, v19
	s_delay_alu instid0(VALU_DEP_2) | instskip(SKIP_2) | instid1(VALU_DEP_3)
	v_dual_sub_f32 v79, v80, v19 :: v_dual_mul_f32 v80, 0x3fb8aa3b, v72
	v_cmp_ngt_f32_e64 s4, 0xc2ce8ed0, v72
	v_cmp_nlt_f32_e64 s8, 0x42b17218, v72
	v_dual_mul_f32 v81, 0x3fb8aa3b, v78 :: v_dual_mul_f32 v84, 0x3fb8aa3b, v79
	s_delay_alu instid0(VALU_DEP_4) | instskip(SKIP_2) | instid1(VALU_DEP_4)
	v_fma_f32 v85, 0x3fb8aa3b, v72, -v80
	v_rndne_f32_e32 v86, v80
	v_cmp_ngt_f32_e32 vcc_lo, 0xc2ce8ed0, v78
	v_fma_f32 v87, 0x3fb8aa3b, v78, -v81
	v_rndne_f32_e32 v88, v81
	v_cmp_nlt_f32_e64 s5, 0x42b17218, v78
	v_dual_fmac_f32 v85, 0x32a5705f, v72 :: v_dual_sub_f32 v72, v80, v86
	s_delay_alu instid0(VALU_DEP_3) | instskip(SKIP_1) | instid1(VALU_DEP_3)
	v_dual_fmac_f32 v87, 0x32a5705f, v78 :: v_dual_sub_f32 v78, v81, v88
	v_fmac_f32_e32 v89, 0x32a5705f, v77
	v_dual_sub_f32 v77, v83, v90 :: v_dual_add_f32 v72, v72, v85
	v_cvt_i32_f32_e32 v80, v86
	s_delay_alu instid0(VALU_DEP_4) | instskip(SKIP_1) | instid1(VALU_DEP_4)
	v_add_f32_e32 v78, v78, v87
	v_cvt_i32_f32_e32 v81, v88
	v_add_f32_e32 v77, v77, v89
	v_exp_f32_e32 v72, v72
	v_cvt_i32_f32_e32 v83, v90
	v_exp_f32_e32 v78, v78
	v_fma_f32 v91, 0x3fb8aa3b, v79, -v84
	v_exp_f32_e32 v77, v77
	v_rndne_f32_e32 v92, v84
	v_cmp_ngt_f32_e64 s3, 0xc2ce8ed0, v79
	v_cmp_nlt_f32_e64 s7, 0x42b17218, v79
	s_delay_alu instid0(TRANS32_DEP_3) | instskip(NEXT) | instid1(TRANS32_DEP_2)
	v_ldexp_f32 v72, v72, v80
	v_ldexp_f32 v78, v78, v81
	v_fmac_f32_e32 v91, 0x32a5705f, v79
	s_delay_alu instid0(TRANS32_DEP_1) | instskip(NEXT) | instid1(VALU_DEP_4)
	v_ldexp_f32 v77, v77, v83
	v_cndmask_b32_e64 v72, 0, v72, s4
	s_delay_alu instid0(VALU_DEP_4) | instskip(NEXT) | instid1(VALU_DEP_3)
	v_cndmask_b32_e32 v78, 0, v78, vcc_lo
	v_cndmask_b32_e64 v77, 0, v77, s2
	s_delay_alu instid0(VALU_DEP_3) | instskip(NEXT) | instid1(VALU_DEP_3)
	v_cndmask_b32_e64 v72, 0x7f800000, v72, s8
	v_cndmask_b32_e64 v78, 0x7f800000, v78, s5
	v_sub_f32_e32 v79, v84, v92
	s_delay_alu instid0(VALU_DEP_4) | instskip(NEXT) | instid1(VALU_DEP_4)
	v_cndmask_b32_e64 v77, 0x7f800000, v77, s6
	v_cvt_f16_f32_e64 v129, v72
	v_cvt_i32_f32_e32 v84, v92
	v_cvt_f16_f32_e32 v80, v78
	s_delay_alu instid0(VALU_DEP_4) | instskip(SKIP_4) | instid1(VALU_DEP_4)
	v_fma_f32 v46, v46, v72, v77
	v_dual_mov_b32 v72, v78 :: v_dual_add_f32 v79, v79, v91
	v_cvt_f16_f32_e32 v77, v77
	v_pk_mul_f16 v131, v129, v75 op_sel_hi:[0,1]
	v_pk_mul_f16 v132, v129, v76 op_sel_hi:[0,1]
	v_exp_f32_e32 v79, v79
	s_delay_alu instid0(VALU_DEP_3)
	v_pack_b32_f16 v75, v77, v80
	ds_store_b32 v56, v75
	s_waitcnt vmcnt(3)
	ds_store_b128 v55, v[0:3]
	s_waitcnt vmcnt(2)
	ds_store_b128 v57, v[4:7]
	;; [unrolled: 2-line block ×4, first 2 shown]
	v_ldexp_f32 v79, v79, v84
	s_waitcnt lgkmcnt(0)
	s_barrier
	buffer_gl0_inv
	v_cndmask_b32_e64 v79, 0, v79, s3
	s_delay_alu instid0(VALU_DEP_1) | instskip(NEXT) | instid1(VALU_DEP_1)
	v_cndmask_b32_e64 v79, 0x7f800000, v79, s7
	v_cvt_f16_f32_e64 v130, v79
	v_fmac_f32_e32 v72, v82, v79
	s_delay_alu instid0(VALU_DEP_2)
	v_pk_mul_f16 v133, v130, v74 op_sel_hi:[0,1]
	v_pk_mul_f16 v134, v130, v73 op_sel_hi:[0,1]
	;; [unrolled: 1-line block ×3, first 2 shown]
	ds_load_2addr_b64 v[0:3], v60 offset1:32
	ds_load_b128 v[4:7], v54
	ds_load_b128 v[8:11], v54 offset:16
	ds_load_b128 v[12:15], v54 offset:32
	;; [unrolled: 1-line block ×3, first 2 shown]
	ds_load_2addr_b64 v[77:80], v60 offset0:64 offset1:96
	ds_load_2addr_b64 v[81:84], v60 offset0:128 offset1:160
	ds_load_2addr_b64 v[85:88], v60 offset0:192 offset1:224
	ds_load_2addr_b64 v[89:92], v62 offset1:32
	ds_load_2addr_b64 v[93:96], v62 offset0:64 offset1:96
	ds_load_2addr_b64 v[97:100], v62 offset0:128 offset1:160
	ds_load_2addr_b64 v[101:104], v62 offset0:192 offset1:224
	ds_load_2addr_b64 v[105:108], v63 offset1:32
	;; [unrolled: 4-line block ×3, first 2 shown]
	ds_load_2addr_b64 v[125:128], v64 offset0:64 offset1:96
	s_waitcnt lgkmcnt(16)
	v_pk_mul_f16 v135, v0, v4 op_sel_hi:[1,0]
	v_pk_mul_f16 v0, v0, v4 op_sel:[0,1]
	v_pk_fma_f16 v133, v1, v4, v133 op_sel:[0,1,0]
	v_pk_fma_f16 v136, v2, v4, v131 op_sel_hi:[1,0,1]
	v_pk_fma_f16 v134, v2, v4, v134 op_sel:[0,1,0]
	v_pk_fma_f16 v137, v3, v4, v132 op_sel_hi:[1,0,1]
	v_pk_fma_f16 v71, v3, v4, v71 op_sel:[0,1,0]
	v_pk_mul_f16 v4, v1, v4 op_sel_hi:[1,0]
	v_pk_fma_f16 v61, v130, v61, v0 op_sel_hi:[0,1,1]
	v_pk_fma_f16 v69, v129, v69, v135 op_sel_hi:[0,1,1]
	s_waitcnt lgkmcnt(12)
	v_pk_fma_f16 v134, v79, v5, v134 op_sel:[0,1,0]
	v_pk_fma_f16 v135, v80, v5, v137 op_sel_hi:[1,0,1]
	v_pk_fma_f16 v4, v129, v70, v4 op_sel_hi:[0,1,1]
	v_pk_fma_f16 v70, v78, v5, v133 op_sel:[0,1,0]
	v_pk_fma_f16 v133, v79, v5, v136 op_sel_hi:[1,0,1]
	v_pk_fma_f16 v71, v80, v5, v71 op_sel:[0,1,0]
	v_pk_fma_f16 v69, v77, v5, v69 op_sel_hi:[1,0,1]
	v_pk_fma_f16 v61, v77, v5, v61 op_sel:[0,1,0]
	v_pk_fma_f16 v4, v78, v5, v4 op_sel_hi:[1,0,1]
	s_waitcnt lgkmcnt(11)
	v_pk_fma_f16 v5, v82, v6, v70 op_sel:[0,1,0]
	v_pk_fma_f16 v70, v83, v6, v133 op_sel_hi:[1,0,1]
	v_pk_fma_f16 v133, v83, v6, v134 op_sel:[0,1,0]
	v_pk_fma_f16 v134, v84, v6, v135 op_sel_hi:[1,0,1]
	v_pk_fma_f16 v71, v84, v6, v71 op_sel:[0,1,0]
	v_pk_fma_f16 v69, v81, v6, v69 op_sel_hi:[1,0,1]
	v_pk_fma_f16 v61, v81, v6, v61 op_sel:[0,1,0]
	v_pk_fma_f16 v4, v82, v6, v4 op_sel_hi:[1,0,1]
	s_waitcnt lgkmcnt(10)
	v_pk_fma_f16 v135, v86, v7, v5 op_sel:[0,1,0]
	;; [unrolled: 9-line block ×8, first 2 shown]
	v_pk_fma_f16 v70, v111, v13, v70 op_sel_hi:[1,0,1]
	v_pk_fma_f16 v133, v111, v13, v133 op_sel:[0,1,0]
	v_pk_fma_f16 v134, v112, v13, v134 op_sel_hi:[1,0,1]
	v_pk_fma_f16 v71, v112, v13, v71 op_sel:[0,1,0]
	v_pk_fma_f16 v69, v109, v13, v69 op_sel_hi:[1,0,1]
	v_pk_fma_f16 v61, v109, v13, v61 op_sel:[0,1,0]
	v_pk_fma_f16 v12, v110, v13, v12 op_sel_hi:[1,0,1]
	ds_load_2addr_b64 v[0:3], v64 offset0:128 offset1:160
	s_waitcnt lgkmcnt(4)
	v_pk_fma_f16 v13, v114, v14, v135 op_sel:[0,1,0]
	v_pk_fma_f16 v70, v115, v14, v70 op_sel_hi:[1,0,1]
	v_pk_fma_f16 v133, v115, v14, v133 op_sel:[0,1,0]
	v_pk_fma_f16 v134, v116, v14, v134 op_sel_hi:[1,0,1]
	;; [unrolled: 2-line block ×4, first 2 shown]
	ds_load_2addr_b64 v[129:132], v64 offset0:192 offset1:224
	s_waitcnt lgkmcnt(4)
	v_pk_fma_f16 v135, v118, v15, v13 op_sel:[0,1,0]
	v_pk_fma_f16 v70, v119, v15, v70 op_sel_hi:[1,0,1]
	v_pk_fma_f16 v133, v119, v15, v133 op_sel:[0,1,0]
	v_pk_fma_f16 v134, v120, v15, v134 op_sel_hi:[1,0,1]
	;; [unrolled: 2-line block ×4, first 2 shown]
	ds_load_2addr_b64 v[77:80], v65 offset1:32
	ds_load_2addr_b64 v[81:84], v65 offset0:64 offset1:96
	ds_load_2addr_b64 v[4:7], v65 offset0:128 offset1:160
	;; [unrolled: 1-line block ×3, first 2 shown]
	ds_load_b128 v[93:96], v54 offset:64
	ds_load_b128 v[97:100], v54 offset:80
	s_waitcnt lgkmcnt(9)
	v_pk_fma_f16 v135, v122, v73, v135 op_sel:[0,1,0]
	v_pk_fma_f16 v70, v123, v73, v70 op_sel_hi:[1,0,1]
	v_pk_fma_f16 v133, v123, v73, v133 op_sel:[0,1,0]
	v_pk_fma_f16 v134, v124, v73, v134 op_sel_hi:[1,0,1]
	v_pk_fma_f16 v71, v124, v73, v71 op_sel:[0,1,0]
	v_pk_fma_f16 v69, v121, v73, v69 op_sel_hi:[1,0,1]
	v_pk_fma_f16 v61, v121, v73, v61 op_sel:[0,1,0]
	v_pk_fma_f16 v73, v122, v73, v136 op_sel_hi:[1,0,1]
	s_waitcnt lgkmcnt(8)
	v_pk_fma_f16 v135, v126, v74, v135 op_sel:[0,1,0]
	v_pk_fma_f16 v70, v127, v74, v70 op_sel_hi:[1,0,1]
	v_pk_fma_f16 v133, v127, v74, v133 op_sel:[0,1,0]
	v_pk_fma_f16 v134, v128, v74, v134 op_sel_hi:[1,0,1]
	v_pk_fma_f16 v71, v128, v74, v71 op_sel:[0,1,0]
	v_pk_fma_f16 v69, v125, v74, v69 op_sel_hi:[1,0,1]
	v_pk_fma_f16 v61, v125, v74, v61 op_sel:[0,1,0]
	v_pk_fma_f16 v73, v126, v74, v73 op_sel_hi:[1,0,1]
	;; [unrolled: 9-line block ×4, first 2 shown]
	ds_load_2addr_b64 v[89:92], v66 offset1:32
	s_waitcnt lgkmcnt(2)
	v_pk_fma_f16 v135, v78, v93, v135 op_sel:[0,1,0]
	v_pk_fma_f16 v70, v79, v93, v70 op_sel_hi:[1,0,1]
	v_pk_fma_f16 v133, v79, v93, v133 op_sel:[0,1,0]
	v_pk_fma_f16 v134, v80, v93, v134 op_sel_hi:[1,0,1]
	;; [unrolled: 2-line block ×8, first 2 shown]
	ds_load_2addr_b64 v[8:11], v66 offset0:64 offset1:96
	ds_load_2addr_b64 v[101:104], v66 offset0:128 offset1:160
	v_pk_fma_f16 v82, v5, v95, v135 op_sel:[0,1,0]
	v_pk_fma_f16 v70, v6, v95, v70 op_sel_hi:[1,0,1]
	v_pk_fma_f16 v6, v6, v95, v83 op_sel:[0,1,0]
	v_pk_fma_f16 v83, v7, v95, v133 op_sel_hi:[1,0,1]
	;; [unrolled: 2-line block ×4, first 2 shown]
	ds_load_2addr_b64 v[105:108], v66 offset0:192 offset1:224
	v_pk_fma_f16 v61, v86, v96, v82 op_sel:[0,1,0]
	v_pk_fma_f16 v70, v87, v96, v70 op_sel_hi:[1,0,1]
	v_pk_fma_f16 v6, v87, v96, v6 op_sel:[0,1,0]
	v_pk_fma_f16 v71, v88, v96, v83 op_sel_hi:[1,0,1]
	;; [unrolled: 2-line block ×4, first 2 shown]
	ds_load_2addr_b64 v[109:112], v67 offset1:32
	ds_load_2addr_b64 v[113:116], v67 offset0:64 offset1:96
	ds_load_2addr_b64 v[12:15], v67 offset0:128 offset1:160
	;; [unrolled: 1-line block ×3, first 2 shown]
	ds_load_b128 v[125:128], v54 offset:96
	ds_load_b128 v[0:3], v54 offset:112
	s_waitcnt lgkmcnt(9)
	v_pk_fma_f16 v61, v90, v97, v61 op_sel:[0,1,0]
	v_pk_fma_f16 v70, v91, v97, v70 op_sel_hi:[1,0,1]
	v_pk_fma_f16 v6, v91, v97, v6 op_sel:[0,1,0]
	v_pk_fma_f16 v71, v92, v97, v71 op_sel_hi:[1,0,1]
	v_pk_fma_f16 v7, v92, v97, v7 op_sel:[0,1,0]
	v_pk_fma_f16 v69, v89, v97, v69 op_sel_hi:[1,0,1]
	v_pk_fma_f16 v4, v89, v97, v4 op_sel:[0,1,0]
	v_pk_fma_f16 v5, v90, v97, v5 op_sel_hi:[1,0,1]
	s_waitcnt lgkmcnt(8)
	v_pk_fma_f16 v61, v9, v98, v61 op_sel:[0,1,0]
	v_pk_fma_f16 v70, v10, v98, v70 op_sel_hi:[1,0,1]
	v_pk_fma_f16 v6, v10, v98, v6 op_sel:[0,1,0]
	v_pk_fma_f16 v10, v11, v98, v71 op_sel_hi:[1,0,1]
	v_pk_fma_f16 v7, v11, v98, v7 op_sel:[0,1,0]
	v_pk_fma_f16 v11, v8, v98, v69 op_sel_hi:[1,0,1]
	v_pk_fma_f16 v4, v8, v98, v4 op_sel:[0,1,0]
	v_pk_fma_f16 v5, v9, v98, v5 op_sel_hi:[1,0,1]
	;; [unrolled: 9-line block ×4, first 2 shown]
	ds_load_2addr_b64 v[121:124], v68 offset1:32
	s_waitcnt lgkmcnt(2)
	v_pk_fma_f16 v8, v110, v125, v8 op_sel:[0,1,0]
	v_pk_fma_f16 v9, v111, v125, v9 op_sel_hi:[1,0,1]
	v_pk_fma_f16 v6, v111, v125, v6 op_sel:[0,1,0]
	v_pk_fma_f16 v10, v112, v125, v10 op_sel_hi:[1,0,1]
	;; [unrolled: 2-line block ×8, first 2 shown]
	ds_load_2addr_b64 v[73:76], v68 offset0:64 offset1:96
	ds_load_2addr_b64 v[129:132], v68 offset0:128 offset1:160
	v_pk_fma_f16 v8, v13, v127, v8 op_sel:[0,1,0]
	v_pk_fma_f16 v9, v14, v127, v9 op_sel_hi:[1,0,1]
	v_pk_fma_f16 v6, v14, v127, v6 op_sel:[0,1,0]
	v_pk_fma_f16 v10, v15, v127, v10 op_sel_hi:[1,0,1]
	;; [unrolled: 2-line block ×4, first 2 shown]
	ds_load_2addr_b64 v[77:80], v68 offset0:192 offset1:224
	s_waitcnt lgkmcnt(0)
	s_barrier
	buffer_gl0_inv
	s_load_b32 s2, s[12:13], 0x4
	v_pk_fma_f16 v8, v118, v128, v8 op_sel:[0,1,0]
	v_pk_fma_f16 v9, v119, v128, v9 op_sel_hi:[1,0,1]
	v_pk_fma_f16 v6, v119, v128, v6 op_sel:[0,1,0]
	v_pk_fma_f16 v10, v120, v128, v10 op_sel_hi:[1,0,1]
	;; [unrolled: 2-line block ×16, first 2 shown]
	s_waitcnt lgkmcnt(0)
	s_lshl_b32 s2, s2, 5
	v_pk_fma_f16 v74, v78, v3, v1 op_sel:[0,1,0]
	v_pk_fma_f16 v75, v79, v3, v5 op_sel_hi:[1,0,1]
	v_pk_fma_f16 v73, v79, v3, v6 op_sel:[0,1,0]
	v_pk_fma_f16 v76, v80, v3, v8 op_sel_hi:[1,0,1]
	;; [unrolled: 2-line block ×4, first 2 shown]
	s_add_i32 s9, s2, s9
	s_delay_alu instid0(SALU_CYCLE_1)
	s_cmp_ge_i32 s9, s34
	s_cbranch_scc0 .LBB5_9
; %bb.10:
	v_mov_b32_e32 v3, v39
.LBB5_11:
	v_cmp_lt_i32_e32 vcc_lo, v45, v40
	s_cmp_lg_u64 s[24:25], 0
	s_cselect_b32 s2, -1, 0
	s_cmp_eq_u32 s14, 0
	v_cndmask_b32_e32 v0, v3, v45, vcc_lo
	v_cmp_lt_i32_e32 vcc_lo, v44, v40
	s_cselect_b32 s3, -1, 0
	s_delay_alu instid0(SALU_CYCLE_1) | instskip(NEXT) | instid1(VALU_DEP_2)
	s_and_b32 s2, s3, s2
	v_lshlrev_b32_e32 v0, 2, v0
	v_cndmask_b32_e32 v2, v3, v44, vcc_lo
	v_cmp_lt_i32_e32 vcc_lo, v43, v40
	ds_bpermute_b32 v1, v0, v46
	v_cndmask_b32_e32 v5, v3, v43, vcc_lo
	v_cmp_lt_i32_e32 vcc_lo, v42, v40
	s_delay_alu instid0(VALU_DEP_2)
	v_lshlrev_b32_e32 v5, 2, v5
	s_waitcnt lgkmcnt(0)
	v_dual_add_f32 v1, v46, v1 :: v_dual_lshlrev_b32 v2, 2, v2
	ds_bpermute_b32 v0, v0, v72
	ds_bpermute_b32 v4, v2, v1
	s_waitcnt lgkmcnt(1)
	v_add_f32_e32 v0, v72, v0
	s_waitcnt lgkmcnt(0)
	v_add_f32_e32 v1, v1, v4
	ds_bpermute_b32 v2, v2, v0
	s_waitcnt lgkmcnt(0)
	v_add_f32_e32 v0, v0, v2
	ds_bpermute_b32 v2, v5, v1
	ds_bpermute_b32 v4, v5, v0
	v_cndmask_b32_e32 v5, v3, v42, vcc_lo
	v_cmp_lt_i32_e32 vcc_lo, v41, v40
	s_delay_alu instid0(VALU_DEP_2)
	v_lshlrev_b32_e32 v5, 2, v5
	v_cndmask_b32_e32 v3, v3, v41, vcc_lo
	s_and_b32 vcc_lo, exec_lo, s2
	s_waitcnt lgkmcnt(0)
	v_add_f32_e32 v0, v0, v4
	ds_bpermute_b32 v4, v5, v0
	v_add_f32_e32 v1, v1, v2
	ds_bpermute_b32 v2, v5, v1
	s_waitcnt lgkmcnt(0)
	v_dual_add_f32 v1, v1, v2 :: v_dual_add_f32 v2, v0, v4
	v_lshlrev_b32_e32 v3, 2, v3
	ds_bpermute_b32 v0, v3, v1
	s_waitcnt lgkmcnt(0)
	v_add_f32_e32 v0, v1, v0
	ds_bpermute_b32 v3, v3, v2
	s_waitcnt lgkmcnt(0)
	v_add_f32_e32 v1, v2, v3
	s_cbranch_vccz .LBB5_14
; %bb.12:
	v_add_nc_u32_e32 v2, s15, v38
	v_max_f32_e32 v4, v18, v18
	v_max_f32_e32 v6, v19, v19
	s_delay_alu instid0(VALU_DEP_3) | instskip(NEXT) | instid1(VALU_DEP_1)
	v_ashrrev_i32_e32 v3, 31, v2
	v_lshlrev_b64 v[2:3], 2, v[2:3]
	s_delay_alu instid0(VALU_DEP_1) | instskip(NEXT) | instid1(VALU_DEP_2)
	v_add_co_u32 v2, vcc_lo, s24, v2
	v_add_co_ci_u32_e32 v3, vcc_lo, s25, v3, vcc_lo
	global_load_b64 v[2:3], v[2:3], off
	s_waitcnt vmcnt(0)
	v_max_f32_e32 v5, v2, v2
	s_delay_alu instid0(VALU_DEP_1) | instskip(NEXT) | instid1(VALU_DEP_1)
	v_dual_max_f32 v7, v3, v3 :: v_dual_max_f32 v4, v4, v5
	v_max_f32_e32 v5, v6, v7
	s_delay_alu instid0(VALU_DEP_1) | instskip(SKIP_1) | instid1(VALU_DEP_2)
	v_dual_sub_f32 v6, v18, v4 :: v_dual_sub_f32 v3, v3, v5
	v_dual_sub_f32 v2, v2, v4 :: v_dual_sub_f32 v7, v19, v5
	v_cmp_ngt_f32_e32 vcc_lo, 0xc2ce8ed0, v6
	s_delay_alu instid0(VALU_DEP_3) | instskip(NEXT) | instid1(VALU_DEP_3)
	v_mul_f32_e32 v11, 0x3fb8aa3b, v3
	v_dual_mul_f32 v9, 0x3fb8aa3b, v2 :: v_dual_mul_f32 v10, 0x3fb8aa3b, v7
	s_delay_alu instid0(VALU_DEP_2) | instskip(NEXT) | instid1(VALU_DEP_2)
	v_fma_f32 v20, 0x3fb8aa3b, v3, -v11
	v_rndne_f32_e32 v15, v9
	v_mul_f32_e32 v8, 0x3fb8aa3b, v6
	v_fma_f32 v14, 0x3fb8aa3b, v2, -v9
	v_rndne_f32_e32 v21, v11
	v_fmac_f32_e32 v20, 0x32a5705f, v3
	v_sub_f32_e32 v9, v9, v15
	v_fma_f32 v12, 0x3fb8aa3b, v6, -v8
	v_rndne_f32_e32 v13, v8
	v_dual_sub_f32 v11, v11, v21 :: v_dual_fmac_f32 v14, 0x32a5705f, v2
	v_fma_f32 v18, 0x3fb8aa3b, v7, -v10
	s_delay_alu instid0(VALU_DEP_4) | instskip(SKIP_1) | instid1(VALU_DEP_4)
	v_fmac_f32_e32 v12, 0x32a5705f, v6
	v_rndne_f32_e32 v19, v10
	v_dual_add_f32 v11, v11, v20 :: v_dual_sub_f32 v8, v8, v13
	s_delay_alu instid0(VALU_DEP_2) | instskip(NEXT) | instid1(VALU_DEP_2)
	v_dual_add_f32 v9, v9, v14 :: v_dual_sub_f32 v10, v10, v19
	v_exp_f32_e32 v11, v11
	s_delay_alu instid0(VALU_DEP_2) | instskip(NEXT) | instid1(VALU_DEP_2)
	v_add_f32_e32 v8, v8, v12
	v_exp_f32_e32 v9, v9
	v_cvt_i32_f32_e32 v12, v13
	v_cvt_i32_f32_e32 v13, v15
	v_cvt_i32_f32_e32 v14, v19
	v_exp_f32_e32 v8, v8
	v_cvt_i32_f32_e32 v15, v21
	s_waitcnt_depctr 0xfff
	v_ldexp_f32 v9, v9, v13
	v_ldexp_f32 v11, v11, v15
	;; [unrolled: 1-line block ×3, first 2 shown]
	s_delay_alu instid0(VALU_DEP_1) | instskip(SKIP_2) | instid1(VALU_DEP_1)
	v_cndmask_b32_e32 v8, 0, v8, vcc_lo
	v_cmp_ngt_f32_e32 vcc_lo, 0xc2ce8ed0, v2
	v_dual_fmac_f32 v18, 0x32a5705f, v7 :: v_dual_cndmask_b32 v9, 0, v9
	v_add_f32_e32 v10, v10, v18
	v_cmp_ngt_f32_e32 vcc_lo, 0xc2ce8ed0, v7
	v_dual_mov_b32 v19, v5 :: v_dual_mov_b32 v18, v4
	s_delay_alu instid0(VALU_DEP_3) | instskip(SKIP_2) | instid1(VALU_DEP_1)
	v_exp_f32_e32 v10, v10
	s_waitcnt_depctr 0xfff
	v_ldexp_f32 v10, v10, v14
	v_cndmask_b32_e32 v10, 0, v10, vcc_lo
	v_cmp_ngt_f32_e32 vcc_lo, 0xc2ce8ed0, v3
	v_cndmask_b32_e32 v11, 0, v11, vcc_lo
	v_cmp_nlt_f32_e32 vcc_lo, 0x42b17218, v6
	v_cndmask_b32_e32 v6, 0x7f800000, v8, vcc_lo
	v_cmp_nlt_f32_e32 vcc_lo, 0x42b17218, v2
	s_delay_alu instid0(VALU_DEP_2) | instskip(SKIP_2) | instid1(VALU_DEP_3)
	v_cvt_f16_f32_e32 v8, v6
	v_cndmask_b32_e32 v2, 0x7f800000, v9, vcc_lo
	v_cmp_nlt_f32_e32 vcc_lo, 0x42b17218, v7
	v_pk_mul_f16 v69, v8, v69 op_sel_hi:[0,1]
	s_delay_alu instid0(VALU_DEP_3)
	v_fmac_f32_e32 v2, v0, v6
	v_cndmask_b32_e32 v7, 0x7f800000, v10, vcc_lo
	v_cmp_nlt_f32_e32 vcc_lo, 0x42b17218, v3
	v_pk_mul_f16 v70, v8, v70 op_sel_hi:[0,1]
	v_pk_mul_f16 v75, v8, v75 op_sel_hi:[0,1]
	;; [unrolled: 1-line block ×3, first 2 shown]
	v_cvt_f16_f32_e32 v0, v7
	v_cndmask_b32_e32 v3, 0x7f800000, v11, vcc_lo
	s_delay_alu instid0(VALU_DEP_2) | instskip(NEXT) | instid1(VALU_DEP_2)
	v_pk_mul_f16 v61, v0, v61 op_sel_hi:[0,1]
	v_fmac_f32_e32 v3, v1, v7
	v_pk_mul_f16 v74, v0, v74 op_sel_hi:[0,1]
	v_pk_mul_f16 v73, v0, v73 op_sel_hi:[0,1]
	;; [unrolled: 1-line block ×3, first 2 shown]
	s_delay_alu instid0(VALU_DEP_4)
	v_dual_mov_b32 v0, v2 :: v_dual_mov_b32 v1, v3
	s_mov_b32 s2, exec_lo
	v_cmpx_gt_i32_e64 s10, v16
	s_cbranch_execnz .LBB5_15
.LBB5_13:
	s_nop 0
	s_sendmsg sendmsg(MSG_DEALLOC_VGPRS)
	s_endpgm
.LBB5_14:
	s_delay_alu instid0(VALU_DEP_1)
	v_dual_mov_b32 v3, v1 :: v_dual_mov_b32 v2, v0
	s_mov_b32 s2, exec_lo
	v_cmpx_gt_i32_e64 s10, v16
	s_cbranch_execz .LBB5_13
.LBB5_15:
	s_load_b32 s1, s[0:1], 0xd4
	v_mov_b32_e32 v6, 1.0
	s_waitcnt lgkmcnt(0)
	s_cmp_lg_u32 s1, 1
	s_cselect_b32 s3, -1, 0
	s_cmp_eq_u32 s1, 1
	s_cselect_b32 s2, -1, 0
	s_and_b32 vcc_lo, exec_lo, s3
	s_cbranch_vccnz .LBB5_17
; %bb.16:
	v_div_scale_f32 v4, null, v0, v0, 1.0
	s_delay_alu instid0(VALU_DEP_1) | instskip(SKIP_2) | instid1(VALU_DEP_1)
	v_rcp_f32_e32 v5, v4
	s_waitcnt_depctr 0xfff
	v_fma_f32 v6, -v4, v5, 1.0
	v_fmac_f32_e32 v5, v6, v5
	v_div_scale_f32 v6, vcc_lo, 1.0, v0, 1.0
	s_delay_alu instid0(VALU_DEP_1) | instskip(NEXT) | instid1(VALU_DEP_1)
	v_mul_f32_e32 v7, v6, v5
	v_fma_f32 v8, -v4, v7, v6
	s_delay_alu instid0(VALU_DEP_1) | instskip(NEXT) | instid1(VALU_DEP_1)
	v_fmac_f32_e32 v7, v8, v5
	v_fma_f32 v4, -v4, v7, v6
	s_delay_alu instid0(VALU_DEP_1) | instskip(NEXT) | instid1(VALU_DEP_1)
	v_div_fmas_f32 v4, v4, v5, v7
	v_div_fixup_f32 v6, v4, v0, 1.0
.LBB5_17:
	v_mad_u64_u32 v[4:5], null, s33, s10, v[16:17]
	v_lshrrev_b32_e32 v7, 16, v70
	v_cvt_f32_f16_e32 v8, v70
	v_lshrrev_b32_e32 v10, 16, v69
	v_mov_b32_e32 v16, 0
	v_lshrrev_b32_e32 v12, 16, v76
	v_cmp_eq_u32_e32 vcc_lo, 0, v17
	v_mul_f32_e32 v9, v6, v8
	v_mul_lo_u32 v0, v4, s11
	v_cvt_f32_f16_e32 v11, v69
	v_cvt_f32_f16_e32 v14, v75
	;; [unrolled: 1-line block ×5, first 2 shown]
	v_mul_f32_e32 v7, v6, v11
	v_mul_f32_e32 v11, v6, v14
	v_add3_u32 v0, s15, v38, v0
	v_mul_f32_e32 v8, v6, v8
	v_mul_f32_e32 v14, v6, v12
	;; [unrolled: 1-line block ×3, first 2 shown]
	s_delay_alu instid0(VALU_DEP_4) | instskip(SKIP_2) | instid1(VALU_DEP_2)
	v_mad_u64_u32 v[4:5], null, s1, v0, s[14:15]
	v_cvt_f32_f16_e32 v0, v76
	v_lshrrev_b32_e32 v5, 16, v75
	v_mul_f32_e32 v13, v6, v0
	s_delay_alu instid0(VALU_DEP_4) | instskip(NEXT) | instid1(VALU_DEP_3)
	v_lshl_add_u32 v15, v4, 8, v37
	v_cvt_f32_f16_e32 v0, v5
	s_delay_alu instid0(VALU_DEP_2) | instskip(NEXT) | instid1(VALU_DEP_2)
	v_lshlrev_b64 v[20:21], 2, v[15:16]
	v_dual_mul_f32 v12, v6, v0 :: v_dual_add_nc_u32 v15, 0x80, v15
	s_delay_alu instid0(VALU_DEP_1) | instskip(NEXT) | instid1(VALU_DEP_3)
	v_lshlrev_b64 v[5:6], 2, v[15:16]
	v_add_co_u32 v15, s0, s28, v20
	s_delay_alu instid0(VALU_DEP_1) | instskip(NEXT) | instid1(VALU_DEP_3)
	v_add_co_ci_u32_e64 v16, s0, s29, v21, s0
	v_add_co_u32 v5, s0, s28, v5
	s_delay_alu instid0(VALU_DEP_1)
	v_add_co_ci_u32_e64 v6, s0, s29, v6, s0
	s_and_b32 s0, vcc_lo, s3
	s_clause 0x1
	global_store_b128 v[15:16], v[7:10], off
	global_store_b128 v[5:6], v[11:14], off
	s_and_saveexec_b32 s3, s0
	s_cbranch_execz .LBB5_19
; %bb.18:
	v_ashrrev_i32_e32 v5, 31, v4
	v_mov_b32_e32 v7, v18
	v_mov_b32_e32 v8, v2
	s_delay_alu instid0(VALU_DEP_3) | instskip(NEXT) | instid1(VALU_DEP_1)
	v_lshlrev_b64 v[5:6], 3, v[4:5]
	v_add_co_u32 v5, vcc_lo, s30, v5
	s_delay_alu instid0(VALU_DEP_2)
	v_add_co_ci_u32_e32 v6, vcc_lo, s31, v6, vcc_lo
	global_store_b64 v[5:6], v[7:8], off
.LBB5_19:
	s_or_b32 exec_lo, exec_lo, s3
	v_mov_b32_e32 v2, 1.0
	s_and_not1_b32 vcc_lo, exec_lo, s2
	s_cbranch_vccnz .LBB5_21
; %bb.20:
	v_div_scale_f32 v0, null, v1, v1, 1.0
	s_delay_alu instid0(VALU_DEP_1) | instskip(SKIP_2) | instid1(VALU_DEP_1)
	v_rcp_f32_e32 v2, v0
	s_waitcnt_depctr 0xfff
	v_fma_f32 v5, -v0, v2, 1.0
	v_fmac_f32_e32 v2, v5, v2
	v_div_scale_f32 v5, vcc_lo, 1.0, v1, 1.0
	s_delay_alu instid0(VALU_DEP_1) | instskip(NEXT) | instid1(VALU_DEP_1)
	v_mul_f32_e32 v6, v5, v2
	v_fma_f32 v7, -v0, v6, v5
	s_delay_alu instid0(VALU_DEP_1) | instskip(NEXT) | instid1(VALU_DEP_1)
	v_fmac_f32_e32 v6, v7, v2
	v_fma_f32 v0, -v0, v6, v5
	s_delay_alu instid0(VALU_DEP_1) | instskip(NEXT) | instid1(VALU_DEP_1)
	v_div_fmas_f32 v0, v0, v2, v6
	v_div_fixup_f32 v2, v0, v1, 1.0
.LBB5_21:
	v_lshrrev_b32_e32 v1, 16, v74
	v_dual_mov_b32 v9, 0 :: v_dual_add_nc_u32 v0, s1, v4
	v_lshrrev_b32_e32 v4, 16, v61
	v_lshrrev_b32_e32 v14, 16, v73
	s_delay_alu instid0(VALU_DEP_4) | instskip(NEXT) | instid1(VALU_DEP_4)
	v_cvt_f32_f16_e32 v1, v1
	v_lshl_add_u32 v8, v0, 8, v37
	v_cvt_f32_f16_e32 v5, v74
	v_cvt_f32_f16_e32 v4, v4
	;; [unrolled: 1-line block ×3, first 2 shown]
	v_mul_f32_e32 v7, v2, v1
	v_lshlrev_b64 v[10:11], 2, v[8:9]
	v_add_nc_u32_e32 v8, 0x80, v8
	v_lshrrev_b32_e32 v1, 16, v71
	v_cvt_f32_f16_e32 v16, v14
	v_mul_f32_e32 v6, v2, v5
	v_mul_f32_e32 v5, v2, v4
	v_lshlrev_b64 v[14:15], 2, v[8:9]
	v_cvt_f32_f16_e32 v1, v1
	v_mul_f32_e32 v4, v2, v12
	v_add_co_u32 v12, vcc_lo, s28, v10
	v_cvt_f32_f16_e32 v10, v71
	v_cvt_f32_f16_e32 v17, v73
	v_add_co_ci_u32_e32 v13, vcc_lo, s29, v11, vcc_lo
	v_mul_f32_e32 v11, v2, v1
	v_add_co_u32 v1, vcc_lo, s28, v14
	v_mul_f32_e32 v10, v2, v10
	v_mul_f32_e32 v9, v2, v16
	v_mul_f32_e32 v8, v2, v17
	v_add_co_ci_u32_e32 v2, vcc_lo, s29, v15, vcc_lo
	s_clause 0x1
	global_store_b128 v[12:13], v[4:7], off
	global_store_b128 v[1:2], v[8:11], off
	s_and_b32 exec_lo, exec_lo, s0
	s_cbranch_execz .LBB5_13
; %bb.22:
	v_ashrrev_i32_e32 v1, 31, v0
	v_mov_b32_e32 v2, v19
	s_delay_alu instid0(VALU_DEP_2) | instskip(NEXT) | instid1(VALU_DEP_1)
	v_lshlrev_b64 v[0:1], 3, v[0:1]
	v_add_co_u32 v0, vcc_lo, s30, v0
	s_delay_alu instid0(VALU_DEP_2)
	v_add_co_ci_u32_e32 v1, vcc_lo, s31, v1, vcc_lo
	global_store_b64 v[0:1], v[2:3], off
	s_nop 0
	s_sendmsg sendmsg(MSG_DEALLOC_VGPRS)
	s_endpgm
	.section	.rodata,"a",@progbits
	.p2align	6, 0x0
	.amdhsa_kernel _ZL15flash_attn_tileILi256ELi256ELi2ELi8ELb0EEvPKcS1_S1_S1_S1_PKiPfP15HIP_vector_typeIfLj2EEffffjfiS5_IjLj3EEiiiiiiiiiiiliiliiiiil
		.amdhsa_group_segment_fixed_size 26112
		.amdhsa_private_segment_fixed_size 0
		.amdhsa_kernarg_size 464
		.amdhsa_user_sgpr_count 13
		.amdhsa_user_sgpr_dispatch_ptr 0
		.amdhsa_user_sgpr_queue_ptr 0
		.amdhsa_user_sgpr_kernarg_segment_ptr 1
		.amdhsa_user_sgpr_dispatch_id 0
		.amdhsa_user_sgpr_private_segment_size 0
		.amdhsa_wavefront_size32 1
		.amdhsa_uses_dynamic_stack 0
		.amdhsa_enable_private_segment 0
		.amdhsa_system_sgpr_workgroup_id_x 1
		.amdhsa_system_sgpr_workgroup_id_y 1
		.amdhsa_system_sgpr_workgroup_id_z 1
		.amdhsa_system_sgpr_workgroup_info 0
		.amdhsa_system_vgpr_workitem_id 1
		.amdhsa_next_free_vgpr 138
		.amdhsa_next_free_sgpr 40
		.amdhsa_reserve_vcc 1
		.amdhsa_float_round_mode_32 0
		.amdhsa_float_round_mode_16_64 0
		.amdhsa_float_denorm_mode_32 3
		.amdhsa_float_denorm_mode_16_64 3
		.amdhsa_dx10_clamp 1
		.amdhsa_ieee_mode 1
		.amdhsa_fp16_overflow 0
		.amdhsa_workgroup_processor_mode 1
		.amdhsa_memory_ordered 1
		.amdhsa_forward_progress 0
		.amdhsa_shared_vgpr_count 0
		.amdhsa_exception_fp_ieee_invalid_op 0
		.amdhsa_exception_fp_denorm_src 0
		.amdhsa_exception_fp_ieee_div_zero 0
		.amdhsa_exception_fp_ieee_overflow 0
		.amdhsa_exception_fp_ieee_underflow 0
		.amdhsa_exception_fp_ieee_inexact 0
		.amdhsa_exception_int_div_zero 0
	.end_amdhsa_kernel
	.section	.text._ZL15flash_attn_tileILi256ELi256ELi2ELi8ELb0EEvPKcS1_S1_S1_S1_PKiPfP15HIP_vector_typeIfLj2EEffffjfiS5_IjLj3EEiiiiiiiiiiiliiliiiiil,"axG",@progbits,_ZL15flash_attn_tileILi256ELi256ELi2ELi8ELb0EEvPKcS1_S1_S1_S1_PKiPfP15HIP_vector_typeIfLj2EEffffjfiS5_IjLj3EEiiiiiiiiiiiliiliiiiil,comdat
.Lfunc_end5:
	.size	_ZL15flash_attn_tileILi256ELi256ELi2ELi8ELb0EEvPKcS1_S1_S1_S1_PKiPfP15HIP_vector_typeIfLj2EEffffjfiS5_IjLj3EEiiiiiiiiiiiliiliiiiil, .Lfunc_end5-_ZL15flash_attn_tileILi256ELi256ELi2ELi8ELb0EEvPKcS1_S1_S1_S1_PKiPfP15HIP_vector_typeIfLj2EEffffjfiS5_IjLj3EEiiiiiiiiiiiliiliiiiil
                                        ; -- End function
	.section	.AMDGPU.csdata,"",@progbits
; Kernel info:
; codeLenInByte = 13808
; NumSgprs: 42
; NumVgprs: 138
; ScratchSize: 0
; MemoryBound: 0
; FloatMode: 240
; IeeeMode: 1
; LDSByteSize: 26112 bytes/workgroup (compile time only)
; SGPRBlocks: 5
; VGPRBlocks: 17
; NumSGPRsForWavesPerEU: 42
; NumVGPRsForWavesPerEU: 138
; Occupancy: 10
; WaveLimiterHint : 1
; COMPUTE_PGM_RSRC2:SCRATCH_EN: 0
; COMPUTE_PGM_RSRC2:USER_SGPR: 13
; COMPUTE_PGM_RSRC2:TRAP_HANDLER: 0
; COMPUTE_PGM_RSRC2:TGID_X_EN: 1
; COMPUTE_PGM_RSRC2:TGID_Y_EN: 1
; COMPUTE_PGM_RSRC2:TGID_Z_EN: 1
; COMPUTE_PGM_RSRC2:TIDIG_COMP_CNT: 1
	.section	.text._ZL25flash_attn_mask_to_KV_maxILi2EEvPK7__half2Piiii,"axG",@progbits,_ZL25flash_attn_mask_to_KV_maxILi2EEvPK7__half2Piiii,comdat
	.globl	_ZL25flash_attn_mask_to_KV_maxILi2EEvPK7__half2Piiii ; -- Begin function _ZL25flash_attn_mask_to_KV_maxILi2EEvPK7__half2Piiii
	.p2align	8
	.type	_ZL25flash_attn_mask_to_KV_maxILi2EEvPK7__half2Piiii,@function
_ZL25flash_attn_mask_to_KV_maxILi2EEvPK7__half2Piiii: ; @_ZL25flash_attn_mask_to_KV_maxILi2EEvPK7__half2Piiii
; %bb.0:
	s_load_b128 s[4:7], s[0:1], 0x0
	s_mov_b32 s2, exec_lo
	v_cmpx_gt_u32_e32 32, v0
	s_cbranch_execz .LBB6_2
; %bb.1:
	v_dual_mov_b32 v2, 1 :: v_dual_lshlrev_b32 v1, 2, v0
	ds_store_b32 v1, v2
.LBB6_2:
	s_or_b32 exec_lo, exec_lo, s2
	s_clause 0x1
	s_load_b128 s[8:11], s[0:1], 0x10
	s_load_b32 s1, s[0:1], 0x20
	v_dual_mov_b32 v2, 0 :: v_dual_and_b32 v1, 31, v0
	v_lshrrev_b32_e32 v3, 3, v0
	s_waitcnt lgkmcnt(0)
	s_barrier
	s_delay_alu instid0(VALU_DEP_2) | instskip(SKIP_4) | instid1(SALU_CYCLE_1)
	v_lshlrev_b32_e32 v4, 2, v1
	buffer_gl0_inv
	s_mul_i32 s0, s14, s9
	s_mul_i32 s2, s15, s10
	s_lshl_b32 s0, s0, 1
	s_add_i32 s2, s2, s0
	v_cmp_eq_u32_e64 s0, 0, v1
	s_ashr_i32 s3, s2, 31
	s_delay_alu instid0(SALU_CYCLE_1) | instskip(NEXT) | instid1(SALU_CYCLE_1)
	s_lshl_b64 s[10:11], s[2:3], 2
	s_add_u32 s3, s4, s10
	s_addc_u32 s4, s5, s11
	s_lshl_b32 s5, s8, 8
	s_branch .LBB6_4
.LBB6_3:                                ;   in Loop: Header=BB6_4 Depth=1
	s_or_b32 exec_lo, exec_lo, s10
	s_waitcnt lgkmcnt(0)
	s_barrier
	buffer_gl0_inv
	ds_load_b32 v1, v4
	s_waitcnt lgkmcnt(0)
	s_barrier
	buffer_gl0_inv
	;;#ASMSTART
	;;#ASMEND
	v_cmp_ne_u32_e32 vcc_lo, 0, v1
	s_cmp_lg_u32 vcc_lo, exec_lo
	s_cselect_b32 s8, -1, 0
	s_delay_alu instid0(SALU_CYCLE_1)
	s_and_b32 vcc_lo, exec_lo, s8
	s_cbranch_vccnz .LBB6_12
.LBB6_4:                                ; =>This Inner Loop Header: Depth=1
	s_mov_b32 s2, s5
	s_addk_i32 s5, 0xff00
	s_delay_alu instid0(SALU_CYCLE_1)
	s_cmp_lt_i32 s5, 0
	s_cbranch_scc1 .LBB6_11
; %bb.5:                                ;   in Loop: Header=BB6_4 Depth=1
	s_lshr_b32 s8, s5, 1
	s_mov_b32 s10, 0
	v_add_nc_u32_e32 v1, s8, v0
	s_delay_alu instid0(VALU_DEP_1) | instskip(NEXT) | instid1(VALU_DEP_1)
	v_lshlrev_b64 v[5:6], 2, v[1:2]
	v_add_co_u32 v5, vcc_lo, s3, v5
	s_delay_alu instid0(VALU_DEP_2) | instskip(SKIP_4) | instid1(VALU_DEP_2)
	v_add_co_ci_u32_e32 v6, vcc_lo, s4, v6, vcc_lo
	global_load_b32 v5, v[5:6], off
	s_waitcnt vmcnt(0)
	v_lshrrev_b32_e32 v6, 16, v5
	v_cmp_class_f16_e64 s8, v5, 0x204
	v_and_b32_e32 v6, 0x7fff, v6
	s_delay_alu instid0(VALU_DEP_1) | instskip(NEXT) | instid1(VALU_DEP_3)
	v_cmp_eq_f16_e32 vcc_lo, 0x7c00, v6
	s_and_b32 s11, s8, vcc_lo
	s_delay_alu instid0(SALU_CYCLE_1)
	s_and_saveexec_b32 s8, s11
	s_cbranch_execz .LBB6_9
; %bb.6:                                ;   in Loop: Header=BB6_4 Depth=1
	v_add_nc_u32_e32 v5, s9, v1
	s_delay_alu instid0(VALU_DEP_1) | instskip(NEXT) | instid1(VALU_DEP_1)
	v_ashrrev_i32_e32 v6, 31, v5
	v_lshlrev_b64 v[5:6], 2, v[5:6]
	s_delay_alu instid0(VALU_DEP_1) | instskip(NEXT) | instid1(VALU_DEP_2)
	v_add_co_u32 v5, vcc_lo, s3, v5
	v_add_co_ci_u32_e32 v6, vcc_lo, s4, v6, vcc_lo
	global_load_b32 v1, v[5:6], off
	s_waitcnt vmcnt(0)
	v_cmp_class_f16_e64 s12, v1, 0x204
	s_delay_alu instid0(VALU_DEP_1)
	s_and_saveexec_b32 s11, s12
; %bb.7:                                ;   in Loop: Header=BB6_4 Depth=1
	v_lshrrev_b32_e32 v1, 16, v1
	s_delay_alu instid0(VALU_DEP_1) | instskip(NEXT) | instid1(VALU_DEP_1)
	v_cmp_class_f16_e64 s10, v1, 0x204
	s_and_b32 s10, s10, exec_lo
; %bb.8:                                ;   in Loop: Header=BB6_4 Depth=1
	s_or_b32 exec_lo, exec_lo, s11
	s_delay_alu instid0(SALU_CYCLE_1)
	s_and_b32 s10, s10, exec_lo
.LBB6_9:                                ;   in Loop: Header=BB6_4 Depth=1
	s_or_b32 exec_lo, exec_lo, s8
	v_cndmask_b32_e64 v1, 0, 1, s10
	;;#ASMSTART
	;;#ASMEND
	s_delay_alu instid0(VALU_DEP_1)
	v_cmp_ne_u32_e32 vcc_lo, 0, v1
	s_mov_b32 s8, exec_lo
	s_and_saveexec_b32 s10, s0
	s_cbranch_execz .LBB6_3
; %bb.10:                               ;   in Loop: Header=BB6_4 Depth=1
	s_cmp_eq_u32 vcc_lo, s8
	s_cselect_b32 s8, -1, 0
	s_delay_alu instid0(SALU_CYCLE_1)
	v_cndmask_b32_e64 v1, 0, 1, s8
	ds_store_b32 v3, v1
	s_branch .LBB6_3
.LBB6_11:                               ;   in Loop: Header=BB6_4 Depth=1
                                        ; implicit-def: $sgpr5
	s_cbranch_execz .LBB6_4
.LBB6_12:
	s_mov_b32 s0, exec_lo
	v_cmpx_eq_u32_e32 0, v0
	s_cbranch_execz .LBB6_14
; %bb.13:
	s_mul_i32 s0, s1, s15
	v_dual_mov_b32 v0, 0 :: v_dual_mov_b32 v1, s2
	s_add_i32 s0, s0, s14
	s_delay_alu instid0(SALU_CYCLE_1) | instskip(NEXT) | instid1(SALU_CYCLE_1)
	s_ashr_i32 s1, s0, 31
	s_lshl_b64 s[0:1], s[0:1], 2
	s_delay_alu instid0(SALU_CYCLE_1)
	s_add_u32 s0, s6, s0
	s_addc_u32 s1, s7, s1
	global_store_b32 v0, v1, s[0:1]
.LBB6_14:
	s_nop 0
	s_sendmsg sendmsg(MSG_DEALLOC_VGPRS)
	s_endpgm
	.section	.rodata,"a",@progbits
	.p2align	6, 0x0
	.amdhsa_kernel _ZL25flash_attn_mask_to_KV_maxILi2EEvPK7__half2Piiii
		.amdhsa_group_segment_fixed_size 128
		.amdhsa_private_segment_fixed_size 0
		.amdhsa_kernarg_size 288
		.amdhsa_user_sgpr_count 14
		.amdhsa_user_sgpr_dispatch_ptr 0
		.amdhsa_user_sgpr_queue_ptr 0
		.amdhsa_user_sgpr_kernarg_segment_ptr 1
		.amdhsa_user_sgpr_dispatch_id 0
		.amdhsa_user_sgpr_private_segment_size 0
		.amdhsa_wavefront_size32 1
		.amdhsa_uses_dynamic_stack 0
		.amdhsa_enable_private_segment 0
		.amdhsa_system_sgpr_workgroup_id_x 1
		.amdhsa_system_sgpr_workgroup_id_y 1
		.amdhsa_system_sgpr_workgroup_id_z 0
		.amdhsa_system_sgpr_workgroup_info 0
		.amdhsa_system_vgpr_workitem_id 0
		.amdhsa_next_free_vgpr 7
		.amdhsa_next_free_sgpr 16
		.amdhsa_reserve_vcc 1
		.amdhsa_float_round_mode_32 0
		.amdhsa_float_round_mode_16_64 0
		.amdhsa_float_denorm_mode_32 3
		.amdhsa_float_denorm_mode_16_64 3
		.amdhsa_dx10_clamp 1
		.amdhsa_ieee_mode 1
		.amdhsa_fp16_overflow 0
		.amdhsa_workgroup_processor_mode 1
		.amdhsa_memory_ordered 1
		.amdhsa_forward_progress 0
		.amdhsa_shared_vgpr_count 0
		.amdhsa_exception_fp_ieee_invalid_op 0
		.amdhsa_exception_fp_denorm_src 0
		.amdhsa_exception_fp_ieee_div_zero 0
		.amdhsa_exception_fp_ieee_overflow 0
		.amdhsa_exception_fp_ieee_underflow 0
		.amdhsa_exception_fp_ieee_inexact 0
		.amdhsa_exception_int_div_zero 0
	.end_amdhsa_kernel
	.section	.text._ZL25flash_attn_mask_to_KV_maxILi2EEvPK7__half2Piiii,"axG",@progbits,_ZL25flash_attn_mask_to_KV_maxILi2EEvPK7__half2Piiii,comdat
.Lfunc_end6:
	.size	_ZL25flash_attn_mask_to_KV_maxILi2EEvPK7__half2Piiii, .Lfunc_end6-_ZL25flash_attn_mask_to_KV_maxILi2EEvPK7__half2Piiii
                                        ; -- End function
	.section	.AMDGPU.csdata,"",@progbits
; Kernel info:
; codeLenInByte = 584
; NumSgprs: 18
; NumVgprs: 7
; ScratchSize: 0
; MemoryBound: 0
; FloatMode: 240
; IeeeMode: 1
; LDSByteSize: 128 bytes/workgroup (compile time only)
; SGPRBlocks: 2
; VGPRBlocks: 0
; NumSGPRsForWavesPerEU: 18
; NumVGPRsForWavesPerEU: 7
; Occupancy: 16
; WaveLimiterHint : 0
; COMPUTE_PGM_RSRC2:SCRATCH_EN: 0
; COMPUTE_PGM_RSRC2:USER_SGPR: 14
; COMPUTE_PGM_RSRC2:TRAP_HANDLER: 0
; COMPUTE_PGM_RSRC2:TGID_X_EN: 1
; COMPUTE_PGM_RSRC2:TGID_Y_EN: 1
; COMPUTE_PGM_RSRC2:TGID_Z_EN: 0
; COMPUTE_PGM_RSRC2:TIDIG_COMP_CNT: 0
	.section	.text._ZL33flash_attn_stream_k_fixup_uniformILi256ELi2ELi8EEvPfPK15HIP_vector_typeIfLj2EEiiiiiiS1_IjLj3EES5_S5_,"axG",@progbits,_ZL33flash_attn_stream_k_fixup_uniformILi256ELi2ELi8EEvPfPK15HIP_vector_typeIfLj2EEiiiiiiS1_IjLj3EES5_S5_,comdat
	.globl	_ZL33flash_attn_stream_k_fixup_uniformILi256ELi2ELi8EEvPfPK15HIP_vector_typeIfLj2EEiiiiiiS1_IjLj3EES5_S5_ ; -- Begin function _ZL33flash_attn_stream_k_fixup_uniformILi256ELi2ELi8EEvPfPK15HIP_vector_typeIfLj2EEiiiiiiS1_IjLj3EES5_S5_
	.p2align	8
	.type	_ZL33flash_attn_stream_k_fixup_uniformILi256ELi2ELi8EEvPfPK15HIP_vector_typeIfLj2EEiiiiiiS1_IjLj3EES5_S5_,@function
_ZL33flash_attn_stream_k_fixup_uniformILi256ELi2ELi8EEvPfPK15HIP_vector_typeIfLj2EEiiiiiiS1_IjLj3EES5_S5_: ; @_ZL33flash_attn_stream_k_fixup_uniformILi256ELi2ELi8EEvPfPK15HIP_vector_typeIfLj2EEiiiiiiS1_IjLj3EES5_S5_
; %bb.0:
	s_clause 0x1
	s_load_b256 s[4:11], s[0:1], 0x1c
	s_load_b128 s[16:19], s[0:1], 0x3c
	s_waitcnt lgkmcnt(0)
	s_mul_hi_u32 s2, s7, s13
	s_delay_alu instid0(SALU_CYCLE_1) | instskip(NEXT) | instid1(SALU_CYCLE_1)
	s_add_i32 s2, s13, s2
	s_lshr_b32 s2, s2, s8
	s_delay_alu instid0(SALU_CYCLE_1) | instskip(SKIP_2) | instid1(SALU_CYCLE_1)
	s_mul_i32 s3, s2, s9
	s_load_b64 s[8:9], s[0:1], 0x10
	s_sub_i32 s7, s13, s3
	s_mul_hi_u32 s3, s7, s10
	s_delay_alu instid0(SALU_CYCLE_1) | instskip(NEXT) | instid1(SALU_CYCLE_1)
	s_add_i32 s3, s7, s3
	s_lshr_b32 s3, s3, s11
	s_delay_alu instid0(SALU_CYCLE_1) | instskip(NEXT) | instid1(SALU_CYCLE_1)
	s_mul_i32 s10, s3, s16
	s_sub_i32 s7, s7, s10
	s_delay_alu instid0(SALU_CYCLE_1) | instskip(NEXT) | instid1(SALU_CYCLE_1)
	s_mul_hi_u32 s10, s7, s17
	s_add_i32 s10, s7, s10
	s_delay_alu instid0(SALU_CYCLE_1) | instskip(NEXT) | instid1(SALU_CYCLE_1)
	s_lshr_b32 s10, s10, s18
	s_mul_i32 s11, s10, s19
	s_lshl_b32 s10, s10, 3
	s_sub_i32 s7, s7, s11
	s_delay_alu instid0(SALU_CYCLE_1) | instskip(NEXT) | instid1(SALU_CYCLE_1)
	s_lshl_b32 s11, s7, 1
	s_add_i32 s11, s11, s14
	s_waitcnt lgkmcnt(0)
	s_cmp_lt_i32 s11, s8
	s_cselect_b32 s11, -1, 0
	s_add_i32 s12, s10, s15
	s_delay_alu instid0(SALU_CYCLE_1) | instskip(SKIP_1) | instid1(SALU_CYCLE_1)
	s_cmp_lt_i32 s12, s5
	s_cselect_b32 s12, -1, 0
	s_and_b32 s11, s11, s12
	s_delay_alu instid0(SALU_CYCLE_1)
	s_and_not1_b32 vcc_lo, exec_lo, s11
	s_cbranch_vccnz .LBB7_6
; %bb.1:
	s_mul_i32 s2, s2, s8
	s_mul_i32 s5, s3, s5
	s_add_i32 s2, s2, s14
	s_mul_i32 s7, s9, s7
	s_mul_i32 s2, s2, s9
	s_lshl_b32 s7, s7, 9
	s_add_i32 s8, s2, s15
	s_load_b128 s[0:3], s[0:1], 0x0
	s_add_i32 s5, s8, s5
	s_lshl_b32 s9, s14, 3
	s_add_i32 s5, s5, s10
	s_delay_alu instid0(SALU_CYCLE_1) | instskip(NEXT) | instid1(SALU_CYCLE_1)
	s_lshl_b32 s5, s5, 8
	s_add_i32 s7, s7, s5
	s_mul_i32 s5, s13, s6
	v_or_b32_e32 v1, s7, v0
	s_add_i32 s10, s5, s6
	s_delay_alu instid0(VALU_DEP_1) | instskip(NEXT) | instid1(VALU_DEP_1)
	v_ashrrev_i32_e32 v2, 31, v1
	v_lshlrev_b64 v[1:2], 2, v[1:2]
	s_waitcnt lgkmcnt(0)
	s_delay_alu instid0(VALU_DEP_1) | instskip(NEXT) | instid1(VALU_DEP_2)
	v_add_co_u32 v1, vcc_lo, s0, v1
	v_add_co_ci_u32_e32 v2, vcc_lo, s1, v2, vcc_lo
	s_add_i32 s0, s9, s15
	s_lshl_b32 s1, s10, 4
	s_delay_alu instid0(SALU_CYCLE_1) | instskip(SKIP_2) | instid1(SALU_CYCLE_1)
	s_add_i32 s0, s0, s1
	global_load_b32 v5, v[1:2], off
	s_add_i32 s0, s0, -16
	s_ashr_i32 s1, s0, 31
	s_delay_alu instid0(SALU_CYCLE_1) | instskip(NEXT) | instid1(SALU_CYCLE_1)
	s_lshl_b64 s[0:1], s[0:1], 3
	s_add_u32 s0, s2, s0
	s_addc_u32 s1, s3, s1
	s_add_i32 s7, s10, -2
	s_load_b32 s11, s[0:1], 0x4
	s_cmp_lt_i32 s7, s5
	s_cbranch_scc1 .LBB7_4
; %bb.2:
	s_lshl_b32 s16, s4, 6
	s_load_b32 s12, s[0:1], 0x0
	s_ashr_i32 s17, s16, 31
	s_delay_alu instid0(SALU_CYCLE_1) | instskip(NEXT) | instid1(SALU_CYCLE_1)
	s_lshl_b64 s[0:1], s[16:17], 2
	s_add_u32 s7, s2, s0
	s_addc_u32 s8, s3, s1
	s_add_i32 s13, s13, 1
	s_lshl_b32 s0, s14, 11
	s_lshl_b32 s1, s15, 8
	s_mul_i32 s6, s6, s13
	s_add_i32 s0, s1, s0
	s_lshl_b32 s1, s6, 12
	s_delay_alu instid0(SALU_CYCLE_1)
	s_add_i32 s0, s0, s1
	s_lshl_b32 s1, s6, 4
	v_or_b32_e32 v0, s0, v0
	s_lshl_b32 s0, s4, 4
	s_add_i32 s1, s15, s1
	s_waitcnt lgkmcnt(0)
	v_mov_b32_e32 v6, s11
	s_add_i32 s0, s1, s0
	v_dual_mov_b32 v0, s12 :: v_dual_add_nc_u32 v3, 0xffffe000, v0
	s_add_i32 s0, s0, s9
	s_add_i32 s4, s10, -1
	s_sub_i32 s0, s0, 32
.LBB7_3:                                ; =>This Inner Loop Header: Depth=1
	s_delay_alu instid0(VALU_DEP_1) | instskip(SKIP_1) | instid1(SALU_CYCLE_1)
	v_ashrrev_i32_e32 v4, 31, v3
	s_ashr_i32 s1, s0, 31
	s_lshl_b64 s[10:11], s[0:1], 3
	s_delay_alu instid0(SALU_CYCLE_1) | instskip(NEXT) | instid1(VALU_DEP_1)
	s_add_u32 s10, s2, s10
	v_lshlrev_b64 v[7:8], 2, v[3:4]
	s_addc_u32 s11, s3, s11
	s_add_i32 s4, s4, -1
	s_add_i32 s0, s0, -16
	s_cmp_le_i32 s4, s5
	s_load_b64 s[10:11], s[10:11], 0x0
	v_add_co_u32 v7, vcc_lo, s7, v7
	v_add_co_ci_u32_e32 v8, vcc_lo, s8, v8, vcc_lo
	global_load_b32 v4, v[7:8], off
	v_max_f32_e32 v7, v0, v0
	s_waitcnt lgkmcnt(0)
	v_max_f32_e64 v8, s10, s10
	s_delay_alu instid0(VALU_DEP_1) | instskip(NEXT) | instid1(VALU_DEP_1)
	v_max_f32_e32 v7, v7, v8
	v_sub_f32_e32 v8, s10, v7
	s_delay_alu instid0(VALU_DEP_1) | instskip(NEXT) | instid1(VALU_DEP_1)
	v_dual_sub_f32 v0, v0, v7 :: v_dual_mul_f32 v9, 0x3fb8aa3b, v8
	v_fma_f32 v10, 0x3fb8aa3b, v8, -v9
	v_rndne_f32_e32 v11, v9
	s_delay_alu instid0(VALU_DEP_3) | instskip(NEXT) | instid1(VALU_DEP_2)
	v_mul_f32_e32 v12, 0x3fb8aa3b, v0
	v_dual_fmac_f32 v10, 0x32a5705f, v8 :: v_dual_sub_f32 v9, v9, v11
	v_cvt_i32_f32_e32 v11, v11
	s_delay_alu instid0(VALU_DEP_3) | instskip(SKIP_1) | instid1(VALU_DEP_4)
	v_fma_f32 v13, 0x3fb8aa3b, v0, -v12
	v_rndne_f32_e32 v14, v12
	v_add_f32_e32 v9, v9, v10
	v_cmp_ngt_f32_e32 vcc_lo, 0xc2ce8ed0, v8
	s_delay_alu instid0(VALU_DEP_3) | instskip(NEXT) | instid1(VALU_DEP_3)
	v_sub_f32_e32 v10, v12, v14
	v_exp_f32_e32 v9, v9
	s_waitcnt_depctr 0xfff
	v_ldexp_f32 v9, v9, v11
	v_cvt_i32_f32_e32 v11, v14
	s_delay_alu instid0(VALU_DEP_2) | instskip(SKIP_1) | instid1(VALU_DEP_2)
	v_cndmask_b32_e32 v9, 0, v9, vcc_lo
	v_cmp_nlt_f32_e32 vcc_lo, 0x42b17218, v8
	v_cndmask_b32_e32 v9, 0x7f800000, v9, vcc_lo
	v_cmp_ngt_f32_e32 vcc_lo, 0xc2ce8ed0, v0
	v_fmac_f32_e32 v13, 0x32a5705f, v0
	s_delay_alu instid0(VALU_DEP_1) | instskip(NEXT) | instid1(VALU_DEP_1)
	v_add_f32_e32 v10, v10, v13
	v_exp_f32_e32 v10, v10
	s_waitcnt_depctr 0xfff
	v_ldexp_f32 v10, v10, v11
	s_delay_alu instid0(VALU_DEP_1)
	v_dual_mov_b32 v11, v6 :: v_dual_cndmask_b32 v10, 0, v10
	v_cmp_le_f32_e32 vcc_lo, 0xc1a00000, v8
	s_waitcnt vmcnt(1)
	v_dual_cndmask_b32 v8, 0, v9 :: v_dual_mov_b32 v9, v5
	v_cmp_nlt_f32_e32 vcc_lo, 0x42b17218, v0
	v_cndmask_b32_e32 v5, 0x7f800000, v10, vcc_lo
	s_delay_alu instid0(VALU_DEP_3) | instskip(SKIP_2) | instid1(VALU_DEP_3)
	v_mul_f32_e32 v10, s11, v8
	v_cmp_le_f32_e32 vcc_lo, 0xc1a00000, v0
	v_mov_b32_e32 v0, v7
	v_mov_b32_e32 v6, v10
	s_waitcnt vmcnt(0)
	v_dual_cndmask_b32 v12, 0, v5 :: v_dual_mul_f32 v5, v4, v8
	s_delay_alu instid0(VALU_DEP_1) | instskip(NEXT) | instid1(VALU_DEP_2)
	v_dual_fmac_f32 v6, v11, v12 :: v_dual_add_nc_u32 v3, 0xfffff000, v3
	v_fmac_f32_e32 v5, v9, v12
	s_cbranch_scc0 .LBB7_3
	s_branch .LBB7_5
.LBB7_4:
	s_waitcnt lgkmcnt(0)
	v_mov_b32_e32 v6, s11
.LBB7_5:
	s_waitcnt vmcnt(0)
	s_delay_alu instid0(VALU_DEP_1) | instskip(NEXT) | instid1(VALU_DEP_1)
	v_div_scale_f32 v0, null, v6, v6, v5
	v_rcp_f32_e32 v3, v0
	s_waitcnt_depctr 0xfff
	v_fma_f32 v4, -v0, v3, 1.0
	s_delay_alu instid0(VALU_DEP_1) | instskip(SKIP_1) | instid1(VALU_DEP_1)
	v_fmac_f32_e32 v3, v4, v3
	v_div_scale_f32 v4, vcc_lo, v5, v6, v5
	v_mul_f32_e32 v7, v4, v3
	s_delay_alu instid0(VALU_DEP_1) | instskip(NEXT) | instid1(VALU_DEP_1)
	v_fma_f32 v8, -v0, v7, v4
	v_fmac_f32_e32 v7, v8, v3
	s_delay_alu instid0(VALU_DEP_1) | instskip(NEXT) | instid1(VALU_DEP_1)
	v_fma_f32 v0, -v0, v7, v4
	v_div_fmas_f32 v0, v0, v3, v7
	s_delay_alu instid0(VALU_DEP_1)
	v_div_fixup_f32 v0, v0, v6, v5
	global_store_b32 v[1:2], v0, off
.LBB7_6:
	s_nop 0
	s_sendmsg sendmsg(MSG_DEALLOC_VGPRS)
	s_endpgm
	.section	.rodata,"a",@progbits
	.p2align	6, 0x0
	.amdhsa_kernel _ZL33flash_attn_stream_k_fixup_uniformILi256ELi2ELi8EEvPfPK15HIP_vector_typeIfLj2EEiiiiiiS1_IjLj3EES5_S5_
		.amdhsa_group_segment_fixed_size 0
		.amdhsa_private_segment_fixed_size 0
		.amdhsa_kernarg_size 76
		.amdhsa_user_sgpr_count 13
		.amdhsa_user_sgpr_dispatch_ptr 0
		.amdhsa_user_sgpr_queue_ptr 0
		.amdhsa_user_sgpr_kernarg_segment_ptr 1
		.amdhsa_user_sgpr_dispatch_id 0
		.amdhsa_user_sgpr_private_segment_size 0
		.amdhsa_wavefront_size32 1
		.amdhsa_uses_dynamic_stack 0
		.amdhsa_enable_private_segment 0
		.amdhsa_system_sgpr_workgroup_id_x 1
		.amdhsa_system_sgpr_workgroup_id_y 1
		.amdhsa_system_sgpr_workgroup_id_z 1
		.amdhsa_system_sgpr_workgroup_info 0
		.amdhsa_system_vgpr_workitem_id 0
		.amdhsa_next_free_vgpr 15
		.amdhsa_next_free_sgpr 20
		.amdhsa_reserve_vcc 1
		.amdhsa_float_round_mode_32 0
		.amdhsa_float_round_mode_16_64 0
		.amdhsa_float_denorm_mode_32 3
		.amdhsa_float_denorm_mode_16_64 3
		.amdhsa_dx10_clamp 1
		.amdhsa_ieee_mode 1
		.amdhsa_fp16_overflow 0
		.amdhsa_workgroup_processor_mode 1
		.amdhsa_memory_ordered 1
		.amdhsa_forward_progress 0
		.amdhsa_shared_vgpr_count 0
		.amdhsa_exception_fp_ieee_invalid_op 0
		.amdhsa_exception_fp_denorm_src 0
		.amdhsa_exception_fp_ieee_div_zero 0
		.amdhsa_exception_fp_ieee_overflow 0
		.amdhsa_exception_fp_ieee_underflow 0
		.amdhsa_exception_fp_ieee_inexact 0
		.amdhsa_exception_int_div_zero 0
	.end_amdhsa_kernel
	.section	.text._ZL33flash_attn_stream_k_fixup_uniformILi256ELi2ELi8EEvPfPK15HIP_vector_typeIfLj2EEiiiiiiS1_IjLj3EES5_S5_,"axG",@progbits,_ZL33flash_attn_stream_k_fixup_uniformILi256ELi2ELi8EEvPfPK15HIP_vector_typeIfLj2EEiiiiiiS1_IjLj3EES5_S5_,comdat
.Lfunc_end7:
	.size	_ZL33flash_attn_stream_k_fixup_uniformILi256ELi2ELi8EEvPfPK15HIP_vector_typeIfLj2EEiiiiiiS1_IjLj3EES5_S5_, .Lfunc_end7-_ZL33flash_attn_stream_k_fixup_uniformILi256ELi2ELi8EEvPfPK15HIP_vector_typeIfLj2EEiiiiiiS1_IjLj3EES5_S5_
                                        ; -- End function
	.section	.AMDGPU.csdata,"",@progbits
; Kernel info:
; codeLenInByte = 996
; NumSgprs: 22
; NumVgprs: 15
; ScratchSize: 0
; MemoryBound: 0
; FloatMode: 240
; IeeeMode: 1
; LDSByteSize: 0 bytes/workgroup (compile time only)
; SGPRBlocks: 2
; VGPRBlocks: 1
; NumSGPRsForWavesPerEU: 22
; NumVGPRsForWavesPerEU: 15
; Occupancy: 16
; WaveLimiterHint : 0
; COMPUTE_PGM_RSRC2:SCRATCH_EN: 0
; COMPUTE_PGM_RSRC2:USER_SGPR: 13
; COMPUTE_PGM_RSRC2:TRAP_HANDLER: 0
; COMPUTE_PGM_RSRC2:TGID_X_EN: 1
; COMPUTE_PGM_RSRC2:TGID_Y_EN: 1
; COMPUTE_PGM_RSRC2:TGID_Z_EN: 1
; COMPUTE_PGM_RSRC2:TIDIG_COMP_CNT: 0
	.section	.text._ZL33flash_attn_stream_k_fixup_generalILi256ELi2ELi8EEvPfPK15HIP_vector_typeIfLj2EEiiiiS1_IjLj3EES5_S5_S5_,"axG",@progbits,_ZL33flash_attn_stream_k_fixup_generalILi256ELi2ELi8EEvPfPK15HIP_vector_typeIfLj2EEiiiiS1_IjLj3EES5_S5_S5_,comdat
	.globl	_ZL33flash_attn_stream_k_fixup_generalILi256ELi2ELi8EEvPfPK15HIP_vector_typeIfLj2EEiiiiS1_IjLj3EES5_S5_S5_ ; -- Begin function _ZL33flash_attn_stream_k_fixup_generalILi256ELi2ELi8EEvPfPK15HIP_vector_typeIfLj2EEiiiiS1_IjLj3EES5_S5_S5_
	.p2align	8
	.type	_ZL33flash_attn_stream_k_fixup_generalILi256ELi2ELi8EEvPfPK15HIP_vector_typeIfLj2EEiiiiS1_IjLj3EES5_S5_S5_,@function
_ZL33flash_attn_stream_k_fixup_generalILi256ELi2ELi8EEvPfPK15HIP_vector_typeIfLj2EEiiiiS1_IjLj3EES5_S5_S5_: ; @_ZL33flash_attn_stream_k_fixup_generalILi256ELi2ELi8EEvPfPK15HIP_vector_typeIfLj2EEiiiiS1_IjLj3EES5_S5_S5_
; %bb.0:
	s_clause 0x1
	s_load_b128 s[4:7], s[0:1], 0x10
	s_load_b32 s20, s[0:1], 0x50
	s_mov_b32 s2, 0
	s_waitcnt lgkmcnt(0)
	s_mul_hi_i32 s3, s7, s13
	s_mul_i32 s12, s7, s13
	s_cmp_lg_u64 s[2:3], 0
	s_cbranch_scc0 .LBB8_21
; %bb.1:
	v_cvt_f32_ubyte0_e32 v1, 0
	v_cvt_f32_u32_e32 v2, s20
	s_sub_u32 s10, 0, s20
	s_subb_u32 s11, 0, 0
	s_delay_alu instid0(VALU_DEP_1) | instskip(NEXT) | instid1(VALU_DEP_1)
	v_fmamk_f32 v1, v1, 0x4f800000, v2
	v_rcp_f32_e32 v1, v1
	s_waitcnt_depctr 0xfff
	v_mul_f32_e32 v1, 0x5f7ffffc, v1
	s_delay_alu instid0(VALU_DEP_1) | instskip(NEXT) | instid1(VALU_DEP_1)
	v_mul_f32_e32 v2, 0x2f800000, v1
	v_trunc_f32_e32 v2, v2
	s_delay_alu instid0(VALU_DEP_1) | instskip(SKIP_1) | instid1(VALU_DEP_2)
	v_fmamk_f32 v1, v2, 0xcf800000, v1
	v_cvt_u32_f32_e32 v2, v2
	v_cvt_u32_f32_e32 v1, v1
	s_delay_alu instid0(VALU_DEP_2) | instskip(NEXT) | instid1(VALU_DEP_2)
	v_readfirstlane_b32 s8, v2
	v_readfirstlane_b32 s9, v1
	s_delay_alu instid0(VALU_DEP_2) | instskip(NEXT) | instid1(VALU_DEP_1)
	s_mul_i32 s16, s10, s8
	s_mul_hi_u32 s18, s10, s9
	s_mul_i32 s17, s11, s9
	s_add_i32 s16, s18, s16
	s_mul_i32 s19, s10, s9
	s_add_i32 s16, s16, s17
	s_mul_hi_u32 s18, s9, s19
	s_mul_hi_u32 s21, s8, s19
	s_mul_i32 s17, s8, s19
	s_mul_hi_u32 s19, s9, s16
	s_mul_i32 s9, s9, s16
	s_mul_hi_u32 s22, s8, s16
	s_add_u32 s9, s18, s9
	s_addc_u32 s18, 0, s19
	s_add_u32 s9, s9, s17
	s_mul_i32 s16, s8, s16
	s_addc_u32 s9, s18, s21
	s_addc_u32 s17, s22, 0
	s_add_u32 s9, s9, s16
	s_addc_u32 s16, 0, s17
	v_add_co_u32 v1, s9, v1, s9
	s_delay_alu instid0(VALU_DEP_1) | instskip(SKIP_1) | instid1(VALU_DEP_1)
	s_cmp_lg_u32 s9, 0
	s_addc_u32 s8, s8, s16
	v_readfirstlane_b32 s9, v1
	s_mul_i32 s16, s10, s8
	s_delay_alu instid0(VALU_DEP_1)
	s_mul_hi_u32 s17, s10, s9
	s_mul_i32 s11, s11, s9
	s_add_i32 s16, s17, s16
	s_mul_i32 s10, s10, s9
	s_add_i32 s16, s16, s11
	s_mul_hi_u32 s17, s8, s10
	s_mul_i32 s18, s8, s10
	s_mul_hi_u32 s10, s9, s10
	s_mul_hi_u32 s19, s9, s16
	s_mul_i32 s9, s9, s16
	s_mul_hi_u32 s11, s8, s16
	s_add_u32 s9, s10, s9
	s_addc_u32 s10, 0, s19
	s_add_u32 s9, s9, s18
	s_mul_i32 s16, s8, s16
	s_addc_u32 s9, s10, s17
	s_addc_u32 s10, s11, 0
	s_add_u32 s9, s9, s16
	s_addc_u32 s10, 0, s10
	v_add_co_u32 v1, s9, v1, s9
	s_delay_alu instid0(VALU_DEP_1) | instskip(SKIP_2) | instid1(SALU_CYCLE_1)
	s_cmp_lg_u32 s9, 0
	s_addc_u32 s16, s8, s10
	s_ashr_i32 s8, s3, 31
	s_add_u32 s10, s12, s8
	s_addc_u32 s11, s3, s8
	v_readfirstlane_b32 s3, v1
	s_mov_b32 s9, s8
	s_delay_alu instid0(SALU_CYCLE_1) | instskip(NEXT) | instid1(SALU_CYCLE_1)
	s_xor_b64 s[10:11], s[10:11], s[8:9]
	s_mul_i32 s18, s10, s16
	s_delay_alu instid0(VALU_DEP_1)
	s_mul_hi_u32 s19, s10, s3
	s_mul_hi_u32 s17, s10, s16
	;; [unrolled: 1-line block ×3, first 2 shown]
	s_mul_i32 s3, s11, s3
	s_add_u32 s18, s19, s18
	s_addc_u32 s17, 0, s17
	s_mul_hi_u32 s21, s11, s16
	s_add_u32 s3, s18, s3
	s_mul_i32 s16, s11, s16
	s_addc_u32 s3, s17, s22
	s_addc_u32 s17, s21, 0
	s_add_u32 s3, s3, s16
	s_addc_u32 s16, 0, s17
	s_mul_i32 s18, s20, s3
	s_add_u32 s17, s3, 1
	v_sub_co_u32 v1, s10, s10, s18
	s_mul_hi_u32 s18, s20, s3
	s_addc_u32 s19, s16, 0
	s_mul_i32 s21, s20, s16
	s_delay_alu instid0(VALU_DEP_1)
	v_sub_co_u32 v2, s22, v1, s20
	s_add_u32 s23, s3, 2
	s_addc_u32 s24, s16, 0
	s_add_i32 s18, s18, s21
	s_cmp_lg_u32 s10, 0
	v_readfirstlane_b32 s10, v2
	s_subb_u32 s11, s11, s18
	s_cmp_lg_u32 s22, 0
	s_subb_u32 s18, s11, 0
	s_delay_alu instid0(VALU_DEP_1) | instskip(SKIP_4) | instid1(SALU_CYCLE_1)
	s_cmp_ge_u32 s10, s20
	s_cselect_b32 s10, -1, 0
	s_cmp_eq_u32 s18, 0
	v_readfirstlane_b32 s18, v1
	s_cselect_b32 s10, s10, -1
	s_cmp_lg_u32 s10, 0
	s_cselect_b32 s10, s23, s17
	s_cselect_b32 s17, s24, s19
	s_cmp_ge_u32 s18, s20
	s_cselect_b32 s18, -1, 0
	s_cmp_eq_u32 s11, 0
	s_cselect_b32 s11, s18, -1
	s_delay_alu instid0(SALU_CYCLE_1) | instskip(SKIP_2) | instid1(SALU_CYCLE_1)
	s_cmp_lg_u32 s11, 0
	s_cselect_b32 s11, s17, s16
	s_cselect_b32 s10, s10, s3
	s_xor_b64 s[10:11], s[10:11], s[8:9]
	s_delay_alu instid0(SALU_CYCLE_1)
	s_sub_u32 s16, s10, s8
	s_load_b128 s[8:11], s[0:1], 0x44
	s_and_not1_b32 vcc_lo, exec_lo, s2
	s_cbranch_vccnz .LBB8_3
.LBB8_2:
	v_cvt_f32_u32_e32 v1, s20
	s_sub_i32 s3, 0, s20
	s_delay_alu instid0(VALU_DEP_1) | instskip(SKIP_2) | instid1(VALU_DEP_1)
	v_rcp_iflag_f32_e32 v1, v1
	s_waitcnt_depctr 0xfff
	v_mul_f32_e32 v1, 0x4f7ffffe, v1
	v_cvt_u32_f32_e32 v1, v1
	s_delay_alu instid0(VALU_DEP_1) | instskip(NEXT) | instid1(VALU_DEP_1)
	v_readfirstlane_b32 s2, v1
	s_mul_i32 s3, s3, s2
	s_delay_alu instid0(SALU_CYCLE_1) | instskip(NEXT) | instid1(SALU_CYCLE_1)
	s_mul_hi_u32 s3, s2, s3
	s_add_i32 s2, s2, s3
	s_delay_alu instid0(SALU_CYCLE_1) | instskip(NEXT) | instid1(SALU_CYCLE_1)
	s_mul_hi_u32 s2, s12, s2
	s_mul_i32 s3, s2, s20
	s_waitcnt lgkmcnt(0)
	s_add_i32 s11, s2, 1
	s_sub_i32 s3, s12, s3
	s_delay_alu instid0(SALU_CYCLE_1)
	s_sub_i32 s12, s3, s20
	s_cmp_ge_u32 s3, s20
	s_cselect_b32 s2, s11, s2
	s_cselect_b32 s3, s12, s3
	s_add_i32 s11, s2, 1
	s_cmp_ge_u32 s3, s20
	s_cselect_b32 s16, s11, s2
.LBB8_3:
	s_waitcnt lgkmcnt(0)
	s_add_i32 s11, s13, 1
	s_mov_b32 s2, 0
	s_mul_hi_i32 s3, s7, s11
	s_mul_i32 s11, s7, s11
	s_cmp_lg_u64 s[2:3], 0
	s_cbranch_scc0 .LBB8_22
; %bb.4:
	v_cvt_f32_ubyte0_e32 v1, 0
	v_cvt_f32_u32_e32 v2, s20
	s_sub_u32 s18, 0, s20
	s_subb_u32 s19, 0, 0
	s_delay_alu instid0(VALU_DEP_1) | instskip(NEXT) | instid1(VALU_DEP_1)
	v_fmamk_f32 v1, v1, 0x4f800000, v2
	v_rcp_f32_e32 v1, v1
	s_waitcnt_depctr 0xfff
	v_mul_f32_e32 v1, 0x5f7ffffc, v1
	s_delay_alu instid0(VALU_DEP_1) | instskip(NEXT) | instid1(VALU_DEP_1)
	v_mul_f32_e32 v2, 0x2f800000, v1
	v_trunc_f32_e32 v2, v2
	s_delay_alu instid0(VALU_DEP_1) | instskip(SKIP_1) | instid1(VALU_DEP_2)
	v_fmamk_f32 v1, v2, 0xcf800000, v1
	v_cvt_u32_f32_e32 v2, v2
	v_cvt_u32_f32_e32 v1, v1
	s_delay_alu instid0(VALU_DEP_2) | instskip(NEXT) | instid1(VALU_DEP_2)
	v_readfirstlane_b32 s12, v2
	v_readfirstlane_b32 s17, v1
	s_delay_alu instid0(VALU_DEP_2) | instskip(NEXT) | instid1(VALU_DEP_1)
	s_mul_i32 s21, s18, s12
	s_mul_hi_u32 s23, s18, s17
	s_mul_i32 s22, s19, s17
	s_add_i32 s21, s23, s21
	s_mul_i32 s24, s18, s17
	s_add_i32 s21, s21, s22
	s_mul_hi_u32 s23, s17, s24
	s_mul_hi_u32 s25, s12, s24
	s_mul_i32 s22, s12, s24
	s_mul_hi_u32 s24, s17, s21
	s_mul_i32 s17, s17, s21
	s_mul_hi_u32 s26, s12, s21
	s_add_u32 s17, s23, s17
	s_addc_u32 s23, 0, s24
	s_add_u32 s17, s17, s22
	s_mul_i32 s21, s12, s21
	s_addc_u32 s17, s23, s25
	s_addc_u32 s22, s26, 0
	s_add_u32 s17, s17, s21
	s_addc_u32 s21, 0, s22
	v_add_co_u32 v1, s17, v1, s17
	s_delay_alu instid0(VALU_DEP_1) | instskip(SKIP_1) | instid1(VALU_DEP_1)
	s_cmp_lg_u32 s17, 0
	s_addc_u32 s12, s12, s21
	v_readfirstlane_b32 s17, v1
	s_mul_i32 s21, s18, s12
	s_delay_alu instid0(VALU_DEP_1)
	s_mul_hi_u32 s22, s18, s17
	s_mul_i32 s19, s19, s17
	s_add_i32 s21, s22, s21
	s_mul_i32 s18, s18, s17
	s_add_i32 s21, s21, s19
	s_mul_hi_u32 s22, s12, s18
	s_mul_i32 s23, s12, s18
	s_mul_hi_u32 s18, s17, s18
	s_mul_hi_u32 s24, s17, s21
	s_mul_i32 s17, s17, s21
	s_mul_hi_u32 s19, s12, s21
	s_add_u32 s17, s18, s17
	s_addc_u32 s18, 0, s24
	s_add_u32 s17, s17, s23
	s_mul_i32 s21, s12, s21
	s_addc_u32 s17, s18, s22
	s_addc_u32 s18, s19, 0
	s_add_u32 s17, s17, s21
	s_addc_u32 s18, 0, s18
	v_add_co_u32 v1, s17, v1, s17
	s_delay_alu instid0(VALU_DEP_1) | instskip(SKIP_2) | instid1(SALU_CYCLE_1)
	s_cmp_lg_u32 s17, 0
	s_addc_u32 s12, s12, s18
	s_ashr_i32 s18, s3, 31
	s_add_u32 s22, s11, s18
	s_addc_u32 s23, s3, s18
	v_readfirstlane_b32 s3, v1
	s_mov_b32 s19, s18
	s_delay_alu instid0(SALU_CYCLE_1) | instskip(NEXT) | instid1(SALU_CYCLE_1)
	s_xor_b64 s[22:23], s[22:23], s[18:19]
	s_mul_i32 s21, s22, s12
	s_delay_alu instid0(VALU_DEP_1)
	s_mul_hi_u32 s24, s22, s3
	s_mul_hi_u32 s17, s22, s12
	;; [unrolled: 1-line block ×3, first 2 shown]
	s_mul_i32 s3, s23, s3
	s_add_u32 s21, s24, s21
	s_addc_u32 s17, 0, s17
	s_mul_hi_u32 s25, s23, s12
	s_add_u32 s3, s21, s3
	s_mul_i32 s12, s23, s12
	s_addc_u32 s3, s17, s26
	s_addc_u32 s17, s25, 0
	s_add_u32 s3, s3, s12
	s_addc_u32 s12, 0, s17
	s_mul_i32 s21, s20, s3
	s_add_u32 s17, s3, 1
	v_sub_co_u32 v1, s21, s22, s21
	s_mul_hi_u32 s22, s20, s3
	s_addc_u32 s24, s12, 0
	s_mul_i32 s25, s20, s12
	s_delay_alu instid0(VALU_DEP_1)
	v_sub_co_u32 v2, s26, v1, s20
	s_add_u32 s27, s3, 2
	s_addc_u32 s28, s12, 0
	s_add_i32 s22, s22, s25
	s_cmp_lg_u32 s21, 0
	v_readfirstlane_b32 s21, v2
	s_subb_u32 s22, s23, s22
	s_cmp_lg_u32 s26, 0
	s_subb_u32 s23, s22, 0
	s_delay_alu instid0(VALU_DEP_1) | instskip(SKIP_4) | instid1(SALU_CYCLE_1)
	s_cmp_ge_u32 s21, s20
	s_cselect_b32 s21, -1, 0
	s_cmp_eq_u32 s23, 0
	v_readfirstlane_b32 s23, v1
	s_cselect_b32 s21, s21, -1
	s_cmp_lg_u32 s21, 0
	s_cselect_b32 s17, s27, s17
	s_cselect_b32 s21, s28, s24
	s_cmp_ge_u32 s23, s20
	s_cselect_b32 s23, -1, 0
	s_cmp_eq_u32 s22, 0
	s_cselect_b32 s22, s23, -1
	s_delay_alu instid0(SALU_CYCLE_1) | instskip(SKIP_2) | instid1(SALU_CYCLE_1)
	s_cmp_lg_u32 s22, 0
	s_cselect_b32 s23, s21, s12
	s_cselect_b32 s22, s17, s3
	s_xor_b64 s[22:23], s[22:23], s[18:19]
	s_delay_alu instid0(SALU_CYCLE_1)
	s_sub_u32 s18, s22, s18
	s_and_not1_b32 vcc_lo, exec_lo, s2
	s_cbranch_vccnz .LBB8_6
.LBB8_5:
	v_cvt_f32_u32_e32 v1, s20
	s_sub_i32 s3, 0, s20
	s_delay_alu instid0(VALU_DEP_1) | instskip(SKIP_2) | instid1(VALU_DEP_1)
	v_rcp_iflag_f32_e32 v1, v1
	s_waitcnt_depctr 0xfff
	v_mul_f32_e32 v1, 0x4f7ffffe, v1
	v_cvt_u32_f32_e32 v1, v1
	s_delay_alu instid0(VALU_DEP_1) | instskip(NEXT) | instid1(VALU_DEP_1)
	v_readfirstlane_b32 s2, v1
	s_mul_i32 s3, s3, s2
	s_delay_alu instid0(SALU_CYCLE_1) | instskip(NEXT) | instid1(SALU_CYCLE_1)
	s_mul_hi_u32 s3, s2, s3
	s_add_i32 s2, s2, s3
	s_delay_alu instid0(SALU_CYCLE_1) | instskip(NEXT) | instid1(SALU_CYCLE_1)
	s_mul_hi_u32 s2, s11, s2
	s_mul_i32 s3, s2, s20
	s_delay_alu instid0(SALU_CYCLE_1)
	s_sub_i32 s3, s11, s3
	s_add_i32 s11, s2, 1
	s_sub_i32 s12, s3, s20
	s_cmp_ge_u32 s3, s20
	s_cselect_b32 s2, s11, s2
	s_cselect_b32 s3, s12, s3
	s_add_i32 s11, s2, 1
	s_cmp_ge_u32 s3, s20
	s_cselect_b32 s18, s11, s2
.LBB8_6:
	s_delay_alu instid0(SALU_CYCLE_1) | instskip(SKIP_3) | instid1(SALU_CYCLE_1)
	s_cmp_eq_u32 s16, s18
	s_mul_hi_u32 s2, s16, s8
	s_cselect_b32 s3, -1, 0
	s_add_i32 s2, s2, s16
	s_lshr_b32 s11, s2, s9
	s_delay_alu instid0(SALU_CYCLE_1) | instskip(NEXT) | instid1(SALU_CYCLE_1)
	s_mul_i32 s2, s11, s10
	s_cmp_eq_u32 s2, s16
	s_mul_hi_u32 s2, s18, s8
	s_cselect_b32 s12, -1, 0
	s_add_i32 s2, s2, s18
	s_delay_alu instid0(SALU_CYCLE_1) | instskip(NEXT) | instid1(SALU_CYCLE_1)
	s_lshr_b32 s2, s2, s9
	s_cmp_eq_u32 s11, s2
	s_mul_i32 s2, s2, s10
	s_cselect_b32 s17, -1, 0
	s_cmp_lg_u32 s2, s18
	s_cselect_b32 s2, -1, 0
	s_or_b32 s3, s3, s12
	s_and_b32 s2, s17, s2
	s_delay_alu instid0(SALU_CYCLE_1) | instskip(NEXT) | instid1(SALU_CYCLE_1)
	s_or_b32 s2, s3, s2
	s_and_b32 vcc_lo, exec_lo, s2
	s_cbranch_vccnz .LBB8_24
; %bb.7:
	s_load_b256 s[24:31], s[0:1], 0x20
	s_waitcnt lgkmcnt(0)
	s_mul_hi_u32 s2, s16, s24
	s_delay_alu instid0(SALU_CYCLE_1) | instskip(NEXT) | instid1(SALU_CYCLE_1)
	s_add_i32 s2, s2, s16
	s_lshr_b32 s17, s2, s25
	s_load_b32 s2, s[0:1], 0x40
	s_mul_i32 s3, s17, s26
	s_delay_alu instid0(SALU_CYCLE_1) | instskip(NEXT) | instid1(SALU_CYCLE_1)
	s_sub_i32 s3, s16, s3
	s_mul_hi_u32 s12, s3, s27
	s_delay_alu instid0(SALU_CYCLE_1) | instskip(NEXT) | instid1(SALU_CYCLE_1)
	s_add_i32 s12, s3, s12
	s_lshr_b32 s21, s12, s28
	s_delay_alu instid0(SALU_CYCLE_1) | instskip(NEXT) | instid1(SALU_CYCLE_1)
	s_mul_i32 s12, s21, s29
	s_sub_i32 s3, s3, s12
	s_delay_alu instid0(SALU_CYCLE_1) | instskip(NEXT) | instid1(SALU_CYCLE_1)
	s_mul_hi_u32 s12, s3, s30
	s_add_i32 s12, s3, s12
	s_delay_alu instid0(SALU_CYCLE_1)
	s_lshr_b32 s12, s12, s31
	s_waitcnt lgkmcnt(0)
	s_mul_i32 s2, s12, s2
	s_lshl_b32 s23, s12, 3
	s_sub_i32 s2, s3, s2
	s_mov_b32 s12, 0
	s_mul_hi_u32 s3, s2, s8
	s_delay_alu instid0(SALU_CYCLE_1) | instskip(NEXT) | instid1(SALU_CYCLE_1)
	s_add_i32 s2, s2, s3
	s_lshr_b32 s22, s2, s9
	s_delay_alu instid0(SALU_CYCLE_1) | instskip(NEXT) | instid1(SALU_CYCLE_1)
	s_lshl_b32 s2, s22, 1
	s_add_i32 s2, s2, s14
	s_delay_alu instid0(SALU_CYCLE_1) | instskip(SKIP_2) | instid1(SALU_CYCLE_1)
	s_cmp_lt_i32 s2, s4
	s_cselect_b32 s2, -1, 0
	s_add_i32 s3, s23, s15
	s_cmp_lt_i32 s3, s6
	s_cselect_b32 s3, -1, 0
	s_delay_alu instid0(SALU_CYCLE_1) | instskip(NEXT) | instid1(SALU_CYCLE_1)
	s_and_b32 s2, s2, s3
	s_and_not1_b32 vcc_lo, exec_lo, s2
	s_cbranch_vccnz .LBB8_24
; %bb.8:
	s_load_b128 s[0:3], s[0:1], 0x0
	s_lshl_b32 s18, s20, 6
	s_mov_b32 s19, s12
	s_lshl_b32 s24, s14, 3
	s_lshl_b64 s[18:19], s[18:19], 2
	s_mul_i32 s4, s17, s4
	s_add_i32 s17, s24, s15
	s_mul_i32 s21, s21, s6
	v_cvt_f32_ubyte0_e32 v4, 0
	v_cvt_f32_u32_e32 v5, s20
	s_waitcnt lgkmcnt(0)
	s_add_u32 s18, s2, s18
	s_addc_u32 s19, s3, s19
	s_add_i32 s4, s4, s14
	s_delay_alu instid0(SALU_CYCLE_1) | instskip(SKIP_4) | instid1(SALU_CYCLE_1)
	s_mul_i32 s4, s4, s5
	s_mul_i32 s5, s5, s22
	s_add_i32 s4, s4, s15
	s_lshl_b32 s5, s5, 9
	s_add_i32 s4, s4, s21
	s_add_i32 s4, s4, s23
	s_delay_alu instid0(SALU_CYCLE_1) | instskip(NEXT) | instid1(SALU_CYCLE_1)
	s_lshl_b32 s4, s4, 8
	s_add_i32 s5, s5, s4
	s_delay_alu instid0(SALU_CYCLE_1) | instskip(SKIP_1) | instid1(VALU_DEP_2)
	v_or_b32_e32 v1, s5, v0
	v_lshl_or_b32 v0, s17, 8, v0
	v_ashrrev_i32_e32 v2, 31, v1
	s_delay_alu instid0(VALU_DEP_1) | instskip(NEXT) | instid1(VALU_DEP_1)
	v_lshlrev_b64 v[1:2], 2, v[1:2]
	v_add_co_u32 v1, vcc_lo, s0, v1
	s_delay_alu instid0(VALU_DEP_2) | instskip(SKIP_1) | instid1(SALU_CYCLE_1)
	v_add_co_ci_u32_e32 v2, vcc_lo, s1, v2, vcc_lo
	s_lshl_b32 s0, s13, 4
	s_add_i32 s0, s17, s0
	global_load_b32 v3, v[1:2], off
	s_ashr_i32 s1, s0, 31
	s_delay_alu instid0(SALU_CYCLE_1) | instskip(NEXT) | instid1(SALU_CYCLE_1)
	s_lshl_b64 s[0:1], s[0:1], 3
	s_add_u32 s0, s2, s0
	s_addc_u32 s1, s3, s1
	s_add_i32 s14, s13, -1
	s_load_b64 s[0:1], s[0:1], 0x0
	v_fmac_f32_e32 v5, 0x4f800000, v4
	s_sub_i32 s6, 0, s20
	s_waitcnt lgkmcnt(0)
	v_mov_b32_e32 v8, s0
	s_delay_alu instid0(VALU_DEP_2) | instskip(SKIP_2) | instid1(VALU_DEP_2)
	v_rcp_f32_e32 v4, v5
	v_cvt_f32_u32_e32 v5, s20
	v_mov_b32_e32 v7, s1
	v_rcp_iflag_f32_e32 v5, v5
	s_waitcnt_depctr 0xfff
	v_mul_f32_e32 v4, 0x5f7ffffc, v4
	s_delay_alu instid0(VALU_DEP_1) | instskip(SKIP_1) | instid1(VALU_DEP_2)
	v_mul_f32_e32 v6, 0x2f800000, v4
	v_mul_f32_e32 v9, 0x4f7ffffe, v5
	v_trunc_f32_e32 v6, v6
	s_delay_alu instid0(VALU_DEP_1) | instskip(SKIP_1) | instid1(VALU_DEP_4)
	v_fmac_f32_e32 v4, 0xcf800000, v6
	v_cvt_u32_f32_e32 v5, v6
	v_cvt_u32_f32_e32 v6, v9
	s_delay_alu instid0(VALU_DEP_3)
	v_cvt_u32_f32_e32 v4, v4
.LBB8_9:                                ; =>This Inner Loop Header: Depth=1
	s_mul_hi_i32 s13, s14, s7
	s_mul_i32 s4, s14, s7
	s_cmp_lg_u64 s[12:13], 0
	s_mov_b32 s5, -1
                                        ; implicit-def: $sgpr0_sgpr1
	s_cbranch_scc0 .LBB8_11
; %bb.10:                               ;   in Loop: Header=BB8_9 Depth=1
	v_readfirstlane_b32 s0, v4
	v_readfirstlane_b32 s1, v5
	s_sub_u32 s5, 0, s20
	s_subb_u32 s15, 0, 0
	s_delay_alu instid0(VALU_DEP_2) | instskip(NEXT) | instid1(VALU_DEP_1)
	s_mul_hi_u32 s21, s5, s0
	s_mul_i32 s22, s5, s1
	s_mul_i32 s23, s15, s0
	s_add_i32 s21, s21, s22
	s_mul_i32 s22, s5, s0
	s_add_i32 s21, s21, s23
	s_mul_hi_u32 s23, s0, s22
	s_mul_i32 s24, s0, s21
	s_mul_hi_u32 s0, s0, s21
	s_add_u32 s23, s23, s24
	s_mul_i32 s25, s1, s22
	s_addc_u32 s0, 0, s0
	s_mul_hi_u32 s22, s1, s22
	s_mul_hi_u32 s24, s1, s21
	s_add_u32 s23, s23, s25
	s_addc_u32 s0, s0, s22
	s_mul_i32 s21, s1, s21
	s_addc_u32 s22, s24, 0
	s_add_u32 s0, s0, s21
	s_addc_u32 s21, 0, s22
	v_add_co_u32 v9, s0, v4, s0
	s_delay_alu instid0(VALU_DEP_1) | instskip(SKIP_1) | instid1(VALU_DEP_1)
	s_cmp_lg_u32 s0, 0
	s_addc_u32 s1, s1, s21
	v_readfirstlane_b32 s0, v9
	s_mul_i32 s21, s5, s1
	s_delay_alu instid0(VALU_DEP_1)
	s_mul_hi_u32 s22, s5, s0
	s_mul_i32 s15, s15, s0
	s_add_i32 s21, s22, s21
	s_mul_i32 s5, s5, s0
	s_add_i32 s21, s21, s15
	s_mul_hi_u32 s15, s1, s5
	s_mul_i32 s23, s1, s5
	s_mul_i32 s24, s0, s21
	s_mul_hi_u32 s5, s0, s5
	s_mul_hi_u32 s0, s0, s21
	s_add_u32 s5, s5, s24
	s_addc_u32 s0, 0, s0
	s_mul_hi_u32 s22, s1, s21
	s_add_u32 s5, s5, s23
	s_addc_u32 s0, s0, s15
	s_mul_i32 s5, s1, s21
	s_addc_u32 s15, s22, 0
	s_add_u32 s0, s0, s5
	s_addc_u32 s5, 0, s15
	v_add_co_u32 v9, s0, v9, s0
	s_delay_alu instid0(VALU_DEP_1) | instskip(SKIP_2) | instid1(SALU_CYCLE_1)
	s_cmp_lg_u32 s0, 0
	s_addc_u32 s5, s1, s5
	s_ashr_i32 s0, s13, 31
	s_add_u32 s22, s4, s0
	s_addc_u32 s23, s13, s0
	v_readfirstlane_b32 s13, v9
	s_mov_b32 s1, s0
	s_delay_alu instid0(SALU_CYCLE_1) | instskip(NEXT) | instid1(SALU_CYCLE_1)
	s_xor_b64 s[22:23], s[22:23], s[0:1]
	s_mul_i32 s15, s22, s5
	s_delay_alu instid0(VALU_DEP_1)
	s_mul_hi_u32 s21, s22, s13
	s_mul_hi_u32 s24, s22, s5
	s_add_u32 s15, s21, s15
	s_mul_i32 s25, s23, s13
	s_addc_u32 s21, 0, s24
	s_mul_hi_u32 s13, s23, s13
	s_mul_hi_u32 s24, s23, s5
	s_add_u32 s15, s15, s25
	s_addc_u32 s13, s21, s13
	s_mul_i32 s5, s23, s5
	s_addc_u32 s15, s24, 0
	s_add_u32 s5, s13, s5
	s_addc_u32 s13, 0, s15
	s_mul_i32 s21, s20, s5
	s_add_u32 s15, s5, 1
	v_sub_co_u32 v9, s21, s22, s21
	s_addc_u32 s22, s13, 0
	s_mul_i32 s25, s20, s13
	s_mul_hi_u32 s27, s20, s5
	s_delay_alu instid0(VALU_DEP_1)
	v_sub_co_u32 v10, s26, v9, s20
	s_add_u32 s24, s5, 2
	s_addc_u32 s28, s13, 0
	s_add_i32 s27, s27, s25
	s_cmp_lg_u32 s21, 0
	v_readfirstlane_b32 s21, v10
	s_subb_u32 s23, s23, s27
	s_cmp_lg_u32 s26, 0
	s_subb_u32 s25, s23, 0
	s_delay_alu instid0(VALU_DEP_1) | instskip(SKIP_4) | instid1(SALU_CYCLE_1)
	s_cmp_ge_u32 s21, s20
	s_cselect_b32 s21, -1, 0
	s_cmp_eq_u32 s25, 0
	v_readfirstlane_b32 s25, v9
	s_cselect_b32 s21, s21, -1
	s_cmp_lg_u32 s21, 0
	s_cselect_b32 s15, s24, s15
	s_cselect_b32 s21, s28, s22
	s_cmp_ge_u32 s25, s20
	s_cselect_b32 s22, -1, 0
	s_cmp_eq_u32 s23, 0
	s_cselect_b32 s22, s22, -1
	s_delay_alu instid0(SALU_CYCLE_1) | instskip(SKIP_4) | instid1(SALU_CYCLE_1)
	s_cmp_lg_u32 s22, 0
	s_cselect_b32 s23, s21, s13
	s_cselect_b32 s22, s15, s5
	s_mov_b32 s5, 0
	s_xor_b64 s[22:23], s[22:23], s[0:1]
	s_sub_u32 s0, s22, s0
.LBB8_11:                               ;   in Loop: Header=BB8_9 Depth=1
	s_and_not1_b32 vcc_lo, exec_lo, s5
	s_cbranch_vccnz .LBB8_13
; %bb.12:                               ;   in Loop: Header=BB8_9 Depth=1
	v_readfirstlane_b32 s0, v6
	s_delay_alu instid0(VALU_DEP_1) | instskip(NEXT) | instid1(SALU_CYCLE_1)
	s_mul_i32 s1, s6, s0
	s_mul_hi_u32 s1, s0, s1
	s_delay_alu instid0(SALU_CYCLE_1) | instskip(NEXT) | instid1(SALU_CYCLE_1)
	s_add_i32 s0, s0, s1
	s_mul_hi_u32 s0, s4, s0
	s_delay_alu instid0(SALU_CYCLE_1) | instskip(NEXT) | instid1(SALU_CYCLE_1)
	s_mul_i32 s1, s0, s20
	s_sub_i32 s1, s4, s1
	s_add_i32 s4, s0, 1
	s_sub_i32 s5, s1, s20
	s_cmp_ge_u32 s1, s20
	s_cselect_b32 s0, s4, s0
	s_cselect_b32 s1, s5, s1
	s_add_i32 s4, s0, 1
	s_cmp_ge_u32 s1, s20
	s_cselect_b32 s0, s4, s0
.LBB8_13:                               ;   in Loop: Header=BB8_9 Depth=1
	s_delay_alu instid0(SALU_CYCLE_1)
	s_cmp_lg_u32 s16, s0
	s_cbranch_scc0 .LBB8_17
; %bb.14:                               ;   in Loop: Header=BB8_9 Depth=1
	s_add_i32 s1, s14, s20
	s_mov_b32 s5, s12
	s_lshl_b32 s1, s1, 4
	s_mov_b32 s15, s16
	s_add_i32 s4, s1, s17
	s_mul_hi_u32 s1, s0, s8
	s_lshl_b64 s[4:5], s[4:5], 3
	s_delay_alu instid0(SALU_CYCLE_1) | instskip(SKIP_2) | instid1(SALU_CYCLE_1)
	s_add_u32 s4, s2, s4
	s_addc_u32 s5, s3, s5
	s_add_i32 s1, s1, s0
	s_lshr_b32 s1, s1, s9
	s_delay_alu instid0(SALU_CYCLE_1) | instskip(NEXT) | instid1(SALU_CYCLE_1)
	s_mul_i32 s13, s1, s10
	s_cmp_eq_u32 s13, s0
	s_cselect_b32 s13, -1, 0
	s_cmp_lt_u32 s1, s11
	s_cselect_b32 s1, -1, 0
	s_delay_alu instid0(SALU_CYCLE_1)
	s_or_b32 s1, s1, s13
	s_mov_b32 s13, -1
	s_and_b32 vcc_lo, exec_lo, s1
	s_mov_b32 s1, s14
	s_cbranch_vccnz .LBB8_16
; %bb.15:                               ;   in Loop: Header=BB8_9 Depth=1
	s_add_i32 s1, s14, -1
	s_mov_b32 s13, 0
	s_mov_b32 s15, s0
.LBB8_16:                               ;   in Loop: Header=BB8_9 Depth=1
	v_lshl_add_u32 v9, s14, 12, v0
	s_load_b64 s[4:5], s[4:5], 0x0
	s_delay_alu instid0(VALU_DEP_1) | instskip(NEXT) | instid1(VALU_DEP_1)
	v_ashrrev_i32_e32 v10, 31, v9
	v_lshlrev_b64 v[9:10], 2, v[9:10]
	s_delay_alu instid0(VALU_DEP_1) | instskip(NEXT) | instid1(VALU_DEP_2)
	v_add_co_u32 v9, vcc_lo, s18, v9
	v_add_co_ci_u32_e32 v10, vcc_lo, s19, v10, vcc_lo
	s_waitcnt lgkmcnt(0)
	v_max_f32_e64 v11, s4, s4
	global_load_b32 v10, v[9:10], off
	v_max_f32_e32 v9, v8, v8
	s_delay_alu instid0(VALU_DEP_1) | instskip(NEXT) | instid1(VALU_DEP_1)
	v_max_f32_e32 v9, v9, v11
	v_sub_f32_e32 v12, v8, v9
	s_delay_alu instid0(VALU_DEP_1) | instskip(NEXT) | instid1(VALU_DEP_1)
	v_dual_mul_f32 v14, 0x3fb8aa3b, v12 :: v_dual_sub_f32 v11, s4, v9
	v_rndne_f32_e32 v18, v14
	s_delay_alu instid0(VALU_DEP_2) | instskip(SKIP_2) | instid1(VALU_DEP_4)
	v_mul_f32_e32 v13, 0x3fb8aa3b, v11
	v_fma_f32 v17, 0x3fb8aa3b, v12, -v14
	v_cmp_ngt_f32_e32 vcc_lo, 0xc2ce8ed0, v11
	v_sub_f32_e32 v14, v14, v18
	s_delay_alu instid0(VALU_DEP_4) | instskip(SKIP_2) | instid1(VALU_DEP_3)
	v_fma_f32 v15, 0x3fb8aa3b, v11, -v13
	v_rndne_f32_e32 v16, v13
	v_fmac_f32_e32 v17, 0x32a5705f, v12
	v_fmac_f32_e32 v15, 0x32a5705f, v11
	s_delay_alu instid0(VALU_DEP_2) | instskip(NEXT) | instid1(VALU_DEP_1)
	v_dual_sub_f32 v13, v13, v16 :: v_dual_add_f32 v14, v14, v17
	v_add_f32_e32 v13, v13, v15
	s_delay_alu instid0(VALU_DEP_2) | instskip(SKIP_2) | instid1(VALU_DEP_3)
	v_exp_f32_e32 v14, v14
	v_cvt_i32_f32_e32 v15, v16
	v_cvt_i32_f32_e32 v16, v18
	v_exp_f32_e32 v13, v13
	s_waitcnt_depctr 0xfff
	v_ldexp_f32 v14, v14, v16
	v_ldexp_f32 v13, v13, v15
	s_delay_alu instid0(VALU_DEP_1) | instskip(SKIP_1) | instid1(VALU_DEP_4)
	v_cndmask_b32_e32 v13, 0, v13, vcc_lo
	v_cmp_ngt_f32_e32 vcc_lo, 0xc2ce8ed0, v12
	v_cndmask_b32_e32 v14, 0, v14, vcc_lo
	v_cmp_nlt_f32_e32 vcc_lo, 0x42b17218, v11
	s_delay_alu instid0(VALU_DEP_4) | instskip(SKIP_1) | instid1(VALU_DEP_4)
	v_cndmask_b32_e32 v13, 0x7f800000, v13, vcc_lo
	v_cmp_nlt_f32_e32 vcc_lo, 0x42b17218, v12
	v_cndmask_b32_e32 v14, 0x7f800000, v14, vcc_lo
	v_cmp_le_f32_e32 vcc_lo, 0xc1a00000, v11
	s_delay_alu instid0(VALU_DEP_4) | instskip(SKIP_1) | instid1(VALU_DEP_4)
	v_cndmask_b32_e32 v11, 0, v13, vcc_lo
	v_cmp_le_f32_e32 vcc_lo, 0xc1a00000, v12
	v_cndmask_b32_e32 v12, 0, v14, vcc_lo
	s_waitcnt vmcnt(0)
	s_delay_alu instid0(VALU_DEP_3) | instskip(NEXT) | instid1(VALU_DEP_1)
	v_mul_f32_e32 v10, v10, v11
	v_dual_mul_f32 v11, s5, v11 :: v_dual_fmac_f32 v10, v3, v12
	s_delay_alu instid0(VALU_DEP_1)
	v_fmac_f32_e32 v11, v7, v12
	s_cbranch_execz .LBB8_18
	s_branch .LBB8_19
.LBB8_17:                               ;   in Loop: Header=BB8_9 Depth=1
                                        ; implicit-def: $sgpr13
                                        ; implicit-def: $vgpr10
                                        ; implicit-def: $vgpr9
                                        ; implicit-def: $vgpr11
                                        ; implicit-def: $sgpr1
                                        ; implicit-def: $sgpr15
.LBB8_18:                               ;   in Loop: Header=BB8_9 Depth=1
	v_mov_b32_e32 v11, v7
	s_waitcnt vmcnt(0)
	v_dual_mov_b32 v9, v8 :: v_dual_mov_b32 v10, v3
	s_add_i32 s1, s14, -1
	s_mov_b32 s13, 0
	s_mov_b32 s15, s16
.LBB8_19:                               ;   in Loop: Header=BB8_9 Depth=1
	s_and_not1_b32 vcc_lo, exec_lo, s13
	s_cbranch_vccz .LBB8_23
; %bb.20:                               ;   in Loop: Header=BB8_9 Depth=1
	v_dual_mov_b32 v7, v11 :: v_dual_mov_b32 v8, v9
	s_waitcnt vmcnt(0)
	v_mov_b32_e32 v3, v10
	s_mov_b32 s16, s15
	s_mov_b32 s14, s1
	s_branch .LBB8_9
.LBB8_21:
                                        ; implicit-def: $sgpr16_sgpr17
	s_load_b128 s[8:11], s[0:1], 0x44
	s_branch .LBB8_2
.LBB8_22:
                                        ; implicit-def: $sgpr18_sgpr19
	s_branch .LBB8_5
.LBB8_23:
	v_div_scale_f32 v0, null, v11, v11, v10
	s_waitcnt vmcnt(0)
	s_delay_alu instid0(VALU_DEP_1) | instskip(SKIP_2) | instid1(VALU_DEP_1)
	v_rcp_f32_e32 v3, v0
	s_waitcnt_depctr 0xfff
	v_fma_f32 v4, -v0, v3, 1.0
	v_fmac_f32_e32 v3, v4, v3
	v_div_scale_f32 v4, vcc_lo, v10, v11, v10
	s_delay_alu instid0(VALU_DEP_1) | instskip(NEXT) | instid1(VALU_DEP_1)
	v_mul_f32_e32 v5, v4, v3
	v_fma_f32 v6, -v0, v5, v4
	s_delay_alu instid0(VALU_DEP_1) | instskip(NEXT) | instid1(VALU_DEP_1)
	v_fmac_f32_e32 v5, v6, v3
	v_fma_f32 v0, -v0, v5, v4
	s_delay_alu instid0(VALU_DEP_1) | instskip(NEXT) | instid1(VALU_DEP_1)
	v_div_fmas_f32 v0, v0, v3, v5
	v_div_fixup_f32 v0, v0, v11, v10
	global_store_b32 v[1:2], v0, off
.LBB8_24:
	s_nop 0
	s_sendmsg sendmsg(MSG_DEALLOC_VGPRS)
	s_endpgm
	.section	.rodata,"a",@progbits
	.p2align	6, 0x0
	.amdhsa_kernel _ZL33flash_attn_stream_k_fixup_generalILi256ELi2ELi8EEvPfPK15HIP_vector_typeIfLj2EEiiiiS1_IjLj3EES5_S5_S5_
		.amdhsa_group_segment_fixed_size 0
		.amdhsa_private_segment_fixed_size 0
		.amdhsa_kernarg_size 336
		.amdhsa_user_sgpr_count 13
		.amdhsa_user_sgpr_dispatch_ptr 0
		.amdhsa_user_sgpr_queue_ptr 0
		.amdhsa_user_sgpr_kernarg_segment_ptr 1
		.amdhsa_user_sgpr_dispatch_id 0
		.amdhsa_user_sgpr_private_segment_size 0
		.amdhsa_wavefront_size32 1
		.amdhsa_uses_dynamic_stack 0
		.amdhsa_enable_private_segment 0
		.amdhsa_system_sgpr_workgroup_id_x 1
		.amdhsa_system_sgpr_workgroup_id_y 1
		.amdhsa_system_sgpr_workgroup_id_z 1
		.amdhsa_system_sgpr_workgroup_info 0
		.amdhsa_system_vgpr_workitem_id 0
		.amdhsa_next_free_vgpr 19
		.amdhsa_next_free_sgpr 32
		.amdhsa_reserve_vcc 1
		.amdhsa_float_round_mode_32 0
		.amdhsa_float_round_mode_16_64 0
		.amdhsa_float_denorm_mode_32 3
		.amdhsa_float_denorm_mode_16_64 3
		.amdhsa_dx10_clamp 1
		.amdhsa_ieee_mode 1
		.amdhsa_fp16_overflow 0
		.amdhsa_workgroup_processor_mode 1
		.amdhsa_memory_ordered 1
		.amdhsa_forward_progress 0
		.amdhsa_shared_vgpr_count 0
		.amdhsa_exception_fp_ieee_invalid_op 0
		.amdhsa_exception_fp_denorm_src 0
		.amdhsa_exception_fp_ieee_div_zero 0
		.amdhsa_exception_fp_ieee_overflow 0
		.amdhsa_exception_fp_ieee_underflow 0
		.amdhsa_exception_fp_ieee_inexact 0
		.amdhsa_exception_int_div_zero 0
	.end_amdhsa_kernel
	.section	.text._ZL33flash_attn_stream_k_fixup_generalILi256ELi2ELi8EEvPfPK15HIP_vector_typeIfLj2EEiiiiS1_IjLj3EES5_S5_S5_,"axG",@progbits,_ZL33flash_attn_stream_k_fixup_generalILi256ELi2ELi8EEvPfPK15HIP_vector_typeIfLj2EEiiiiS1_IjLj3EES5_S5_S5_,comdat
.Lfunc_end8:
	.size	_ZL33flash_attn_stream_k_fixup_generalILi256ELi2ELi8EEvPfPK15HIP_vector_typeIfLj2EEiiiiS1_IjLj3EES5_S5_S5_, .Lfunc_end8-_ZL33flash_attn_stream_k_fixup_generalILi256ELi2ELi8EEvPfPK15HIP_vector_typeIfLj2EEiiiiS1_IjLj3EES5_S5_S5_
                                        ; -- End function
	.section	.AMDGPU.csdata,"",@progbits
; Kernel info:
; codeLenInByte = 3224
; NumSgprs: 34
; NumVgprs: 19
; ScratchSize: 0
; MemoryBound: 0
; FloatMode: 240
; IeeeMode: 1
; LDSByteSize: 0 bytes/workgroup (compile time only)
; SGPRBlocks: 4
; VGPRBlocks: 2
; NumSGPRsForWavesPerEU: 34
; NumVGPRsForWavesPerEU: 19
; Occupancy: 16
; WaveLimiterHint : 0
; COMPUTE_PGM_RSRC2:SCRATCH_EN: 0
; COMPUTE_PGM_RSRC2:USER_SGPR: 13
; COMPUTE_PGM_RSRC2:TRAP_HANDLER: 0
; COMPUTE_PGM_RSRC2:TGID_X_EN: 1
; COMPUTE_PGM_RSRC2:TGID_Y_EN: 1
; COMPUTE_PGM_RSRC2:TGID_Z_EN: 1
; COMPUTE_PGM_RSRC2:TIDIG_COMP_CNT: 0
	.section	.text._ZL15flash_attn_tileILi256ELi256ELi1ELi8ELb0EEvPKcS1_S1_S1_S1_PKiPfP15HIP_vector_typeIfLj2EEffffjfiS5_IjLj3EEiiiiiiiiiiiliiliiiiil,"axG",@progbits,_ZL15flash_attn_tileILi256ELi256ELi1ELi8ELb0EEvPKcS1_S1_S1_S1_PKiPfP15HIP_vector_typeIfLj2EEffffjfiS5_IjLj3EEiiiiiiiiiiiliiliiiiil,comdat
	.globl	_ZL15flash_attn_tileILi256ELi256ELi1ELi8ELb0EEvPKcS1_S1_S1_S1_PKiPfP15HIP_vector_typeIfLj2EEffffjfiS5_IjLj3EEiiiiiiiiiiiliiliiiiil ; -- Begin function _ZL15flash_attn_tileILi256ELi256ELi1ELi8ELb0EEvPKcS1_S1_S1_S1_PKiPfP15HIP_vector_typeIfLj2EEffffjfiS5_IjLj3EEiiiiiiiiiiiliiliiiiil
	.p2align	8
	.type	_ZL15flash_attn_tileILi256ELi256ELi1ELi8ELb0EEvPKcS1_S1_S1_S1_PKiPfP15HIP_vector_typeIfLj2EEffffjfiS5_IjLj3EEiiiiiiiiiiiliiliiiiil,@function
_ZL15flash_attn_tileILi256ELi256ELi1ELi8ELb0EEvPKcS1_S1_S1_S1_PKiPfP15HIP_vector_typeIfLj2EEffffjfiS5_IjLj3EEiiiiiiiiiiiliiliiiiil: ; @_ZL15flash_attn_tileILi256ELi256ELi1ELi8ELb0EEvPKcS1_S1_S1_S1_PKiPfP15HIP_vector_typeIfLj2EEffffjfiS5_IjLj3EEiiiiiiiiiiiliiliiiiil
; %bb.0:
	s_clause 0x1
	s_load_b128 s[8:11], s[0:1], 0x5c
	s_load_b64 s[34:35], s[0:1], 0x80
	s_mov_b64 s[36:37], 0
	s_waitcnt lgkmcnt(0)
	s_ashr_i32 s2, s11, 31
	s_delay_alu instid0(SALU_CYCLE_1) | instskip(NEXT) | instid1(SALU_CYCLE_1)
	s_lshr_b32 s2, s2, 29
	s_add_i32 s2, s11, s2
	s_delay_alu instid0(SALU_CYCLE_1) | instskip(NEXT) | instid1(SALU_CYCLE_1)
	s_ashr_i32 s2, s2, 3
	v_cvt_f32_u32_e32 v1, s2
	s_sub_i32 s4, 0, s2
	s_delay_alu instid0(VALU_DEP_1) | instskip(SKIP_2) | instid1(VALU_DEP_1)
	v_rcp_iflag_f32_e32 v1, v1
	s_waitcnt_depctr 0xfff
	v_mul_f32_e32 v1, 0x4f7ffffe, v1
	v_cvt_u32_f32_e32 v1, v1
	s_delay_alu instid0(VALU_DEP_1) | instskip(NEXT) | instid1(VALU_DEP_1)
	v_readfirstlane_b32 s3, v1
	s_mul_i32 s4, s4, s3
	s_delay_alu instid0(SALU_CYCLE_1) | instskip(NEXT) | instid1(SALU_CYCLE_1)
	s_mul_hi_u32 s4, s3, s4
	s_add_i32 s3, s3, s4
	s_delay_alu instid0(SALU_CYCLE_1) | instskip(NEXT) | instid1(SALU_CYCLE_1)
	s_mul_hi_u32 s3, s15, s3
	s_mul_i32 s4, s3, s2
	s_add_i32 s5, s3, 1
	s_sub_i32 s4, s15, s4
	s_delay_alu instid0(SALU_CYCLE_1)
	s_sub_i32 s6, s4, s2
	s_cmp_ge_u32 s4, s2
	s_cselect_b32 s3, s5, s3
	s_cselect_b32 s4, s6, s4
	s_add_i32 s5, s3, 1
	s_cmp_ge_u32 s4, s2
	s_cselect_b32 s33, s5, s3
	s_abs_i32 s2, s35
	s_abs_i32 s7, s11
	v_cvt_f32_u32_e32 v1, s2
	s_sub_i32 s4, 0, s2
	s_lshl_b32 s5, s15, 3
	s_mul_i32 s6, s33, s11
	s_delay_alu instid0(VALU_DEP_1) | instskip(SKIP_3) | instid1(VALU_DEP_1)
	v_rcp_iflag_f32_e32 v1, v1
	s_sub_i32 s15, s5, s6
	s_waitcnt_depctr 0xfff
	v_mul_f32_e32 v1, 0x4f7ffffe, v1
	v_cvt_u32_f32_e32 v1, v1
	s_delay_alu instid0(VALU_DEP_1) | instskip(NEXT) | instid1(VALU_DEP_1)
	v_readfirstlane_b32 s3, v1
	s_mul_i32 s4, s4, s3
	s_delay_alu instid0(SALU_CYCLE_1) | instskip(NEXT) | instid1(SALU_CYCLE_1)
	s_mul_hi_u32 s4, s3, s4
	s_add_i32 s3, s3, s4
	s_xor_b32 s4, s11, s35
	s_mul_hi_u32 s3, s7, s3
	s_ashr_i32 s4, s4, 31
	s_mul_i32 s5, s3, s2
	s_add_i32 s6, s3, 1
	s_sub_i32 s5, s7, s5
	s_delay_alu instid0(SALU_CYCLE_1)
	s_sub_i32 s7, s5, s2
	s_cmp_ge_u32 s5, s2
	s_cselect_b32 s3, s6, s3
	s_cselect_b32 s5, s7, s5
	s_add_i32 s6, s3, 1
	s_cmp_ge_u32 s5, s2
	s_cselect_b32 s2, s6, s3
	s_delay_alu instid0(SALU_CYCLE_1) | instskip(NEXT) | instid1(SALU_CYCLE_1)
	s_xor_b32 s2, s2, s4
	s_sub_i32 s35, s2, s4
	s_clause 0x1
	s_load_b512 s[16:31], s[0:1], 0x0
	s_load_b64 s[2:3], s[0:1], 0xb8
	s_abs_i32 s12, s35
	s_delay_alu instid0(SALU_CYCLE_1) | instskip(NEXT) | instid1(VALU_DEP_1)
	v_cvt_f32_u32_e32 v1, s12
	v_rcp_iflag_f32_e32 v1, v1
	s_waitcnt_depctr 0xfff
	v_mul_f32_e32 v1, 0x4f7ffffe, v1
	s_waitcnt lgkmcnt(0)
	s_cmp_eq_u64 s[22:23], 0
	s_delay_alu instid0(VALU_DEP_1) | instskip(NEXT) | instid1(VALU_DEP_1)
	v_cvt_u32_f32_e32 v1, v1
	v_readfirstlane_b32 s38, v1
	s_cbranch_scc1 .LBB9_2
; %bb.1:
	s_abs_i32 s2, s2
	s_abs_i32 s6, s33
	v_cvt_f32_u32_e32 v1, s2
	s_sub_i32 s5, 0, s2
	s_delay_alu instid0(VALU_DEP_1) | instskip(SKIP_2) | instid1(VALU_DEP_1)
	v_rcp_iflag_f32_e32 v1, v1
	s_waitcnt_depctr 0xfff
	v_mul_f32_e32 v1, 0x4f7ffffe, v1
	v_cvt_u32_f32_e32 v1, v1
	s_delay_alu instid0(VALU_DEP_1) | instskip(NEXT) | instid1(VALU_DEP_1)
	v_readfirstlane_b32 s4, v1
	s_mul_i32 s5, s5, s4
	s_delay_alu instid0(SALU_CYCLE_1) | instskip(NEXT) | instid1(SALU_CYCLE_1)
	s_mul_hi_u32 s5, s4, s5
	s_add_i32 s7, s4, s5
	s_load_b64 s[4:5], s[0:1], 0xc8
	s_mul_hi_u32 s7, s6, s7
	s_delay_alu instid0(SALU_CYCLE_1) | instskip(NEXT) | instid1(SALU_CYCLE_1)
	s_mul_i32 s7, s7, s2
	s_sub_i32 s6, s6, s7
	s_ashr_i32 s7, s33, 31
	s_sub_i32 s36, s6, s2
	s_cmp_ge_u32 s6, s2
	s_cselect_b32 s6, s36, s6
	s_delay_alu instid0(SALU_CYCLE_1) | instskip(SKIP_2) | instid1(SALU_CYCLE_1)
	s_sub_i32 s36, s6, s2
	s_cmp_ge_u32 s6, s2
	s_cselect_b32 s2, s36, s6
	s_xor_b32 s2, s2, s7
	s_delay_alu instid0(SALU_CYCLE_1)
	s_sub_i32 s2, s2, s7
	s_waitcnt lgkmcnt(0)
	s_mul_i32 s5, s2, s5
	s_mul_hi_u32 s6, s2, s4
	s_ashr_i32 s7, s2, 31
	s_add_i32 s5, s6, s5
	s_mul_i32 s7, s7, s4
	s_mul_i32 s2, s2, s4
	s_add_i32 s5, s5, s7
	s_add_u32 s36, s22, s2
	s_addc_u32 s37, s23, s5
.LBB9_2:
	v_bfe_u32 v1, v0, 10, 10
	s_load_b128 s[4:7], s[0:1], 0x70
	v_and_b32_e32 v33, 0x3ff, v0
	s_delay_alu instid0(VALU_DEP_2) | instskip(SKIP_1) | instid1(VALU_DEP_3)
	v_lshrrev_b32_e32 v2, 2, v1
	v_lshlrev_b32_e32 v5, 1, v1
	v_lshlrev_b32_e32 v20, 3, v33
	;; [unrolled: 1-line block ×3, first 2 shown]
	s_delay_alu instid0(VALU_DEP_4) | instskip(NEXT) | instid1(VALU_DEP_4)
	v_add_nc_u32_e32 v32, s13, v2
	v_and_b32_e32 v70, 6, v5
	v_or_b32_e32 v19, 1, v5
	v_lshl_or_b32 v20, v1, 10, v20
	s_delay_alu instid0(VALU_DEP_4) | instskip(NEXT) | instid1(VALU_DEP_3)
	v_mul_hi_u32 v2, s8, v32
	v_and_b32_e32 v12, 7, v19
	v_lshlrev_b32_e32 v19, 7, v19
	s_delay_alu instid0(VALU_DEP_4) | instskip(SKIP_3) | instid1(VALU_DEP_4)
	v_add_nc_u32_e32 v27, 0x4000, v20
	s_waitcnt lgkmcnt(0)
	s_mul_i32 s2, s33, s6
	s_mul_i32 s6, s15, s5
	v_add_nc_u32_e32 v2, v32, v2
	s_ashr_i32 s7, s2, 31
	s_add_u32 s2, s16, s2
	s_addc_u32 s7, s17, s7
	s_ashr_i32 s8, s6, 31
	v_lshrrev_b32_e32 v2, s9, v2
	s_add_u32 s2, s2, s6
	s_addc_u32 s6, s7, s8
	s_ashr_i32 s7, s4, 31
	s_delay_alu instid0(VALU_DEP_1) | instskip(SKIP_2) | instid1(SALU_CYCLE_1)
	v_mul_lo_u32 v2, v2, s10
	v_alignbit_b32 v6, s7, s4, 2
	s_ashr_i32 s4, s5, 31
	v_alignbit_b32 v9, s4, s5, 2
	s_lshr_b32 s5, s7, 2
	s_lshr_b32 s4, s4, 2
	s_cmp_eq_u64 s[26:27], 0
	s_delay_alu instid0(VALU_DEP_3) | instskip(SKIP_1) | instid1(VALU_DEP_2)
	v_sub_nc_u32_e32 v2, v32, v2
	v_mad_u64_u32 v[7:8], null, v9, v12, 0
	v_mad_u64_u32 v[3:4], null, v6, v2, 0
	;; [unrolled: 1-line block ×3, first 2 shown]
	s_delay_alu instid0(VALU_DEP_1) | instskip(NEXT) | instid1(VALU_DEP_2)
	v_mad_u64_u32 v[9:10], null, s5, v2, v[4:5]
	v_mov_b32_e32 v4, v6
	v_mov_b32_e32 v6, v8
	s_mov_b32 s5, 0
	s_delay_alu instid0(VALU_DEP_2) | instskip(NEXT) | instid1(VALU_DEP_4)
	v_mad_u64_u32 v[10:11], null, s4, v70, v[4:5]
	v_mov_b32_e32 v4, v9
	s_delay_alu instid0(VALU_DEP_3) | instskip(NEXT) | instid1(VALU_DEP_2)
	v_mad_u64_u32 v[8:9], null, s4, v12, v[6:7]
	v_lshlrev_b64 v[3:4], 2, v[3:4]
	s_delay_alu instid0(VALU_DEP_4) | instskip(NEXT) | instid1(VALU_DEP_2)
	v_mov_b32_e32 v6, v10
	v_add_co_u32 v9, vcc_lo, s2, v3
	s_delay_alu instid0(VALU_DEP_3) | instskip(NEXT) | instid1(VALU_DEP_3)
	v_add_co_ci_u32_e32 v10, vcc_lo, s6, v4, vcc_lo
	v_lshlrev_b64 v[3:4], 2, v[5:6]
	s_delay_alu instid0(VALU_DEP_3) | instskip(NEXT) | instid1(VALU_DEP_3)
	v_add_co_u32 v0, vcc_lo, v9, v0
	v_add_co_ci_u32_e32 v9, vcc_lo, 0, v10, vcc_lo
	v_lshlrev_b64 v[5:6], 2, v[7:8]
	s_delay_alu instid0(VALU_DEP_3) | instskip(NEXT) | instid1(VALU_DEP_3)
	v_add_co_u32 v7, vcc_lo, v0, v3
	v_add_co_ci_u32_e32 v8, vcc_lo, v9, v4, vcc_lo
	s_load_b32 s2, s[0:1], 0x40
	s_delay_alu instid0(VALU_DEP_3) | instskip(NEXT) | instid1(VALU_DEP_4)
	v_add_co_u32 v15, vcc_lo, v0, v5
	v_add_co_ci_u32_e32 v16, vcc_lo, v9, v6, vcc_lo
	s_clause 0x3
	global_load_b128 v[3:6], v[7:8], off
	global_load_b128 v[7:10], v[7:8], off offset:512
	global_load_b128 v[11:14], v[15:16], off
	global_load_b128 v[15:18], v[15:16], off offset:512
	v_lshlrev_b32_e32 v0, 1, v33
	s_delay_alu instid0(VALU_DEP_1) | instskip(NEXT) | instid1(VALU_DEP_1)
	v_add_lshl_u32 v19, v19, v0, 2
	v_add_nc_u32_e32 v28, 0x4000, v19
	s_waitcnt vmcnt(3) lgkmcnt(0)
	v_fma_mixlo_f16 v19, v3, s2, 0
	v_fma_mixlo_f16 v20, v5, s2, 0
	s_waitcnt vmcnt(2)
	v_fma_mixlo_f16 v21, v7, s2, 0
	v_fma_mixlo_f16 v22, v9, s2, 0
	s_waitcnt vmcnt(1)
	;; [unrolled: 3-line block ×3, first 2 shown]
	v_fma_mixlo_f16 v25, v15, s2, 0
	v_fma_mixlo_f16 v26, v17, s2, 0
	v_fma_mixhi_f16 v20, v6, s2, 0
	v_fma_mixhi_f16 v19, v4, s2, 0
	;; [unrolled: 1-line block ×8, first 2 shown]
	ds_store_2addr_b64 v27, v[19:20], v[21:22] offset0:64 offset1:96
	ds_store_2addr_b64 v28, v[23:24], v[25:26] offset0:64 offset1:96
	s_waitcnt lgkmcnt(0)
	s_barrier
	buffer_gl0_inv
	s_cbranch_scc1 .LBB9_4
; %bb.3:
	s_load_b32 s2, s[0:1], 0xd0
	s_waitcnt lgkmcnt(0)
	s_mul_i32 s2, s2, s33
	s_delay_alu instid0(SALU_CYCLE_1) | instskip(NEXT) | instid1(SALU_CYCLE_1)
	s_add_i32 s4, s2, s13
	s_lshl_b64 s[4:5], s[4:5], 2
	s_delay_alu instid0(SALU_CYCLE_1)
	s_add_u32 s4, s26, s4
	s_addc_u32 s5, s27, s5
	s_load_b32 s34, s[4:5], 0x0
.LBB9_4:
	v_lshlrev_b32_e32 v69, 2, v33
	v_mbcnt_lo_u32_b32 v71, -1, 0
	s_lshl_b32 s9, s14, 5
	s_waitcnt lgkmcnt(0)
	s_cmp_lt_i32 s9, s34
	s_cbranch_scc1 .LBB9_6
; %bb.5:
	v_mbcnt_lo_u32_b32 v3, -1, 0
	v_mov_b32_e32 v73, 32
	s_mov_b32 s2, 0
	s_mov_b32 s4, 0xfeffffff
	s_delay_alu instid0(VALU_DEP_2)
	v_xor_b32_e32 v81, 16, v3
	v_xor_b32_e32 v78, 8, v3
	;; [unrolled: 1-line block ×5, first 2 shown]
	s_branch .LBB9_7
.LBB9_6:
	s_mov_b32 s2, -1
                                        ; implicit-def: $sgpr4
                                        ; implicit-def: $vgpr3
                                        ; implicit-def: $vgpr73
                                        ; implicit-def: $vgpr81
                                        ; implicit-def: $vgpr78
                                        ; implicit-def: $vgpr76
                                        ; implicit-def: $vgpr75
                                        ; implicit-def: $vgpr74
.LBB9_7:
	s_delay_alu instid0(SALU_CYCLE_1) | instskip(SKIP_2) | instid1(VALU_DEP_3)
	v_cndmask_b32_e64 v4, 0, 1, s2
	v_dual_mov_b32 v68, s4 :: v_dual_mov_b32 v79, s2
	v_dual_mov_b32 v118, s2 :: v_dual_mov_b32 v67, s4
	v_cmp_ne_u32_e32 vcc_lo, 1, v4
	v_dual_mov_b32 v82, s2 :: v_dual_mov_b32 v115, s2
	v_dual_mov_b32 v80, s2 :: v_dual_mov_b32 v113, s2
	;; [unrolled: 1-line block ×3, first 2 shown]
	v_mov_b32_e32 v72, s2
	v_mov_b32_e32 v112, s2
	s_cbranch_vccnz .LBB9_11
; %bb.8:
	s_clause 0x1
	s_load_b128 s[4:7], s[0:1], 0x98
	s_load_b64 s[22:23], s[0:1], 0x8c
	s_sub_i32 s2, 0, s12
	s_abs_i32 s8, s15
	s_mul_i32 s2, s2, s38
	s_ashr_i32 s13, s15, 31
	s_mul_hi_u32 s2, s38, s2
	s_ashr_i32 s35, s35, 31
	s_add_i32 s38, s38, s2
	s_ashr_i32 s2, s3, 1
	s_mul_hi_u32 s3, s8, s38
	s_ashr_i32 s38, s33, 31
	s_load_b64 s[26:27], s[0:1], 0xa8
	s_mul_i32 s39, s3, s12
	v_mad_u64_u32 v[34:35], null, v2, s2, v[33:34]
	v_dual_mov_b32 v112, 0 :: v_dual_lshlrev_b32 v77, 2, v69
	v_lshl_add_u32 v84, v1, 10, 0x4200
	v_lshl_add_u32 v85, v1, 7, 0x5200
	s_waitcnt lgkmcnt(0)
	s_mul_i32 s5, s33, s5
	s_mul_hi_u32 s40, s33, s4
	s_mul_i32 s41, s38, s4
	s_add_i32 s5, s40, s5
	s_mul_i32 s4, s33, s4
	s_ashr_i32 s16, s6, 2
	s_ashr_i32 s17, s22, 2
	s_add_i32 s5, s5, s41
	s_add_u32 s4, s18, s4
	s_addc_u32 s5, s19, s5
	s_sub_i32 s8, s8, s39
	s_xor_b32 s13, s13, s35
	s_add_i32 s18, s3, 1
	s_sub_i32 s19, s8, s12
	s_cmp_ge_u32 s8, s12
	s_mul_i32 s38, s38, s26
	s_cselect_b32 s3, s18, s3
	s_cselect_b32 s8, s19, s8
	s_add_i32 s18, s3, 1
	s_cmp_ge_u32 s8, s12
	s_mul_i32 s8, s33, s27
	s_cselect_b32 s3, s18, s3
	s_mul_hi_u32 s12, s33, s26
	s_xor_b32 s3, s3, s13
	v_mul_lo_u32 v3, s17, v1
	s_sub_i32 s3, s3, s13
	v_mul_lo_u32 v9, s16, v1
	s_mul_i32 s18, s3, s23
	s_mul_i32 s13, s33, s26
	s_ashr_i32 s19, s18, 31
	s_add_u32 s18, s4, s18
	s_addc_u32 s19, s5, s19
	s_add_i32 s4, s12, s8
	s_mul_i32 s3, s3, s7
	s_add_i32 s4, s4, s38
	s_add_u32 s5, s20, s13
	s_addc_u32 s4, s21, s4
	s_ashr_i32 s7, s3, 31
	s_add_u32 s20, s5, s3
	s_addc_u32 s21, s4, s7
	s_and_b32 s3, s22, -4
	s_and_b32 s2, s6, -4
	v_dual_mov_b32 v82, 0 :: v_dual_add_nc_u32 v5, s3, v3
	v_dual_mov_b32 v118, 0 :: v_dual_add_nc_u32 v13, s2, v9
	s_delay_alu instid0(VALU_DEP_2) | instskip(SKIP_1) | instid1(VALU_DEP_3)
	v_dual_mov_b32 v72, 0 :: v_dual_add_nc_u32 v7, s3, v5
	v_mad_u32_u24 v86, 0x210, v1, v77
	v_add_nc_u32_e32 v17, s2, v13
	v_lshl_add_u32 v87, v1, 9, v77
	s_delay_alu instid0(VALU_DEP_4) | instskip(NEXT) | instid1(VALU_DEP_3)
	v_dual_mov_b32 v114, 0 :: v_dual_add_nc_u32 v11, s3, v7
	v_dual_mov_b32 v68, 0xfeffffff :: v_dual_add_nc_u32 v21, s2, v17
	v_ashrrev_i32_e32 v4, 31, v3
	v_ashrrev_i32_e32 v6, 31, v5
	s_delay_alu instid0(VALU_DEP_4)
	v_add_nc_u32_e32 v1, s3, v11
	v_ashrrev_i32_e32 v8, 31, v7
	v_add_nc_u32_e32 v25, s2, v21
	v_ashrrev_i32_e32 v12, 31, v11
	v_ashrrev_i32_e32 v10, 31, v9
	v_add_nc_u32_e32 v15, s3, v1
	v_ashrrev_i32_e32 v2, 31, v1
	v_add_nc_u32_e32 v27, s2, v25
	v_ashrrev_i32_e32 v14, 31, v13
	v_ashrrev_i32_e32 v18, 31, v17
	v_add_nc_u32_e32 v19, s3, v15
	v_ashrrev_i32_e32 v16, 31, v15
	v_add_nc_u32_e32 v29, s2, v27
	v_ashrrev_i32_e32 v22, 31, v21
	v_ashrrev_i32_e32 v26, 31, v25
	v_add_nc_u32_e32 v23, s3, v19
	v_ashrrev_i32_e32 v20, 31, v19
	v_add_nc_u32_e32 v65, s2, v29
	v_ashrrev_i32_e32 v28, 31, v27
	v_ashrrev_i32_e32 v30, 31, v29
	v_ashrrev_i32_e32 v24, 31, v23
	v_lshlrev_b32_e32 v103, 2, v0
	v_ashrrev_i32_e32 v66, 31, v65
	v_lshlrev_b64 v[35:36], 2, v[3:4]
	v_lshlrev_b64 v[37:38], 2, v[5:6]
	;; [unrolled: 1-line block ×16, first 2 shown]
	v_mul_u32_u24_e32 v83, 0x210, v33
	v_dual_mov_b32 v111, 0 :: v_dual_add_nc_u32 v88, 0x840, v86
	v_dual_mov_b32 v80, 0 :: v_dual_add_nc_u32 v89, 0x1080, v86
	;; [unrolled: 1-line block ×3, first 2 shown]
	v_add_nc_u32_e32 v91, 0x2100, v86
	v_dual_mov_b32 v113, 0 :: v_dual_add_nc_u32 v92, 0x2940, v86
	v_add_nc_u32_e32 v93, 0x3180, v86
	v_dual_mov_b32 v115, 0 :: v_dual_add_nc_u32 v94, 0x39c0, v86
	v_lshl_add_u32 v95, v0, 1, v85
	v_dual_mov_b32 v79, 0 :: v_dual_add_nc_u32 v96, 0x800, v87
	v_add_nc_u32_e32 v97, 0x1000, v87
	v_add_nc_u32_e32 v98, 0x1800, v87
	;; [unrolled: 1-line block ×6, first 2 shown]
	v_mov_b32_e32 v67, 0xfeffffff
	v_xor_b32_e32 v81, 16, v71
	v_xor_b32_e32 v78, 8, v71
	;; [unrolled: 1-line block ×5, first 2 shown]
	v_add_nc_u32_e32 v104, 0x800, v103
	v_add_nc_u32_e32 v105, 0x1000, v103
	;; [unrolled: 1-line block ×7, first 2 shown]
	s_add_u32 s12, s0, 0xd0
	s_addc_u32 s13, s1, 0
.LBB9_9:                                ; =>This Inner Loop Header: Depth=1
	s_mul_hi_i32 s3, s9, s17
	s_mul_i32 s2, s9, s17
	v_dual_mov_b32 v119, 0 :: v_dual_mov_b32 v120, 0
	s_lshl_b64 s[2:3], s[2:3], 2
	v_dual_mov_b32 v116, v68 :: v_dual_mov_b32 v117, v67
	s_add_u32 s8, s18, s2
	s_addc_u32 s22, s19, s3
	v_add_co_u32 v0, vcc_lo, s8, v37
	v_add_co_u32 v1, s2, s8, v39
	v_add_co_u32 v2, s3, s8, v41
	;; [unrolled: 1-line block ×7, first 2 shown]
	s_delay_alu instid0(VALU_DEP_1)
	v_add_co_ci_u32_e64 v10, s8, s22, v36, s8
	v_add_co_ci_u32_e32 v11, vcc_lo, s22, v38, vcc_lo
	v_add_co_ci_u32_e64 v13, vcc_lo, s22, v40, s2
	v_add_co_ci_u32_e64 v14, vcc_lo, s22, v42, s3
	;; [unrolled: 1-line block ×6, first 2 shown]
	v_add_co_u32 v4, vcc_lo, v0, v77
	v_add_co_u32 v0, s8, v9, v77
	v_add_co_u32 v8, s2, v1, v77
	v_add_co_ci_u32_e64 v1, s8, 0, v10, s8
	v_add_co_u32 v12, s3, v2, v77
	v_add_co_u32 v20, s5, v5, v77
	v_add_co_ci_u32_e32 v5, vcc_lo, 0, v11, vcc_lo
	v_add_co_u32 v16, s4, v3, v77
	v_add_co_u32 v24, s6, v6, v77
	;; [unrolled: 1-line block ×3, first 2 shown]
	v_add_co_ci_u32_e64 v9, vcc_lo, 0, v13, s2
	v_add_co_ci_u32_e64 v13, vcc_lo, 0, v14, s3
	v_add_co_ci_u32_e64 v17, vcc_lo, 0, v15, s4
	v_add_co_ci_u32_e64 v21, vcc_lo, 0, v18, s5
	v_add_co_ci_u32_e64 v25, vcc_lo, 0, v19, s6
	v_add_co_ci_u32_e64 v29, vcc_lo, 0, v22, s7
	s_clause 0x7
	global_load_b128 v[0:3], v[0:1], off
	global_load_b128 v[4:7], v[4:5], off
	global_load_b128 v[8:11], v[8:9], off
	global_load_b128 v[12:15], v[12:13], off
	global_load_b128 v[16:19], v[16:17], off
	global_load_b128 v[20:23], v[20:21], off
	global_load_b128 v[24:27], v[24:25], off
	global_load_b128 v[28:31], v[28:29], off
	v_cmp_gt_i32_e32 vcc_lo, 32, v81
	v_add_nc_u32_e32 v67, s9, v34
	v_dual_mov_b32 v121, v118 :: v_dual_max_f32 v126, v116, v116
	v_cmp_gt_i32_e64 s2, 32, v78
	v_cndmask_b32_e32 v118, v71, v81, vcc_lo
	s_delay_alu instid0(VALU_DEP_4)
	v_ashrrev_i32_e32 v68, 31, v67
	v_cmp_gt_i32_e64 s3, 32, v76
	s_mul_hi_i32 s7, s9, s16
	s_mul_i32 s6, s9, s16
	v_cmp_gt_i32_e64 s4, 32, v75
	v_lshlrev_b64 v[67:68], 1, v[67:68]
	v_cmp_gt_i32_e64 s5, 32, v74
	v_cndmask_b32_e64 v122, v71, v78, s2
	v_cndmask_b32_e64 v123, v71, v76, s3
	s_lshl_b64 s[2:3], s[6:7], 2
	v_cndmask_b32_e64 v124, v71, v75, s4
	v_add_co_u32 v67, vcc_lo, s36, v67
	v_add_co_ci_u32_e32 v68, vcc_lo, s37, v68, vcc_lo
	s_add_u32 s8, s20, s2
	v_cndmask_b32_e64 v125, v71, v74, s5
	s_addc_u32 s22, s21, s3
	v_max_f32_e32 v127, v117, v117
	s_waitcnt vmcnt(7)
	ds_store_b128 v86, v[0:3]
	s_waitcnt vmcnt(6)
	ds_store_b128 v88, v[4:7]
	;; [unrolled: 2-line block ×8, first 2 shown]
	s_waitcnt lgkmcnt(0)
	s_barrier
	buffer_gl0_inv
	ds_load_b128 v[0:3], v83
	ds_load_b128 v[4:7], v84
	ds_load_b128 v[8:11], v84 offset:512
	s_waitcnt lgkmcnt(1)
	;;#ASMSTART
	v_dot2_f32_f16 v119, v0, v4, v119
	;;#ASMEND
	;;#ASMSTART
	v_dot2_f32_f16 v119, v1, v5, v119
	;;#ASMEND
	;;#ASMSTART
	v_dot2_f32_f16 v119, v2, v6, v119
	;;#ASMEND
	;;#ASMSTART
	v_dot2_f32_f16 v119, v3, v7, v119
	;;#ASMEND
	s_waitcnt lgkmcnt(0)
	;;#ASMSTART
	v_dot2_f32_f16 v120, v0, v8, v120
	;;#ASMEND
	;;#ASMSTART
	v_dot2_f32_f16 v120, v1, v9, v120
	;;#ASMEND
	;;#ASMSTART
	v_dot2_f32_f16 v120, v2, v10, v120
	;;#ASMEND
	;;#ASMSTART
	v_dot2_f32_f16 v120, v3, v11, v120
	;;#ASMEND
	ds_load_b128 v[0:3], v83 offset:16
	ds_load_b128 v[4:7], v84 offset:16
	ds_load_b128 v[8:11], v84 offset:528
	s_waitcnt lgkmcnt(1)
	;;#ASMSTART
	v_dot2_f32_f16 v119, v0, v4, v119
	;;#ASMEND
	;;#ASMSTART
	v_dot2_f32_f16 v119, v1, v5, v119
	;;#ASMEND
	;;#ASMSTART
	v_dot2_f32_f16 v119, v2, v6, v119
	;;#ASMEND
	;;#ASMSTART
	v_dot2_f32_f16 v119, v3, v7, v119
	;;#ASMEND
	s_waitcnt lgkmcnt(0)
	;;#ASMSTART
	v_dot2_f32_f16 v120, v0, v8, v120
	;;#ASMEND
	;;#ASMSTART
	v_dot2_f32_f16 v120, v1, v9, v120
	;;#ASMEND
	;;#ASMSTART
	v_dot2_f32_f16 v120, v2, v10, v120
	;;#ASMEND
	;;#ASMSTART
	v_dot2_f32_f16 v120, v3, v11, v120
	;;#ASMEND
	ds_load_b128 v[0:3], v83 offset:32
	ds_load_b128 v[4:7], v84 offset:32
	;; [unrolled: 29-line block ×31, first 2 shown]
	ds_load_b128 v[8:11], v84 offset:1008
	s_waitcnt lgkmcnt(1)
	;;#ASMSTART
	v_dot2_f32_f16 v119, v0, v4, v119
	;;#ASMEND
	;;#ASMSTART
	v_dot2_f32_f16 v119, v1, v5, v119
	;;#ASMEND
	;; [unrolled: 3-line block ×4, first 2 shown]
	s_waitcnt lgkmcnt(0)
	;;#ASMSTART
	v_dot2_f32_f16 v120, v0, v8, v120
	;;#ASMEND
	;;#ASMSTART
	v_dot2_f32_f16 v120, v1, v9, v120
	;;#ASMEND
	;; [unrolled: 3-line block ×4, first 2 shown]
	flat_load_u16 v67, v[67:68]
	v_lshlrev_b32_e32 v68, 2, v118
	v_add_co_u32 v0, vcc_lo, s8, v53
	v_add_co_u32 v1, s2, s8, v55
	v_add_co_u32 v2, s3, s8, v57
	;; [unrolled: 1-line block ×7, first 2 shown]
	s_delay_alu instid0(VALU_DEP_1)
	v_add_co_ci_u32_e64 v10, s8, s22, v52, s8
	v_add_co_ci_u32_e32 v11, vcc_lo, s22, v54, vcc_lo
	v_add_co_ci_u32_e64 v13, vcc_lo, s22, v56, s2
	v_add_co_ci_u32_e64 v14, vcc_lo, s22, v58, s3
	;; [unrolled: 1-line block ×6, first 2 shown]
	v_add_co_u32 v4, vcc_lo, v0, v77
	v_add_co_u32 v0, s8, v9, v77
	v_add_co_u32 v8, s2, v1, v77
	v_add_co_ci_u32_e64 v1, s8, 0, v10, s8
	v_add_co_u32 v12, s3, v2, v77
	v_add_co_u32 v20, s5, v5, v77
	v_add_co_ci_u32_e32 v5, vcc_lo, 0, v11, vcc_lo
	v_add_co_u32 v16, s4, v3, v77
	v_add_co_u32 v24, s6, v6, v77
	;; [unrolled: 1-line block ×3, first 2 shown]
	v_add_co_ci_u32_e64 v9, vcc_lo, 0, v13, s2
	v_add_co_ci_u32_e64 v13, vcc_lo, 0, v14, s3
	;; [unrolled: 1-line block ×6, first 2 shown]
	s_waitcnt vmcnt(0) lgkmcnt(0)
	s_barrier
	buffer_gl0_inv
	s_clause 0x7
	global_load_b128 v[0:3], v[0:1], off
	global_load_b128 v[4:7], v[4:5], off
	;; [unrolled: 1-line block ×8, first 2 shown]
	v_cvt_f32_f16_e32 v67, v67
	s_delay_alu instid0(VALU_DEP_1) | instskip(SKIP_3) | instid1(VALU_DEP_4)
	v_dual_add_f32 v119, v119, v67 :: v_dual_lshlrev_b32 v118, 2, v122
	v_add_f32_e32 v120, v120, v67
	v_lshlrev_b32_e32 v122, 2, v123
	v_lshlrev_b32_e32 v123, 2, v124
	v_dual_add_f32 v67, 0x40051340, v119 :: v_dual_lshlrev_b32 v124, 2, v125
	s_delay_alu instid0(VALU_DEP_4) | instskip(NEXT) | instid1(VALU_DEP_2)
	v_add_f32_e32 v125, 0x40051340, v120
	v_max_f32_e32 v67, v127, v67
	s_delay_alu instid0(VALU_DEP_2)
	v_max_f32_e32 v125, v126, v125
	ds_bpermute_b32 v126, v68, v67
	ds_bpermute_b32 v68, v68, v125
	s_waitcnt lgkmcnt(1)
	v_max_f32_e32 v126, v126, v126
	s_waitcnt lgkmcnt(0)
	s_delay_alu instid0(VALU_DEP_1) | instskip(NEXT) | instid1(VALU_DEP_1)
	v_dual_max_f32 v68, v68, v68 :: v_dual_max_f32 v67, v67, v126
	v_max_f32_e32 v68, v125, v68
	ds_bpermute_b32 v125, v118, v67
	ds_bpermute_b32 v118, v118, v68
	s_waitcnt lgkmcnt(0)
	v_dual_max_f32 v125, v125, v125 :: v_dual_max_f32 v118, v118, v118
	s_delay_alu instid0(VALU_DEP_1) | instskip(SKIP_4) | instid1(VALU_DEP_1)
	v_dual_max_f32 v67, v67, v125 :: v_dual_max_f32 v68, v68, v118
	ds_bpermute_b32 v118, v122, v67
	ds_bpermute_b32 v122, v122, v68
	s_waitcnt lgkmcnt(1)
	v_max_f32_e32 v118, v118, v118
	v_max_f32_e32 v67, v67, v118
	ds_bpermute_b32 v118, v123, v67
	s_waitcnt lgkmcnt(0)
	v_max_f32_e32 v118, v118, v118
	s_delay_alu instid0(VALU_DEP_1) | instskip(SKIP_3) | instid1(VALU_DEP_1)
	v_max_f32_e32 v67, v67, v118
	ds_bpermute_b32 v118, v124, v67
	s_waitcnt lgkmcnt(0)
	v_max_f32_e32 v118, v118, v118
	v_max_f32_e32 v67, v67, v118
	s_delay_alu instid0(VALU_DEP_1) | instskip(NEXT) | instid1(VALU_DEP_1)
	v_dual_max_f32 v122, v122, v122 :: v_dual_sub_f32 v119, v119, v67
	v_dual_max_f32 v68, v68, v122 :: v_dual_sub_f32 v117, v117, v67
	s_delay_alu instid0(VALU_DEP_2)
	v_cmp_ngt_f32_e64 s2, 0xc2ce8ed0, v119
	ds_bpermute_b32 v122, v123, v68
	v_mul_f32_e32 v123, 0x3fb8aa3b, v119
	v_cmp_nlt_f32_e64 s6, 0x42b17218, v119
	v_cmp_ngt_f32_e64 s4, 0xc2ce8ed0, v117
	v_cmp_nlt_f32_e64 s8, 0x42b17218, v117
	s_delay_alu instid0(VALU_DEP_4) | instskip(SKIP_1) | instid1(VALU_DEP_2)
	v_fma_f32 v129, 0x3fb8aa3b, v119, -v123
	v_rndne_f32_e32 v130, v123
	v_fmac_f32_e32 v129, 0x32a5705f, v119
	s_delay_alu instid0(VALU_DEP_2) | instskip(SKIP_2) | instid1(VALU_DEP_2)
	v_sub_f32_e32 v119, v123, v130
	v_cvt_i32_f32_e32 v123, v130
	s_waitcnt lgkmcnt(0)
	v_dual_add_f32 v119, v119, v129 :: v_dual_max_f32 v122, v122, v122
	s_delay_alu instid0(VALU_DEP_1) | instskip(NEXT) | instid1(VALU_DEP_1)
	v_exp_f32_e32 v119, v119
	v_max_f32_e32 v68, v68, v122
	ds_bpermute_b32 v122, v124, v68
	v_ldexp_f32 v119, v119, v123
	s_delay_alu instid0(VALU_DEP_1) | instskip(NEXT) | instid1(VALU_DEP_1)
	v_cndmask_b32_e64 v119, 0, v119, s2
	v_cndmask_b32_e64 v119, 0x7f800000, v119, s6
	s_waitcnt lgkmcnt(0)
	v_max_f32_e32 v122, v122, v122
	s_delay_alu instid0(VALU_DEP_1) | instskip(NEXT) | instid1(VALU_DEP_1)
	v_max_f32_e32 v68, v68, v122
	v_sub_f32_e32 v118, v120, v68
	v_sub_f32_e32 v116, v116, v68
	v_mul_f32_e32 v120, 0x3fb8aa3b, v117
	s_delay_alu instid0(VALU_DEP_3) | instskip(SKIP_1) | instid1(VALU_DEP_3)
	v_mul_f32_e32 v122, 0x3fb8aa3b, v118
	v_cmp_ngt_f32_e32 vcc_lo, 0xc2ce8ed0, v118
	v_fma_f32 v125, 0x3fb8aa3b, v117, -v120
	v_rndne_f32_e32 v126, v120
	v_mul_f32_e32 v124, 0x3fb8aa3b, v116
	v_fma_f32 v127, 0x3fb8aa3b, v118, -v122
	v_rndne_f32_e32 v128, v122
	v_fmac_f32_e32 v125, 0x32a5705f, v117
	v_sub_f32_e32 v117, v120, v126
	v_fma_f32 v131, 0x3fb8aa3b, v116, -v124
	v_rndne_f32_e32 v132, v124
	v_cmp_nlt_f32_e64 s5, 0x42b17218, v118
	v_dual_fmac_f32 v127, 0x32a5705f, v118 :: v_dual_sub_f32 v118, v122, v128
	v_cmp_ngt_f32_e64 s3, 0xc2ce8ed0, v116
	v_cmp_nlt_f32_e64 s7, 0x42b17218, v116
	v_fmac_f32_e32 v131, 0x32a5705f, v116
	v_dual_sub_f32 v116, v124, v132 :: v_dual_add_f32 v117, v117, v125
	v_add_f32_e32 v118, v118, v127
	v_cvt_i32_f32_e32 v120, v126
	v_cvt_i32_f32_e32 v122, v128
	s_delay_alu instid0(VALU_DEP_4) | instskip(SKIP_3) | instid1(VALU_DEP_2)
	v_add_f32_e32 v116, v116, v131
	v_exp_f32_e32 v117, v117
	v_exp_f32_e32 v118, v118
	v_cvt_i32_f32_e32 v124, v132
	v_exp_f32_e32 v116, v116
	s_delay_alu instid0(TRANS32_DEP_3) | instskip(SKIP_4) | instid1(VALU_DEP_3)
	v_ldexp_f32 v117, v117, v120
	s_waitcnt_depctr 0xfff
	v_ldexp_f32 v118, v118, v122
	v_ldexp_f32 v116, v116, v124
	v_cndmask_b32_e64 v117, 0, v117, s4
	v_cndmask_b32_e32 v118, 0, v118, vcc_lo
	s_delay_alu instid0(VALU_DEP_3) | instskip(NEXT) | instid1(VALU_DEP_3)
	v_cndmask_b32_e64 v116, 0, v116, s3
	v_cndmask_b32_e64 v117, 0x7f800000, v117, s8
	s_delay_alu instid0(VALU_DEP_3) | instskip(NEXT) | instid1(VALU_DEP_3)
	v_cndmask_b32_e64 v118, 0x7f800000, v118, s5
	v_cndmask_b32_e64 v116, 0x7f800000, v116, s7
	s_delay_alu instid0(VALU_DEP_3) | instskip(SKIP_1) | instid1(VALU_DEP_4)
	v_fma_f32 v82, v82, v117, v119
	v_cvt_f16_f32_e32 v117, v117
	v_cvt_f16_f32_e32 v120, v118
	;; [unrolled: 1-line block ×3, first 2 shown]
	v_cvt_f16_f32_e64 v227, v116
	v_fmac_f32_e32 v118, v121, v116
	v_pk_mul_f16 v228, v117, v114 op_sel_hi:[0,1]
	v_pk_mul_f16 v115, v117, v115 op_sel_hi:[0,1]
	v_pack_b32_f16 v114, v119, v120
	v_pk_mul_f16 v116, v227, v113 op_sel_hi:[0,1]
	v_pk_mul_f16 v229, v227, v112 op_sel_hi:[0,1]
	v_pk_mul_f16 v230, v227, v111 op_sel_hi:[0,1]
	ds_store_b32 v95, v114
	s_waitcnt vmcnt(7)
	ds_store_b128 v87, v[0:3]
	s_waitcnt vmcnt(6)
	ds_store_b128 v96, v[4:7]
	s_waitcnt vmcnt(5)
	ds_store_b128 v97, v[8:11]
	s_waitcnt vmcnt(4)
	ds_store_b128 v98, v[12:15]
	s_waitcnt vmcnt(3)
	ds_store_b128 v99, v[16:19]
	s_waitcnt vmcnt(2)
	ds_store_b128 v100, v[20:23]
	s_waitcnt vmcnt(1)
	ds_store_b128 v101, v[24:27]
	s_waitcnt vmcnt(0)
	ds_store_b128 v102, v[28:31]
	s_waitcnt lgkmcnt(0)
	s_barrier
	buffer_gl0_inv
	ds_load_2addr_b64 v[8:11], v103 offset1:32
	ds_load_b128 v[12:15], v85
	ds_load_b128 v[16:19], v85 offset:16
	ds_load_b128 v[4:7], v85 offset:32
	;; [unrolled: 1-line block ×3, first 2 shown]
	ds_load_2addr_b64 v[20:23], v103 offset0:64 offset1:96
	ds_load_2addr_b64 v[24:27], v103 offset0:128 offset1:160
	ds_load_2addr_b64 v[28:31], v103 offset0:192 offset1:224
	ds_load_2addr_b64 v[111:114], v104 offset1:32
	ds_load_2addr_b64 v[119:122], v104 offset0:64 offset1:96
	ds_load_2addr_b64 v[123:126], v104 offset0:128 offset1:160
	ds_load_2addr_b64 v[127:130], v104 offset0:192 offset1:224
	ds_load_2addr_b64 v[131:134], v105 offset1:32
	;; [unrolled: 4-line block ×5, first 2 shown]
	ds_load_b128 v[183:186], v85 offset:64
	ds_load_b128 v[187:190], v85 offset:80
	ds_load_2addr_b64 v[191:194], v108 offset0:64 offset1:96
	ds_load_2addr_b64 v[195:198], v108 offset0:128 offset1:160
	;; [unrolled: 1-line block ×3, first 2 shown]
	ds_load_2addr_b64 v[203:206], v109 offset1:32
	ds_load_2addr_b64 v[207:210], v109 offset0:64 offset1:96
	ds_load_2addr_b64 v[211:214], v109 offset0:128 offset1:160
	;; [unrolled: 1-line block ×3, first 2 shown]
	ds_load_2addr_b64 v[219:222], v110 offset1:32
	ds_load_b128 v[223:226], v85 offset:96
	s_waitcnt lgkmcnt(34)
	v_pk_mul_f16 v231, v8, v12 op_sel_hi:[1,0]
	v_pk_mul_f16 v8, v8, v12 op_sel:[0,1]
	v_pk_fma_f16 v116, v9, v12, v116 op_sel:[0,1,0]
	v_pk_fma_f16 v232, v10, v12, v228 op_sel_hi:[1,0,1]
	v_pk_fma_f16 v233, v10, v12, v229 op_sel:[0,1,0]
	v_pk_fma_f16 v115, v11, v12, v115 op_sel_hi:[1,0,1]
	v_pk_fma_f16 v234, v11, v12, v230 op_sel:[0,1,0]
	v_pk_mul_f16 v12, v9, v12 op_sel_hi:[1,0]
	v_pk_fma_f16 v72, v227, v72, v8 op_sel_hi:[0,1,1]
	v_pk_fma_f16 v79, v117, v79, v231 op_sel_hi:[0,1,1]
	s_waitcnt lgkmcnt(30)
	v_pk_fma_f16 v115, v23, v13, v115 op_sel_hi:[1,0,1]
	v_pk_fma_f16 v231, v23, v13, v234 op_sel:[0,1,0]
	v_pk_fma_f16 v12, v117, v80, v12 op_sel_hi:[0,1,1]
	v_pk_fma_f16 v80, v21, v13, v116 op_sel:[0,1,0]
	;; [unrolled: 2-line block ×4, first 2 shown]
	v_pk_fma_f16 v12, v21, v13, v12 op_sel_hi:[1,0,1]
	s_waitcnt lgkmcnt(29)
	v_pk_fma_f16 v13, v25, v14, v80 op_sel:[0,1,0]
	v_pk_fma_f16 v80, v26, v14, v116 op_sel_hi:[1,0,1]
	v_pk_fma_f16 v116, v26, v14, v117 op_sel:[0,1,0]
	v_pk_fma_f16 v115, v27, v14, v115 op_sel_hi:[1,0,1]
	v_pk_fma_f16 v117, v27, v14, v231 op_sel:[0,1,0]
	v_pk_fma_f16 v79, v24, v14, v79 op_sel_hi:[1,0,1]
	v_pk_fma_f16 v72, v24, v14, v72 op_sel:[0,1,0]
	v_pk_fma_f16 v12, v25, v14, v12 op_sel_hi:[1,0,1]
	s_waitcnt lgkmcnt(28)
	v_pk_fma_f16 v13, v29, v15, v13 op_sel:[0,1,0]
	v_pk_fma_f16 v14, v30, v15, v80 op_sel_hi:[1,0,1]
	v_pk_fma_f16 v30, v30, v15, v116 op_sel:[0,1,0]
	v_pk_fma_f16 v80, v31, v15, v115 op_sel_hi:[1,0,1]
	v_pk_fma_f16 v31, v31, v15, v117 op_sel:[0,1,0]
	v_pk_fma_f16 v79, v28, v15, v79 op_sel_hi:[1,0,1]
	v_pk_fma_f16 v28, v28, v15, v72 op_sel:[0,1,0]
	;; [unrolled: 9-line block ×15, first 2 shown]
	v_pk_fma_f16 v0, v164, v183, v0 op_sel_hi:[1,0,1]
	v_pk_fma_f16 v1, v168, v184, v1 op_sel:[0,1,0]
	v_pk_fma_f16 v2, v169, v184, v2 op_sel_hi:[1,0,1]
	v_pk_fma_f16 v3, v169, v184, v3 op_sel:[0,1,0]
	;; [unrolled: 2-line block ×12, first 2 shown]
	v_pk_fma_f16 v0, v176, v186, v0 op_sel_hi:[1,0,1]
	s_waitcnt lgkmcnt(9)
	v_pk_fma_f16 v1, v180, v187, v1 op_sel:[0,1,0]
	v_pk_fma_f16 v2, v181, v187, v2 op_sel_hi:[1,0,1]
	v_pk_fma_f16 v3, v181, v187, v3 op_sel:[0,1,0]
	v_pk_fma_f16 v4, v182, v187, v4 op_sel_hi:[1,0,1]
	v_pk_fma_f16 v5, v182, v187, v5 op_sel:[0,1,0]
	v_pk_fma_f16 v6, v179, v187, v6 op_sel_hi:[1,0,1]
	v_pk_fma_f16 v7, v179, v187, v7 op_sel:[0,1,0]
	v_pk_fma_f16 v0, v180, v187, v0 op_sel_hi:[1,0,1]
	s_waitcnt lgkmcnt(8)
	v_pk_fma_f16 v1, v192, v188, v1 op_sel:[0,1,0]
	v_pk_fma_f16 v2, v193, v188, v2 op_sel_hi:[1,0,1]
	v_pk_fma_f16 v3, v193, v188, v3 op_sel:[0,1,0]
	v_pk_fma_f16 v4, v194, v188, v4 op_sel_hi:[1,0,1]
	v_pk_fma_f16 v5, v194, v188, v5 op_sel:[0,1,0]
	v_pk_fma_f16 v6, v191, v188, v6 op_sel_hi:[1,0,1]
	v_pk_fma_f16 v7, v191, v188, v7 op_sel:[0,1,0]
	;; [unrolled: 9-line block ×4, first 2 shown]
	v_pk_fma_f16 v0, v200, v190, v0 op_sel_hi:[1,0,1]
	ds_load_b128 v[8:11], v85 offset:112
	s_waitcnt lgkmcnt(1)
	v_pk_fma_f16 v1, v204, v223, v1 op_sel:[0,1,0]
	v_pk_fma_f16 v2, v205, v223, v2 op_sel_hi:[1,0,1]
	v_pk_fma_f16 v3, v205, v223, v3 op_sel:[0,1,0]
	v_pk_fma_f16 v4, v206, v223, v4 op_sel_hi:[1,0,1]
	v_pk_fma_f16 v5, v206, v223, v5 op_sel:[0,1,0]
	v_pk_fma_f16 v6, v203, v223, v6 op_sel_hi:[1,0,1]
	v_pk_fma_f16 v7, v203, v223, v7 op_sel:[0,1,0]
	v_pk_fma_f16 v0, v204, v223, v0 op_sel_hi:[1,0,1]
	ds_load_2addr_b64 v[227:230], v110 offset0:64 offset1:96
	v_pk_fma_f16 v1, v208, v224, v1 op_sel:[0,1,0]
	v_pk_fma_f16 v2, v209, v224, v2 op_sel_hi:[1,0,1]
	v_pk_fma_f16 v3, v209, v224, v3 op_sel:[0,1,0]
	v_pk_fma_f16 v4, v210, v224, v4 op_sel_hi:[1,0,1]
	v_pk_fma_f16 v5, v210, v224, v5 op_sel:[0,1,0]
	v_pk_fma_f16 v6, v207, v224, v6 op_sel_hi:[1,0,1]
	v_pk_fma_f16 v7, v207, v224, v7 op_sel:[0,1,0]
	v_pk_fma_f16 v0, v208, v224, v0 op_sel_hi:[1,0,1]
	ds_load_2addr_b64 v[20:23], v110 offset0:128 offset1:160
	;; [unrolled: 9-line block ×3, first 2 shown]
	s_waitcnt lgkmcnt(0)
	s_barrier
	buffer_gl0_inv
	s_load_b32 s2, s[12:13], 0x4
	v_pk_fma_f16 v1, v216, v226, v1 op_sel:[0,1,0]
	v_pk_fma_f16 v2, v217, v226, v2 op_sel_hi:[1,0,1]
	v_pk_fma_f16 v3, v217, v226, v3 op_sel:[0,1,0]
	v_pk_fma_f16 v4, v218, v226, v4 op_sel_hi:[1,0,1]
	;; [unrolled: 2-line block ×16, first 2 shown]
	s_waitcnt lgkmcnt(0)
	s_lshl_b32 s2, s2, 5
	v_pk_fma_f16 v113, v25, v11, v1 op_sel:[0,1,0]
	v_pk_fma_f16 v114, v26, v11, v2 op_sel_hi:[1,0,1]
	v_pk_fma_f16 v112, v26, v11, v3 op_sel:[0,1,0]
	v_pk_fma_f16 v115, v27, v11, v4 op_sel_hi:[1,0,1]
	;; [unrolled: 2-line block ×4, first 2 shown]
	s_add_i32 s9, s2, s9
	s_delay_alu instid0(SALU_CYCLE_1)
	s_cmp_ge_i32 s9, s34
	s_cbranch_scc0 .LBB9_9
; %bb.10:
	v_mov_b32_e32 v3, v71
.LBB9_11:
	v_cmp_lt_i32_e32 vcc_lo, v81, v73
	s_cmp_lg_u64 s[24:25], 0
	s_cselect_b32 s2, -1, 0
	s_cmp_eq_u32 s14, 0
	v_cndmask_b32_e32 v0, v3, v81, vcc_lo
	v_cmp_lt_i32_e32 vcc_lo, v78, v73
	s_cselect_b32 s3, -1, 0
	s_delay_alu instid0(SALU_CYCLE_1) | instskip(NEXT) | instid1(VALU_DEP_2)
	s_and_b32 s2, s3, s2
	v_lshlrev_b32_e32 v0, 2, v0
	v_cndmask_b32_e32 v2, v3, v78, vcc_lo
	v_cmp_lt_i32_e32 vcc_lo, v76, v73
	ds_bpermute_b32 v1, v0, v82
	s_waitcnt lgkmcnt(0)
	v_add_f32_e32 v1, v82, v1
	ds_bpermute_b32 v0, v0, v118
	s_waitcnt lgkmcnt(0)
	v_add_f32_e32 v0, v118, v0
	v_cndmask_b32_e32 v5, v3, v76, vcc_lo
	v_cmp_lt_i32_e32 vcc_lo, v75, v73
	s_delay_alu instid0(VALU_DEP_2)
	v_lshlrev_b32_e32 v5, 2, v5
	v_lshlrev_b32_e32 v2, 2, v2
	ds_bpermute_b32 v4, v2, v1
	ds_bpermute_b32 v2, v2, v0
	s_waitcnt lgkmcnt(0)
	v_dual_add_f32 v1, v1, v4 :: v_dual_add_f32 v0, v0, v2
	ds_bpermute_b32 v2, v5, v1
	ds_bpermute_b32 v4, v5, v0
	v_cndmask_b32_e32 v5, v3, v75, vcc_lo
	v_cmp_lt_i32_e32 vcc_lo, v74, v73
	s_delay_alu instid0(VALU_DEP_2)
	v_lshlrev_b32_e32 v5, 2, v5
	s_waitcnt lgkmcnt(0)
	v_dual_add_f32 v1, v1, v2 :: v_dual_add_f32 v0, v0, v4
	ds_bpermute_b32 v2, v5, v1
	ds_bpermute_b32 v4, v5, v0
	v_cndmask_b32_e32 v3, v3, v74, vcc_lo
	s_and_b32 vcc_lo, exec_lo, s2
	s_mov_b32 s2, 0
	s_waitcnt lgkmcnt(0)
	v_dual_add_f32 v1, v1, v2 :: v_dual_add_f32 v2, v0, v4
	v_lshlrev_b32_e32 v3, 2, v3
	v_add_nc_u32_e32 v4, s15, v70
	ds_bpermute_b32 v0, v3, v1
	s_waitcnt lgkmcnt(0)
	v_add_f32_e32 v0, v1, v0
	ds_bpermute_b32 v3, v3, v2
	s_waitcnt lgkmcnt(0)
	v_add_f32_e32 v1, v2, v3
	s_cbranch_vccnz .LBB9_13
; %bb.12:
	s_delay_alu instid0(VALU_DEP_1)
	v_mov_b32_e32 v3, v1
	v_dual_mov_b32 v2, v0 :: v_dual_add_nc_u32 v5, s15, v70
	s_and_not1_b32 vcc_lo, exec_lo, s2
	s_cbranch_vccz .LBB9_14
	s_branch .LBB9_15
.LBB9_13:
                                        ; implicit-def: $vgpr5
                                        ; implicit-def: $vgpr2_vgpr3
.LBB9_14:
	v_ashrrev_i32_e32 v5, 31, v4
	s_delay_alu instid0(VALU_DEP_1) | instskip(NEXT) | instid1(VALU_DEP_1)
	v_lshlrev_b64 v[2:3], 2, v[4:5]
	v_add_co_u32 v2, vcc_lo, s24, v2
	s_delay_alu instid0(VALU_DEP_2) | instskip(SKIP_4) | instid1(VALU_DEP_1)
	v_add_co_ci_u32_e32 v3, vcc_lo, s25, v3, vcc_lo
	global_load_b64 v[2:3], v[2:3], off
	v_max_f32_e32 v5, v67, v67
	s_waitcnt vmcnt(0)
	v_dual_max_f32 v7, v68, v68 :: v_dual_max_f32 v8, v3, v3
	v_dual_max_f32 v6, v2, v2 :: v_dual_max_f32 v7, v7, v8
	s_delay_alu instid0(VALU_DEP_1) | instskip(NEXT) | instid1(VALU_DEP_1)
	v_max_f32_e32 v6, v5, v6
	v_dual_sub_f32 v8, v68, v7 :: v_dual_sub_f32 v5, v67, v6
	v_dual_sub_f32 v2, v2, v6 :: v_dual_sub_f32 v3, v3, v7
	s_delay_alu instid0(VALU_DEP_2) | instskip(NEXT) | instid1(VALU_DEP_2)
	v_dual_mov_b32 v68, v7 :: v_dual_mul_f32 v11, 0x3fb8aa3b, v8
	v_dual_mul_f32 v9, 0x3fb8aa3b, v5 :: v_dual_mul_f32 v10, 0x3fb8aa3b, v2
	s_delay_alu instid0(VALU_DEP_3) | instskip(SKIP_1) | instid1(VALU_DEP_4)
	v_mul_f32_e32 v12, 0x3fb8aa3b, v3
	v_cmp_ngt_f32_e32 vcc_lo, 0xc2ce8ed0, v5
	v_fma_f32 v17, 0x3fb8aa3b, v8, -v11
	s_delay_alu instid0(VALU_DEP_4)
	v_fma_f32 v13, 0x3fb8aa3b, v5, -v9
	v_rndne_f32_e32 v14, v9
	v_rndne_f32_e32 v16, v10
	;; [unrolled: 1-line block ×3, first 2 shown]
	v_fma_f32 v15, 0x3fb8aa3b, v2, -v10
	v_fmac_f32_e32 v13, 0x32a5705f, v5
	v_sub_f32_e32 v9, v9, v14
	v_fma_f32 v19, 0x3fb8aa3b, v3, -v12
	v_sub_f32_e32 v12, v12, v20
	v_sub_f32_e32 v10, v10, v16
	v_rndne_f32_e32 v18, v11
	v_add_f32_e32 v9, v9, v13
	v_cvt_i32_f32_e32 v13, v14
	v_cvt_i32_f32_e32 v14, v16
	;; [unrolled: 1-line block ×3, first 2 shown]
	v_mov_b32_e32 v67, v6
	v_exp_f32_e32 v9, v9
	s_waitcnt_depctr 0xfff
	v_ldexp_f32 v9, v9, v13
	s_delay_alu instid0(VALU_DEP_1) | instskip(SKIP_2) | instid1(VALU_DEP_1)
	v_cndmask_b32_e32 v9, 0, v9, vcc_lo
	v_cmp_ngt_f32_e32 vcc_lo, 0xc2ce8ed0, v2
	v_fmac_f32_e32 v19, 0x32a5705f, v3
	v_dual_fmac_f32 v15, 0x32a5705f, v2 :: v_dual_add_f32 v12, v12, v19
	s_delay_alu instid0(VALU_DEP_1) | instskip(SKIP_1) | instid1(VALU_DEP_3)
	v_dual_fmac_f32 v17, 0x32a5705f, v8 :: v_dual_add_f32 v10, v10, v15
	v_cvt_i32_f32_e32 v15, v18
	v_exp_f32_e32 v12, v12
	s_delay_alu instid0(VALU_DEP_2) | instskip(SKIP_4) | instid1(VALU_DEP_1)
	v_exp_f32_e32 v10, v10
	s_waitcnt_depctr 0xfff
	v_ldexp_f32 v12, v12, v16
	v_sub_f32_e32 v11, v11, v18
	v_ldexp_f32 v10, v10, v14
	v_dual_add_f32 v11, v11, v17 :: v_dual_cndmask_b32 v10, 0, v10
	v_cmp_ngt_f32_e32 vcc_lo, 0xc2ce8ed0, v8
	s_delay_alu instid0(VALU_DEP_2) | instskip(SKIP_2) | instid1(VALU_DEP_1)
	v_exp_f32_e32 v11, v11
	s_waitcnt_depctr 0xfff
	v_ldexp_f32 v11, v11, v15
	v_cndmask_b32_e32 v11, 0, v11, vcc_lo
	v_cmp_ngt_f32_e32 vcc_lo, 0xc2ce8ed0, v3
	v_cndmask_b32_e32 v12, 0, v12, vcc_lo
	v_cmp_nlt_f32_e32 vcc_lo, 0x42b17218, v5
	v_mov_b32_e32 v5, v4
	v_cndmask_b32_e32 v9, 0x7f800000, v9, vcc_lo
	v_cmp_nlt_f32_e32 vcc_lo, 0x42b17218, v2
	s_delay_alu instid0(VALU_DEP_2) | instskip(SKIP_2) | instid1(VALU_DEP_3)
	v_cvt_f16_f32_e32 v4, v9
	v_cndmask_b32_e32 v2, 0x7f800000, v10, vcc_lo
	v_cmp_nlt_f32_e32 vcc_lo, 0x42b17218, v8
	v_pk_mul_f16 v79, v4, v79 op_sel_hi:[0,1]
	s_delay_alu instid0(VALU_DEP_3)
	v_fmac_f32_e32 v2, v0, v9
	v_cndmask_b32_e32 v8, 0x7f800000, v11, vcc_lo
	v_cmp_nlt_f32_e32 vcc_lo, 0x42b17218, v3
	v_pk_mul_f16 v80, v4, v80 op_sel_hi:[0,1]
	v_pk_mul_f16 v114, v4, v114 op_sel_hi:[0,1]
	;; [unrolled: 1-line block ×3, first 2 shown]
	v_cvt_f16_f32_e32 v0, v8
	v_cndmask_b32_e32 v3, 0x7f800000, v12, vcc_lo
	s_delay_alu instid0(VALU_DEP_2) | instskip(NEXT) | instid1(VALU_DEP_2)
	v_pk_mul_f16 v72, v0, v72 op_sel_hi:[0,1]
	v_fmac_f32_e32 v3, v1, v8
	v_pk_mul_f16 v113, v0, v113 op_sel_hi:[0,1]
	v_pk_mul_f16 v112, v0, v112 op_sel_hi:[0,1]
	;; [unrolled: 1-line block ×3, first 2 shown]
	s_delay_alu instid0(VALU_DEP_4)
	v_dual_mov_b32 v0, v2 :: v_dual_mov_b32 v1, v3
.LBB9_15:
	s_load_b32 s1, s[0:1], 0xd4
	v_mov_b32_e32 v6, 1.0
	s_waitcnt lgkmcnt(0)
	s_cmp_lg_u32 s1, 1
	s_cselect_b32 s3, -1, 0
	s_cmp_eq_u32 s1, 1
	s_cselect_b32 s2, -1, 0
	s_and_b32 vcc_lo, exec_lo, s3
	s_cbranch_vccnz .LBB9_17
; %bb.16:
	v_div_scale_f32 v4, null, v0, v0, 1.0
	s_delay_alu instid0(VALU_DEP_1) | instskip(SKIP_2) | instid1(VALU_DEP_1)
	v_rcp_f32_e32 v6, v4
	s_waitcnt_depctr 0xfff
	v_fma_f32 v7, -v4, v6, 1.0
	v_fmac_f32_e32 v6, v7, v6
	v_div_scale_f32 v7, vcc_lo, 1.0, v0, 1.0
	s_delay_alu instid0(VALU_DEP_1) | instskip(NEXT) | instid1(VALU_DEP_1)
	v_mul_f32_e32 v8, v7, v6
	v_fma_f32 v9, -v4, v8, v7
	s_delay_alu instid0(VALU_DEP_1) | instskip(NEXT) | instid1(VALU_DEP_1)
	v_fmac_f32_e32 v8, v9, v6
	v_fma_f32 v4, -v4, v8, v7
	s_delay_alu instid0(VALU_DEP_1) | instskip(NEXT) | instid1(VALU_DEP_1)
	v_div_fmas_f32 v4, v4, v6, v8
	v_div_fixup_f32 v6, v4, v0, 1.0
.LBB9_17:
	v_mad_u64_u32 v[7:8], null, s33, s10, v[32:33]
	v_lshrrev_b32_e32 v0, 16, v80
	v_lshrrev_b32_e32 v10, 16, v79
	;; [unrolled: 1-line block ×3, first 2 shown]
	v_cvt_f32_f16_e32 v11, v79
	v_cvt_f32_f16_e32 v14, v114
	;; [unrolled: 1-line block ×3, first 2 shown]
	v_mad_u64_u32 v[8:9], null, v7, s11, v[5:6]
	v_cvt_f32_f16_e32 v7, v80
	v_mov_b32_e32 v16, 0
	v_cvt_f32_f16_e32 v19, v10
	v_cvt_f32_f16_e32 v12, v12
	v_cmp_eq_u32_e32 vcc_lo, 0, v33
	v_mul_f32_e32 v9, v6, v7
	v_mad_u64_u32 v[4:5], null, s1, v8, s[14:15]
	v_cvt_f32_f16_e32 v5, v115
	v_lshrrev_b32_e32 v8, 16, v114
	v_mul_f32_e32 v7, v6, v11
	v_mul_f32_e32 v11, v6, v14
	;; [unrolled: 1-line block ×4, first 2 shown]
	v_lshl_add_u32 v15, v4, 8, v69
	v_cvt_f32_f16_e32 v5, v8
	v_mul_f32_e32 v8, v6, v19
	v_mul_f32_e32 v10, v6, v0
	s_delay_alu instid0(VALU_DEP_4) | instskip(NEXT) | instid1(VALU_DEP_4)
	v_lshlrev_b64 v[17:18], 2, v[15:16]
	v_dual_mul_f32 v12, v6, v5 :: v_dual_add_nc_u32 v15, 0x80, v15
	s_delay_alu instid0(VALU_DEP_1) | instskip(NEXT) | instid1(VALU_DEP_3)
	v_lshlrev_b64 v[5:6], 2, v[15:16]
	v_add_co_u32 v15, s0, s28, v17
	s_delay_alu instid0(VALU_DEP_1) | instskip(NEXT) | instid1(VALU_DEP_3)
	v_add_co_ci_u32_e64 v16, s0, s29, v18, s0
	v_add_co_u32 v5, s0, s28, v5
	s_delay_alu instid0(VALU_DEP_1)
	v_add_co_ci_u32_e64 v6, s0, s29, v6, s0
	s_and_b32 s0, vcc_lo, s3
	s_clause 0x1
	global_store_b128 v[15:16], v[7:10], off
	global_store_b128 v[5:6], v[11:14], off
	s_and_saveexec_b32 s3, s0
	s_cbranch_execz .LBB9_19
; %bb.18:
	v_ashrrev_i32_e32 v5, 31, v4
	v_dual_mov_b32 v7, v67 :: v_dual_mov_b32 v8, v2
	s_delay_alu instid0(VALU_DEP_2) | instskip(NEXT) | instid1(VALU_DEP_1)
	v_lshlrev_b64 v[5:6], 3, v[4:5]
	v_add_co_u32 v5, vcc_lo, s30, v5
	s_delay_alu instid0(VALU_DEP_2)
	v_add_co_ci_u32_e32 v6, vcc_lo, s31, v6, vcc_lo
	global_store_b64 v[5:6], v[7:8], off
.LBB9_19:
	s_or_b32 exec_lo, exec_lo, s3
	v_mov_b32_e32 v2, 1.0
	s_and_not1_b32 vcc_lo, exec_lo, s2
	s_cbranch_vccnz .LBB9_21
; %bb.20:
	v_div_scale_f32 v0, null, v1, v1, 1.0
	s_delay_alu instid0(VALU_DEP_1) | instskip(SKIP_2) | instid1(VALU_DEP_1)
	v_rcp_f32_e32 v2, v0
	s_waitcnt_depctr 0xfff
	v_fma_f32 v5, -v0, v2, 1.0
	v_fmac_f32_e32 v2, v5, v2
	v_div_scale_f32 v5, vcc_lo, 1.0, v1, 1.0
	s_delay_alu instid0(VALU_DEP_1) | instskip(NEXT) | instid1(VALU_DEP_1)
	v_mul_f32_e32 v6, v5, v2
	v_fma_f32 v7, -v0, v6, v5
	s_delay_alu instid0(VALU_DEP_1) | instskip(NEXT) | instid1(VALU_DEP_1)
	v_fmac_f32_e32 v6, v7, v2
	v_fma_f32 v0, -v0, v6, v5
	s_delay_alu instid0(VALU_DEP_1) | instskip(NEXT) | instid1(VALU_DEP_1)
	v_div_fmas_f32 v0, v0, v2, v6
	v_div_fixup_f32 v2, v0, v1, 1.0
.LBB9_21:
	v_lshrrev_b32_e32 v1, 16, v113
	v_dual_mov_b32 v9, 0 :: v_dual_add_nc_u32 v0, s1, v4
	v_lshrrev_b32_e32 v4, 16, v72
	v_lshrrev_b32_e32 v14, 16, v112
	s_delay_alu instid0(VALU_DEP_4) | instskip(NEXT) | instid1(VALU_DEP_4)
	v_cvt_f32_f16_e32 v1, v1
	v_lshl_add_u32 v8, v0, 8, v69
	v_cvt_f32_f16_e32 v5, v113
	v_cvt_f32_f16_e32 v4, v4
	;; [unrolled: 1-line block ×3, first 2 shown]
	v_mul_f32_e32 v7, v2, v1
	v_lshlrev_b64 v[10:11], 2, v[8:9]
	v_add_nc_u32_e32 v8, 0x80, v8
	v_lshrrev_b32_e32 v1, 16, v111
	v_cvt_f32_f16_e32 v16, v14
	v_mul_f32_e32 v6, v2, v5
	v_mul_f32_e32 v5, v2, v4
	v_lshlrev_b64 v[14:15], 2, v[8:9]
	v_cvt_f32_f16_e32 v1, v1
	v_mul_f32_e32 v4, v2, v12
	v_add_co_u32 v12, vcc_lo, s28, v10
	v_cvt_f32_f16_e32 v10, v111
	v_cvt_f32_f16_e32 v17, v112
	v_add_co_ci_u32_e32 v13, vcc_lo, s29, v11, vcc_lo
	v_mul_f32_e32 v11, v2, v1
	v_add_co_u32 v1, vcc_lo, s28, v14
	v_mul_f32_e32 v10, v2, v10
	v_mul_f32_e32 v9, v2, v16
	;; [unrolled: 1-line block ×3, first 2 shown]
	v_add_co_ci_u32_e32 v2, vcc_lo, s29, v15, vcc_lo
	s_clause 0x1
	global_store_b128 v[12:13], v[4:7], off
	global_store_b128 v[1:2], v[8:11], off
	s_and_saveexec_b32 s1, s0
	s_cbranch_execz .LBB9_23
; %bb.22:
	v_ashrrev_i32_e32 v1, 31, v0
	v_mov_b32_e32 v2, v68
	s_delay_alu instid0(VALU_DEP_2) | instskip(NEXT) | instid1(VALU_DEP_1)
	v_lshlrev_b64 v[0:1], 3, v[0:1]
	v_add_co_u32 v0, vcc_lo, s30, v0
	s_delay_alu instid0(VALU_DEP_2)
	v_add_co_ci_u32_e32 v1, vcc_lo, s31, v1, vcc_lo
	global_store_b64 v[0:1], v[2:3], off
.LBB9_23:
	s_nop 0
	s_sendmsg sendmsg(MSG_DEALLOC_VGPRS)
	s_endpgm
	.section	.rodata,"a",@progbits
	.p2align	6, 0x0
	.amdhsa_kernel _ZL15flash_attn_tileILi256ELi256ELi1ELi8ELb0EEvPKcS1_S1_S1_S1_PKiPfP15HIP_vector_typeIfLj2EEffffjfiS5_IjLj3EEiiiiiiiiiiiliiliiiiil
		.amdhsa_group_segment_fixed_size 21504
		.amdhsa_private_segment_fixed_size 0
		.amdhsa_kernarg_size 464
		.amdhsa_user_sgpr_count 13
		.amdhsa_user_sgpr_dispatch_ptr 0
		.amdhsa_user_sgpr_queue_ptr 0
		.amdhsa_user_sgpr_kernarg_segment_ptr 1
		.amdhsa_user_sgpr_dispatch_id 0
		.amdhsa_user_sgpr_private_segment_size 0
		.amdhsa_wavefront_size32 1
		.amdhsa_uses_dynamic_stack 0
		.amdhsa_enable_private_segment 0
		.amdhsa_system_sgpr_workgroup_id_x 1
		.amdhsa_system_sgpr_workgroup_id_y 1
		.amdhsa_system_sgpr_workgroup_id_z 1
		.amdhsa_system_sgpr_workgroup_info 0
		.amdhsa_system_vgpr_workitem_id 1
		.amdhsa_next_free_vgpr 235
		.amdhsa_next_free_sgpr 42
		.amdhsa_reserve_vcc 1
		.amdhsa_float_round_mode_32 0
		.amdhsa_float_round_mode_16_64 0
		.amdhsa_float_denorm_mode_32 3
		.amdhsa_float_denorm_mode_16_64 3
		.amdhsa_dx10_clamp 1
		.amdhsa_ieee_mode 1
		.amdhsa_fp16_overflow 0
		.amdhsa_workgroup_processor_mode 1
		.amdhsa_memory_ordered 1
		.amdhsa_forward_progress 0
		.amdhsa_shared_vgpr_count 0
		.amdhsa_exception_fp_ieee_invalid_op 0
		.amdhsa_exception_fp_denorm_src 0
		.amdhsa_exception_fp_ieee_div_zero 0
		.amdhsa_exception_fp_ieee_overflow 0
		.amdhsa_exception_fp_ieee_underflow 0
		.amdhsa_exception_fp_ieee_inexact 0
		.amdhsa_exception_int_div_zero 0
	.end_amdhsa_kernel
	.section	.text._ZL15flash_attn_tileILi256ELi256ELi1ELi8ELb0EEvPKcS1_S1_S1_S1_PKiPfP15HIP_vector_typeIfLj2EEffffjfiS5_IjLj3EEiiiiiiiiiiiliiliiiiil,"axG",@progbits,_ZL15flash_attn_tileILi256ELi256ELi1ELi8ELb0EEvPKcS1_S1_S1_S1_PKiPfP15HIP_vector_typeIfLj2EEffffjfiS5_IjLj3EEiiiiiiiiiiiliiliiiiil,comdat
.Lfunc_end9:
	.size	_ZL15flash_attn_tileILi256ELi256ELi1ELi8ELb0EEvPKcS1_S1_S1_S1_PKiPfP15HIP_vector_typeIfLj2EEffffjfiS5_IjLj3EEiiiiiiiiiiiliiliiiiil, .Lfunc_end9-_ZL15flash_attn_tileILi256ELi256ELi1ELi8ELb0EEvPKcS1_S1_S1_S1_PKiPfP15HIP_vector_typeIfLj2EEffffjfiS5_IjLj3EEiiiiiiiiiiiliiliiiiil
                                        ; -- End function
	.section	.AMDGPU.csdata,"",@progbits
; Kernel info:
; codeLenInByte = 14380
; NumSgprs: 44
; NumVgprs: 235
; ScratchSize: 0
; MemoryBound: 0
; FloatMode: 240
; IeeeMode: 1
; LDSByteSize: 21504 bytes/workgroup (compile time only)
; SGPRBlocks: 5
; VGPRBlocks: 29
; NumSGPRsForWavesPerEU: 44
; NumVGPRsForWavesPerEU: 235
; Occupancy: 6
; WaveLimiterHint : 1
; COMPUTE_PGM_RSRC2:SCRATCH_EN: 0
; COMPUTE_PGM_RSRC2:USER_SGPR: 13
; COMPUTE_PGM_RSRC2:TRAP_HANDLER: 0
; COMPUTE_PGM_RSRC2:TGID_X_EN: 1
; COMPUTE_PGM_RSRC2:TGID_Y_EN: 1
; COMPUTE_PGM_RSRC2:TGID_Z_EN: 1
; COMPUTE_PGM_RSRC2:TIDIG_COMP_CNT: 1
	.section	.text._ZL25flash_attn_mask_to_KV_maxILi1EEvPK7__half2Piiii,"axG",@progbits,_ZL25flash_attn_mask_to_KV_maxILi1EEvPK7__half2Piiii,comdat
	.globl	_ZL25flash_attn_mask_to_KV_maxILi1EEvPK7__half2Piiii ; -- Begin function _ZL25flash_attn_mask_to_KV_maxILi1EEvPK7__half2Piiii
	.p2align	8
	.type	_ZL25flash_attn_mask_to_KV_maxILi1EEvPK7__half2Piiii,@function
_ZL25flash_attn_mask_to_KV_maxILi1EEvPK7__half2Piiii: ; @_ZL25flash_attn_mask_to_KV_maxILi1EEvPK7__half2Piiii
; %bb.0:
	s_load_b128 s[4:7], s[0:1], 0x0
	s_mov_b32 s2, exec_lo
	v_cmpx_gt_u32_e32 32, v0
	s_cbranch_execz .LBB10_2
; %bb.1:
	v_dual_mov_b32 v2, 1 :: v_dual_lshlrev_b32 v1, 2, v0
	ds_store_b32 v1, v2
.LBB10_2:
	s_or_b32 exec_lo, exec_lo, s2
	s_clause 0x1
	s_load_b128 s[8:11], s[0:1], 0x10
	s_load_b32 s1, s[0:1], 0x20
	v_dual_mov_b32 v2, 0 :: v_dual_and_b32 v1, 31, v0
	v_lshrrev_b32_e32 v3, 3, v0
	s_waitcnt lgkmcnt(0)
	s_barrier
	s_delay_alu instid0(VALU_DEP_2) | instskip(SKIP_3) | instid1(SALU_CYCLE_1)
	v_lshlrev_b32_e32 v4, 2, v1
	buffer_gl0_inv
	s_mul_i32 s0, s15, s10
	s_mul_i32 s2, s14, s9
	s_add_i32 s2, s0, s2
	v_cmp_eq_u32_e64 s0, 0, v1
	s_ashr_i32 s3, s2, 31
	s_delay_alu instid0(SALU_CYCLE_1) | instskip(NEXT) | instid1(SALU_CYCLE_1)
	s_lshl_b64 s[10:11], s[2:3], 2
	s_add_u32 s3, s4, s10
	s_addc_u32 s4, s5, s11
	s_lshl_b32 s5, s8, 8
	s_branch .LBB10_4
	.p2align	6
.LBB10_3:                               ;   in Loop: Header=BB10_4 Depth=1
	s_or_b32 exec_lo, exec_lo, s9
	s_waitcnt lgkmcnt(0)
	s_barrier
	buffer_gl0_inv
	ds_load_b32 v1, v4
	s_waitcnt lgkmcnt(0)
	s_barrier
	buffer_gl0_inv
	;;#ASMSTART
	;;#ASMEND
	v_cmp_ne_u32_e32 vcc_lo, 0, v1
	s_cmp_lg_u32 vcc_lo, exec_lo
	s_cselect_b32 s8, -1, 0
	s_delay_alu instid0(SALU_CYCLE_1)
	s_and_b32 vcc_lo, exec_lo, s8
	s_cbranch_vccnz .LBB10_8
.LBB10_4:                               ; =>This Inner Loop Header: Depth=1
	s_mov_b32 s2, s5
	s_addk_i32 s5, 0xff00
	s_delay_alu instid0(SALU_CYCLE_1)
	s_cmp_lt_i32 s5, 0
	s_cbranch_scc1 .LBB10_7
; %bb.5:                                ;   in Loop: Header=BB10_4 Depth=1
	s_lshr_b32 s9, s5, 1
	s_mov_b32 s8, exec_lo
	v_add_nc_u32_e32 v1, s9, v0
	s_delay_alu instid0(VALU_DEP_1) | instskip(NEXT) | instid1(VALU_DEP_1)
	v_lshlrev_b64 v[5:6], 2, v[1:2]
	v_add_co_u32 v5, vcc_lo, s3, v5
	s_delay_alu instid0(VALU_DEP_2) | instskip(SKIP_4) | instid1(VALU_DEP_2)
	v_add_co_ci_u32_e32 v6, vcc_lo, s4, v6, vcc_lo
	global_load_b32 v1, v[5:6], off
	s_waitcnt vmcnt(0)
	v_lshrrev_b32_e32 v5, 16, v1
	v_cmp_class_f16_e64 s9, v1, 0x204
	v_and_b32_e32 v5, 0x7fff, v5
	s_delay_alu instid0(VALU_DEP_1) | instskip(NEXT) | instid1(VALU_DEP_3)
	v_cmp_eq_f16_e32 vcc_lo, 0x7c00, v5
	s_and_b32 s9, s9, vcc_lo
	s_delay_alu instid0(SALU_CYCLE_1) | instskip(SKIP_1) | instid1(VALU_DEP_1)
	v_cndmask_b32_e64 v1, 0, 1, s9
	;;#ASMSTART
	;;#ASMEND
	v_cmp_ne_u32_e32 vcc_lo, 0, v1
	s_and_saveexec_b32 s9, s0
	s_cbranch_execz .LBB10_3
; %bb.6:                                ;   in Loop: Header=BB10_4 Depth=1
	s_cmp_eq_u32 vcc_lo, s8
	s_cselect_b32 s8, -1, 0
	s_delay_alu instid0(SALU_CYCLE_1)
	v_cndmask_b32_e64 v1, 0, 1, s8
	ds_store_b32 v3, v1
	s_branch .LBB10_3
.LBB10_7:                               ;   in Loop: Header=BB10_4 Depth=1
                                        ; implicit-def: $sgpr5
	s_cbranch_execz .LBB10_4
.LBB10_8:
	s_mov_b32 s0, exec_lo
	v_cmpx_eq_u32_e32 0, v0
	s_cbranch_execz .LBB10_10
; %bb.9:
	s_mul_i32 s0, s1, s15
	v_dual_mov_b32 v0, 0 :: v_dual_mov_b32 v1, s2
	s_add_i32 s0, s0, s14
	s_delay_alu instid0(SALU_CYCLE_1) | instskip(NEXT) | instid1(SALU_CYCLE_1)
	s_ashr_i32 s1, s0, 31
	s_lshl_b64 s[0:1], s[0:1], 2
	s_delay_alu instid0(SALU_CYCLE_1)
	s_add_u32 s0, s6, s0
	s_addc_u32 s1, s7, s1
	global_store_b32 v0, v1, s[0:1]
.LBB10_10:
	s_nop 0
	s_sendmsg sendmsg(MSG_DEALLOC_VGPRS)
	s_endpgm
	.section	.rodata,"a",@progbits
	.p2align	6, 0x0
	.amdhsa_kernel _ZL25flash_attn_mask_to_KV_maxILi1EEvPK7__half2Piiii
		.amdhsa_group_segment_fixed_size 128
		.amdhsa_private_segment_fixed_size 0
		.amdhsa_kernarg_size 288
		.amdhsa_user_sgpr_count 14
		.amdhsa_user_sgpr_dispatch_ptr 0
		.amdhsa_user_sgpr_queue_ptr 0
		.amdhsa_user_sgpr_kernarg_segment_ptr 1
		.amdhsa_user_sgpr_dispatch_id 0
		.amdhsa_user_sgpr_private_segment_size 0
		.amdhsa_wavefront_size32 1
		.amdhsa_uses_dynamic_stack 0
		.amdhsa_enable_private_segment 0
		.amdhsa_system_sgpr_workgroup_id_x 1
		.amdhsa_system_sgpr_workgroup_id_y 1
		.amdhsa_system_sgpr_workgroup_id_z 0
		.amdhsa_system_sgpr_workgroup_info 0
		.amdhsa_system_vgpr_workitem_id 0
		.amdhsa_next_free_vgpr 7
		.amdhsa_next_free_sgpr 16
		.amdhsa_reserve_vcc 1
		.amdhsa_float_round_mode_32 0
		.amdhsa_float_round_mode_16_64 0
		.amdhsa_float_denorm_mode_32 3
		.amdhsa_float_denorm_mode_16_64 3
		.amdhsa_dx10_clamp 1
		.amdhsa_ieee_mode 1
		.amdhsa_fp16_overflow 0
		.amdhsa_workgroup_processor_mode 1
		.amdhsa_memory_ordered 1
		.amdhsa_forward_progress 0
		.amdhsa_shared_vgpr_count 0
		.amdhsa_exception_fp_ieee_invalid_op 0
		.amdhsa_exception_fp_denorm_src 0
		.amdhsa_exception_fp_ieee_div_zero 0
		.amdhsa_exception_fp_ieee_overflow 0
		.amdhsa_exception_fp_ieee_underflow 0
		.amdhsa_exception_fp_ieee_inexact 0
		.amdhsa_exception_int_div_zero 0
	.end_amdhsa_kernel
	.section	.text._ZL25flash_attn_mask_to_KV_maxILi1EEvPK7__half2Piiii,"axG",@progbits,_ZL25flash_attn_mask_to_KV_maxILi1EEvPK7__half2Piiii,comdat
.Lfunc_end10:
	.size	_ZL25flash_attn_mask_to_KV_maxILi1EEvPK7__half2Piiii, .Lfunc_end10-_ZL25flash_attn_mask_to_KV_maxILi1EEvPK7__half2Piiii
                                        ; -- End function
	.section	.AMDGPU.csdata,"",@progbits
; Kernel info:
; codeLenInByte = 456
; NumSgprs: 18
; NumVgprs: 7
; ScratchSize: 0
; MemoryBound: 0
; FloatMode: 240
; IeeeMode: 1
; LDSByteSize: 128 bytes/workgroup (compile time only)
; SGPRBlocks: 2
; VGPRBlocks: 0
; NumSGPRsForWavesPerEU: 18
; NumVGPRsForWavesPerEU: 7
; Occupancy: 16
; WaveLimiterHint : 0
; COMPUTE_PGM_RSRC2:SCRATCH_EN: 0
; COMPUTE_PGM_RSRC2:USER_SGPR: 14
; COMPUTE_PGM_RSRC2:TRAP_HANDLER: 0
; COMPUTE_PGM_RSRC2:TGID_X_EN: 1
; COMPUTE_PGM_RSRC2:TGID_Y_EN: 1
; COMPUTE_PGM_RSRC2:TGID_Z_EN: 0
; COMPUTE_PGM_RSRC2:TIDIG_COMP_CNT: 0
	.section	.text._ZL33flash_attn_stream_k_fixup_uniformILi256ELi1ELi8EEvPfPK15HIP_vector_typeIfLj2EEiiiiiiS1_IjLj3EES5_S5_,"axG",@progbits,_ZL33flash_attn_stream_k_fixup_uniformILi256ELi1ELi8EEvPfPK15HIP_vector_typeIfLj2EEiiiiiiS1_IjLj3EES5_S5_,comdat
	.globl	_ZL33flash_attn_stream_k_fixup_uniformILi256ELi1ELi8EEvPfPK15HIP_vector_typeIfLj2EEiiiiiiS1_IjLj3EES5_S5_ ; -- Begin function _ZL33flash_attn_stream_k_fixup_uniformILi256ELi1ELi8EEvPfPK15HIP_vector_typeIfLj2EEiiiiiiS1_IjLj3EES5_S5_
	.p2align	8
	.type	_ZL33flash_attn_stream_k_fixup_uniformILi256ELi1ELi8EEvPfPK15HIP_vector_typeIfLj2EEiiiiiiS1_IjLj3EES5_S5_,@function
_ZL33flash_attn_stream_k_fixup_uniformILi256ELi1ELi8EEvPfPK15HIP_vector_typeIfLj2EEiiiiiiS1_IjLj3EES5_S5_: ; @_ZL33flash_attn_stream_k_fixup_uniformILi256ELi1ELi8EEvPfPK15HIP_vector_typeIfLj2EEiiiiiiS1_IjLj3EES5_S5_
; %bb.0:
	s_clause 0x1
	s_load_b256 s[4:11], s[0:1], 0x1c
	s_load_b128 s[16:19], s[0:1], 0x3c
	s_waitcnt lgkmcnt(0)
	s_mul_hi_u32 s2, s7, s13
	s_delay_alu instid0(SALU_CYCLE_1) | instskip(NEXT) | instid1(SALU_CYCLE_1)
	s_add_i32 s2, s13, s2
	s_lshr_b32 s7, s2, s8
	s_delay_alu instid0(SALU_CYCLE_1) | instskip(SKIP_2) | instid1(SALU_CYCLE_1)
	s_mul_i32 s2, s7, s9
	s_load_b64 s[8:9], s[0:1], 0x10
	s_sub_i32 s2, s13, s2
	s_mul_hi_u32 s3, s2, s10
	s_delay_alu instid0(SALU_CYCLE_1) | instskip(NEXT) | instid1(SALU_CYCLE_1)
	s_add_i32 s3, s2, s3
	s_lshr_b32 s10, s3, s11
	s_delay_alu instid0(SALU_CYCLE_1) | instskip(NEXT) | instid1(SALU_CYCLE_1)
	s_mul_i32 s3, s10, s16
	s_sub_i32 s2, s2, s3
	s_delay_alu instid0(SALU_CYCLE_1) | instskip(NEXT) | instid1(SALU_CYCLE_1)
	s_mul_hi_u32 s3, s2, s17
	s_add_i32 s3, s2, s3
	s_delay_alu instid0(SALU_CYCLE_1) | instskip(NEXT) | instid1(SALU_CYCLE_1)
	s_lshr_b32 s3, s3, s18
	s_mul_i32 s11, s3, s19
	s_lshl_b32 s12, s3, 3
	s_sub_i32 s11, s2, s11
	s_delay_alu instid0(SALU_CYCLE_1) | instskip(SKIP_4) | instid1(SALU_CYCLE_1)
	s_add_i32 s11, s11, s14
	s_waitcnt lgkmcnt(0)
	s_cmp_lt_i32 s11, s8
	s_cselect_b32 s2, -1, 0
	s_add_i32 s12, s12, s15
	s_cmp_lt_i32 s12, s5
	s_cselect_b32 s3, -1, 0
	s_delay_alu instid0(SALU_CYCLE_1) | instskip(NEXT) | instid1(SALU_CYCLE_1)
	s_and_b32 s2, s2, s3
	s_and_not1_b32 vcc_lo, exec_lo, s2
	s_cbranch_vccnz .LBB11_6
; %bb.1:
	s_mul_i32 s7, s7, s8
	s_mul_i32 s10, s10, s5
	s_add_i32 s5, s11, s7
	s_load_b128 s[0:3], s[0:1], 0x0
	s_add_i32 s7, s12, s10
	s_mul_i32 s5, s5, s9
	s_delay_alu instid0(SALU_CYCLE_1) | instskip(SKIP_3) | instid1(VALU_DEP_1)
	s_add_i32 s7, s7, s5
	s_mul_i32 s5, s13, s6
	v_lshl_or_b32 v1, s7, 8, v0
	s_add_i32 s9, s5, s6
	v_ashrrev_i32_e32 v2, 31, v1
	s_delay_alu instid0(VALU_DEP_1) | instskip(SKIP_1) | instid1(VALU_DEP_1)
	v_lshlrev_b64 v[1:2], 2, v[1:2]
	s_waitcnt lgkmcnt(0)
	v_add_co_u32 v1, vcc_lo, s0, v1
	s_delay_alu instid0(VALU_DEP_2) | instskip(SKIP_1) | instid1(SALU_CYCLE_1)
	v_add_co_ci_u32_e32 v2, vcc_lo, s1, v2, vcc_lo
	s_add_i32 s0, s14, s9
	s_lshl_b32 s0, s0, 3
	global_load_b32 v5, v[1:2], off
	s_add_i32 s0, s0, s15
	s_delay_alu instid0(SALU_CYCLE_1) | instskip(NEXT) | instid1(SALU_CYCLE_1)
	s_add_i32 s0, s0, -8
	s_ashr_i32 s1, s0, 31
	s_delay_alu instid0(SALU_CYCLE_1) | instskip(NEXT) | instid1(SALU_CYCLE_1)
	s_lshl_b64 s[0:1], s[0:1], 3
	s_add_u32 s0, s2, s0
	s_addc_u32 s1, s3, s1
	s_add_i32 s7, s9, -2
	s_load_b32 s10, s[0:1], 0x4
	s_cmp_lt_i32 s7, s5
	s_cbranch_scc1 .LBB11_4
; %bb.2:
	s_lshl_b32 s16, s4, 5
	s_load_b32 s11, s[0:1], 0x0
	s_ashr_i32 s17, s16, 31
	s_delay_alu instid0(SALU_CYCLE_1) | instskip(NEXT) | instid1(SALU_CYCLE_1)
	s_lshl_b64 s[0:1], s[16:17], 2
	s_add_u32 s7, s2, s0
	s_addc_u32 s8, s3, s1
	s_add_i32 s13, s13, 1
	s_lshl_b32 s0, s15, 8
	s_lshl_b32 s1, s14, 11
	s_mul_i32 s6, s6, s13
	s_add_i32 s0, s0, s1
	s_lshl_b32 s1, s6, 11
	s_delay_alu instid0(SALU_CYCLE_1)
	s_add_i32 s0, s0, s1
	s_add_i32 s1, s14, s4
	v_or_b32_e32 v0, s0, v0
	s_add_i32 s1, s1, s9
	s_waitcnt lgkmcnt(0)
	v_mov_b32_e32 v6, s10
	s_lshl_b32 s0, s1, 3
	s_add_i32 s4, s9, -1
	v_dual_mov_b32 v0, s11 :: v_dual_add_nc_u32 v3, 0xfffff000, v0
	s_add_i32 s0, s15, s0
	s_delay_alu instid0(SALU_CYCLE_1)
	s_add_i32 s0, s0, -16
.LBB11_3:                               ; =>This Inner Loop Header: Depth=1
	s_delay_alu instid0(VALU_DEP_1) | instskip(SKIP_1) | instid1(SALU_CYCLE_1)
	v_ashrrev_i32_e32 v4, 31, v3
	s_ashr_i32 s1, s0, 31
	s_lshl_b64 s[10:11], s[0:1], 3
	s_delay_alu instid0(SALU_CYCLE_1) | instskip(NEXT) | instid1(VALU_DEP_1)
	s_add_u32 s10, s2, s10
	v_lshlrev_b64 v[7:8], 2, v[3:4]
	s_addc_u32 s11, s3, s11
	s_add_i32 s4, s4, -1
	s_add_i32 s0, s0, -8
	s_cmp_le_i32 s4, s5
	s_load_b64 s[10:11], s[10:11], 0x0
	v_add_co_u32 v7, vcc_lo, s7, v7
	v_add_co_ci_u32_e32 v8, vcc_lo, s8, v8, vcc_lo
	global_load_b32 v4, v[7:8], off
	v_max_f32_e32 v7, v0, v0
	s_waitcnt lgkmcnt(0)
	v_max_f32_e64 v8, s10, s10
	s_delay_alu instid0(VALU_DEP_1) | instskip(NEXT) | instid1(VALU_DEP_1)
	v_max_f32_e32 v7, v7, v8
	v_sub_f32_e32 v8, s10, v7
	s_delay_alu instid0(VALU_DEP_1) | instskip(NEXT) | instid1(VALU_DEP_1)
	v_dual_sub_f32 v0, v0, v7 :: v_dual_mul_f32 v9, 0x3fb8aa3b, v8
	v_fma_f32 v10, 0x3fb8aa3b, v8, -v9
	v_rndne_f32_e32 v11, v9
	s_delay_alu instid0(VALU_DEP_3) | instskip(NEXT) | instid1(VALU_DEP_2)
	v_mul_f32_e32 v12, 0x3fb8aa3b, v0
	v_dual_fmac_f32 v10, 0x32a5705f, v8 :: v_dual_sub_f32 v9, v9, v11
	v_cvt_i32_f32_e32 v11, v11
	s_delay_alu instid0(VALU_DEP_3) | instskip(SKIP_1) | instid1(VALU_DEP_4)
	v_fma_f32 v13, 0x3fb8aa3b, v0, -v12
	v_rndne_f32_e32 v14, v12
	v_add_f32_e32 v9, v9, v10
	v_cmp_ngt_f32_e32 vcc_lo, 0xc2ce8ed0, v8
	s_delay_alu instid0(VALU_DEP_3) | instskip(NEXT) | instid1(VALU_DEP_3)
	v_sub_f32_e32 v10, v12, v14
	v_exp_f32_e32 v9, v9
	s_waitcnt_depctr 0xfff
	v_ldexp_f32 v9, v9, v11
	v_cvt_i32_f32_e32 v11, v14
	s_delay_alu instid0(VALU_DEP_2) | instskip(SKIP_1) | instid1(VALU_DEP_2)
	v_cndmask_b32_e32 v9, 0, v9, vcc_lo
	v_cmp_nlt_f32_e32 vcc_lo, 0x42b17218, v8
	v_cndmask_b32_e32 v9, 0x7f800000, v9, vcc_lo
	v_cmp_ngt_f32_e32 vcc_lo, 0xc2ce8ed0, v0
	v_fmac_f32_e32 v13, 0x32a5705f, v0
	s_delay_alu instid0(VALU_DEP_1) | instskip(NEXT) | instid1(VALU_DEP_1)
	v_add_f32_e32 v10, v10, v13
	v_exp_f32_e32 v10, v10
	s_waitcnt_depctr 0xfff
	v_ldexp_f32 v10, v10, v11
	s_delay_alu instid0(VALU_DEP_1)
	v_dual_mov_b32 v11, v6 :: v_dual_cndmask_b32 v10, 0, v10
	v_cmp_le_f32_e32 vcc_lo, 0xc1a00000, v8
	s_waitcnt vmcnt(1)
	v_dual_cndmask_b32 v8, 0, v9 :: v_dual_mov_b32 v9, v5
	v_cmp_nlt_f32_e32 vcc_lo, 0x42b17218, v0
	v_cndmask_b32_e32 v5, 0x7f800000, v10, vcc_lo
	s_delay_alu instid0(VALU_DEP_3) | instskip(SKIP_2) | instid1(VALU_DEP_3)
	v_mul_f32_e32 v10, s11, v8
	v_cmp_le_f32_e32 vcc_lo, 0xc1a00000, v0
	v_mov_b32_e32 v0, v7
	v_mov_b32_e32 v6, v10
	s_waitcnt vmcnt(0)
	v_dual_cndmask_b32 v12, 0, v5 :: v_dual_mul_f32 v5, v4, v8
	s_delay_alu instid0(VALU_DEP_1) | instskip(NEXT) | instid1(VALU_DEP_2)
	v_dual_fmac_f32 v6, v11, v12 :: v_dual_add_nc_u32 v3, 0xfffff800, v3
	v_fmac_f32_e32 v5, v9, v12
	s_cbranch_scc0 .LBB11_3
	s_branch .LBB11_5
.LBB11_4:
	s_waitcnt lgkmcnt(0)
	v_mov_b32_e32 v6, s10
.LBB11_5:
	s_waitcnt vmcnt(0)
	s_delay_alu instid0(VALU_DEP_1) | instskip(NEXT) | instid1(VALU_DEP_1)
	v_div_scale_f32 v0, null, v6, v6, v5
	v_rcp_f32_e32 v3, v0
	s_waitcnt_depctr 0xfff
	v_fma_f32 v4, -v0, v3, 1.0
	s_delay_alu instid0(VALU_DEP_1) | instskip(SKIP_1) | instid1(VALU_DEP_1)
	v_fmac_f32_e32 v3, v4, v3
	v_div_scale_f32 v4, vcc_lo, v5, v6, v5
	v_mul_f32_e32 v7, v4, v3
	s_delay_alu instid0(VALU_DEP_1) | instskip(NEXT) | instid1(VALU_DEP_1)
	v_fma_f32 v8, -v0, v7, v4
	v_fmac_f32_e32 v7, v8, v3
	s_delay_alu instid0(VALU_DEP_1) | instskip(NEXT) | instid1(VALU_DEP_1)
	v_fma_f32 v0, -v0, v7, v4
	v_div_fmas_f32 v0, v0, v3, v7
	s_delay_alu instid0(VALU_DEP_1)
	v_div_fixup_f32 v0, v0, v6, v5
	global_store_b32 v[1:2], v0, off
.LBB11_6:
	s_nop 0
	s_sendmsg sendmsg(MSG_DEALLOC_VGPRS)
	s_endpgm
	.section	.rodata,"a",@progbits
	.p2align	6, 0x0
	.amdhsa_kernel _ZL33flash_attn_stream_k_fixup_uniformILi256ELi1ELi8EEvPfPK15HIP_vector_typeIfLj2EEiiiiiiS1_IjLj3EES5_S5_
		.amdhsa_group_segment_fixed_size 0
		.amdhsa_private_segment_fixed_size 0
		.amdhsa_kernarg_size 76
		.amdhsa_user_sgpr_count 13
		.amdhsa_user_sgpr_dispatch_ptr 0
		.amdhsa_user_sgpr_queue_ptr 0
		.amdhsa_user_sgpr_kernarg_segment_ptr 1
		.amdhsa_user_sgpr_dispatch_id 0
		.amdhsa_user_sgpr_private_segment_size 0
		.amdhsa_wavefront_size32 1
		.amdhsa_uses_dynamic_stack 0
		.amdhsa_enable_private_segment 0
		.amdhsa_system_sgpr_workgroup_id_x 1
		.amdhsa_system_sgpr_workgroup_id_y 1
		.amdhsa_system_sgpr_workgroup_id_z 1
		.amdhsa_system_sgpr_workgroup_info 0
		.amdhsa_system_vgpr_workitem_id 0
		.amdhsa_next_free_vgpr 15
		.amdhsa_next_free_sgpr 20
		.amdhsa_reserve_vcc 1
		.amdhsa_float_round_mode_32 0
		.amdhsa_float_round_mode_16_64 0
		.amdhsa_float_denorm_mode_32 3
		.amdhsa_float_denorm_mode_16_64 3
		.amdhsa_dx10_clamp 1
		.amdhsa_ieee_mode 1
		.amdhsa_fp16_overflow 0
		.amdhsa_workgroup_processor_mode 1
		.amdhsa_memory_ordered 1
		.amdhsa_forward_progress 0
		.amdhsa_shared_vgpr_count 0
		.amdhsa_exception_fp_ieee_invalid_op 0
		.amdhsa_exception_fp_denorm_src 0
		.amdhsa_exception_fp_ieee_div_zero 0
		.amdhsa_exception_fp_ieee_overflow 0
		.amdhsa_exception_fp_ieee_underflow 0
		.amdhsa_exception_fp_ieee_inexact 0
		.amdhsa_exception_int_div_zero 0
	.end_amdhsa_kernel
	.section	.text._ZL33flash_attn_stream_k_fixup_uniformILi256ELi1ELi8EEvPfPK15HIP_vector_typeIfLj2EEiiiiiiS1_IjLj3EES5_S5_,"axG",@progbits,_ZL33flash_attn_stream_k_fixup_uniformILi256ELi1ELi8EEvPfPK15HIP_vector_typeIfLj2EEiiiiiiS1_IjLj3EES5_S5_,comdat
.Lfunc_end11:
	.size	_ZL33flash_attn_stream_k_fixup_uniformILi256ELi1ELi8EEvPfPK15HIP_vector_typeIfLj2EEiiiiiiS1_IjLj3EES5_S5_, .Lfunc_end11-_ZL33flash_attn_stream_k_fixup_uniformILi256ELi1ELi8EEvPfPK15HIP_vector_typeIfLj2EEiiiiiiS1_IjLj3EES5_S5_
                                        ; -- End function
	.section	.AMDGPU.csdata,"",@progbits
; Kernel info:
; codeLenInByte = 968
; NumSgprs: 22
; NumVgprs: 15
; ScratchSize: 0
; MemoryBound: 0
; FloatMode: 240
; IeeeMode: 1
; LDSByteSize: 0 bytes/workgroup (compile time only)
; SGPRBlocks: 2
; VGPRBlocks: 1
; NumSGPRsForWavesPerEU: 22
; NumVGPRsForWavesPerEU: 15
; Occupancy: 16
; WaveLimiterHint : 0
; COMPUTE_PGM_RSRC2:SCRATCH_EN: 0
; COMPUTE_PGM_RSRC2:USER_SGPR: 13
; COMPUTE_PGM_RSRC2:TRAP_HANDLER: 0
; COMPUTE_PGM_RSRC2:TGID_X_EN: 1
; COMPUTE_PGM_RSRC2:TGID_Y_EN: 1
; COMPUTE_PGM_RSRC2:TGID_Z_EN: 1
; COMPUTE_PGM_RSRC2:TIDIG_COMP_CNT: 0
	.section	.text._ZL33flash_attn_stream_k_fixup_generalILi256ELi1ELi8EEvPfPK15HIP_vector_typeIfLj2EEiiiiS1_IjLj3EES5_S5_S5_,"axG",@progbits,_ZL33flash_attn_stream_k_fixup_generalILi256ELi1ELi8EEvPfPK15HIP_vector_typeIfLj2EEiiiiS1_IjLj3EES5_S5_S5_,comdat
	.globl	_ZL33flash_attn_stream_k_fixup_generalILi256ELi1ELi8EEvPfPK15HIP_vector_typeIfLj2EEiiiiS1_IjLj3EES5_S5_S5_ ; -- Begin function _ZL33flash_attn_stream_k_fixup_generalILi256ELi1ELi8EEvPfPK15HIP_vector_typeIfLj2EEiiiiS1_IjLj3EES5_S5_S5_
	.p2align	8
	.type	_ZL33flash_attn_stream_k_fixup_generalILi256ELi1ELi8EEvPfPK15HIP_vector_typeIfLj2EEiiiiS1_IjLj3EES5_S5_S5_,@function
_ZL33flash_attn_stream_k_fixup_generalILi256ELi1ELi8EEvPfPK15HIP_vector_typeIfLj2EEiiiiS1_IjLj3EES5_S5_S5_: ; @_ZL33flash_attn_stream_k_fixup_generalILi256ELi1ELi8EEvPfPK15HIP_vector_typeIfLj2EEiiiiS1_IjLj3EES5_S5_S5_
; %bb.0:
	s_clause 0x1
	s_load_b128 s[4:7], s[0:1], 0x10
	s_load_b32 s20, s[0:1], 0x50
	s_mov_b32 s2, 0
	s_waitcnt lgkmcnt(0)
	s_mul_hi_i32 s3, s7, s13
	s_mul_i32 s12, s7, s13
	s_cmp_lg_u64 s[2:3], 0
	s_cbranch_scc0 .LBB12_21
; %bb.1:
	v_cvt_f32_ubyte0_e32 v1, 0
	v_cvt_f32_u32_e32 v2, s20
	s_sub_u32 s10, 0, s20
	s_subb_u32 s11, 0, 0
	s_delay_alu instid0(VALU_DEP_1) | instskip(NEXT) | instid1(VALU_DEP_1)
	v_fmamk_f32 v1, v1, 0x4f800000, v2
	v_rcp_f32_e32 v1, v1
	s_waitcnt_depctr 0xfff
	v_mul_f32_e32 v1, 0x5f7ffffc, v1
	s_delay_alu instid0(VALU_DEP_1) | instskip(NEXT) | instid1(VALU_DEP_1)
	v_mul_f32_e32 v2, 0x2f800000, v1
	v_trunc_f32_e32 v2, v2
	s_delay_alu instid0(VALU_DEP_1) | instskip(SKIP_1) | instid1(VALU_DEP_2)
	v_fmamk_f32 v1, v2, 0xcf800000, v1
	v_cvt_u32_f32_e32 v2, v2
	v_cvt_u32_f32_e32 v1, v1
	s_delay_alu instid0(VALU_DEP_2) | instskip(NEXT) | instid1(VALU_DEP_2)
	v_readfirstlane_b32 s8, v2
	v_readfirstlane_b32 s9, v1
	s_delay_alu instid0(VALU_DEP_2) | instskip(NEXT) | instid1(VALU_DEP_1)
	s_mul_i32 s16, s10, s8
	s_mul_hi_u32 s18, s10, s9
	s_mul_i32 s17, s11, s9
	s_add_i32 s16, s18, s16
	s_mul_i32 s19, s10, s9
	s_add_i32 s16, s16, s17
	s_mul_hi_u32 s18, s9, s19
	s_mul_hi_u32 s21, s8, s19
	s_mul_i32 s17, s8, s19
	s_mul_hi_u32 s19, s9, s16
	s_mul_i32 s9, s9, s16
	s_mul_hi_u32 s22, s8, s16
	s_add_u32 s9, s18, s9
	s_addc_u32 s18, 0, s19
	s_add_u32 s9, s9, s17
	s_mul_i32 s16, s8, s16
	s_addc_u32 s9, s18, s21
	s_addc_u32 s17, s22, 0
	s_add_u32 s9, s9, s16
	s_addc_u32 s16, 0, s17
	v_add_co_u32 v1, s9, v1, s9
	s_delay_alu instid0(VALU_DEP_1) | instskip(SKIP_1) | instid1(VALU_DEP_1)
	s_cmp_lg_u32 s9, 0
	s_addc_u32 s8, s8, s16
	v_readfirstlane_b32 s9, v1
	s_mul_i32 s16, s10, s8
	s_delay_alu instid0(VALU_DEP_1)
	s_mul_hi_u32 s17, s10, s9
	s_mul_i32 s11, s11, s9
	s_add_i32 s16, s17, s16
	s_mul_i32 s10, s10, s9
	s_add_i32 s16, s16, s11
	s_mul_hi_u32 s17, s8, s10
	s_mul_i32 s18, s8, s10
	s_mul_hi_u32 s10, s9, s10
	s_mul_hi_u32 s19, s9, s16
	s_mul_i32 s9, s9, s16
	s_mul_hi_u32 s11, s8, s16
	s_add_u32 s9, s10, s9
	s_addc_u32 s10, 0, s19
	s_add_u32 s9, s9, s18
	s_mul_i32 s16, s8, s16
	s_addc_u32 s9, s10, s17
	s_addc_u32 s10, s11, 0
	s_add_u32 s9, s9, s16
	s_addc_u32 s10, 0, s10
	v_add_co_u32 v1, s9, v1, s9
	s_delay_alu instid0(VALU_DEP_1) | instskip(SKIP_2) | instid1(SALU_CYCLE_1)
	s_cmp_lg_u32 s9, 0
	s_addc_u32 s16, s8, s10
	s_ashr_i32 s8, s3, 31
	s_add_u32 s10, s12, s8
	s_addc_u32 s11, s3, s8
	v_readfirstlane_b32 s3, v1
	s_mov_b32 s9, s8
	s_delay_alu instid0(SALU_CYCLE_1) | instskip(NEXT) | instid1(SALU_CYCLE_1)
	s_xor_b64 s[10:11], s[10:11], s[8:9]
	s_mul_i32 s18, s10, s16
	s_delay_alu instid0(VALU_DEP_1)
	s_mul_hi_u32 s19, s10, s3
	s_mul_hi_u32 s17, s10, s16
	;; [unrolled: 1-line block ×3, first 2 shown]
	s_mul_i32 s3, s11, s3
	s_add_u32 s18, s19, s18
	s_addc_u32 s17, 0, s17
	s_mul_hi_u32 s21, s11, s16
	s_add_u32 s3, s18, s3
	s_mul_i32 s16, s11, s16
	s_addc_u32 s3, s17, s22
	s_addc_u32 s17, s21, 0
	s_add_u32 s3, s3, s16
	s_addc_u32 s16, 0, s17
	s_mul_i32 s18, s20, s3
	s_add_u32 s17, s3, 1
	v_sub_co_u32 v1, s10, s10, s18
	s_mul_hi_u32 s18, s20, s3
	s_addc_u32 s19, s16, 0
	s_mul_i32 s21, s20, s16
	s_delay_alu instid0(VALU_DEP_1)
	v_sub_co_u32 v2, s22, v1, s20
	s_add_u32 s23, s3, 2
	s_addc_u32 s24, s16, 0
	s_add_i32 s18, s18, s21
	s_cmp_lg_u32 s10, 0
	v_readfirstlane_b32 s10, v2
	s_subb_u32 s11, s11, s18
	s_cmp_lg_u32 s22, 0
	s_subb_u32 s18, s11, 0
	s_delay_alu instid0(VALU_DEP_1) | instskip(SKIP_4) | instid1(SALU_CYCLE_1)
	s_cmp_ge_u32 s10, s20
	s_cselect_b32 s10, -1, 0
	s_cmp_eq_u32 s18, 0
	v_readfirstlane_b32 s18, v1
	s_cselect_b32 s10, s10, -1
	s_cmp_lg_u32 s10, 0
	s_cselect_b32 s10, s23, s17
	s_cselect_b32 s17, s24, s19
	s_cmp_ge_u32 s18, s20
	s_cselect_b32 s18, -1, 0
	s_cmp_eq_u32 s11, 0
	s_cselect_b32 s11, s18, -1
	s_delay_alu instid0(SALU_CYCLE_1) | instskip(SKIP_2) | instid1(SALU_CYCLE_1)
	s_cmp_lg_u32 s11, 0
	s_cselect_b32 s11, s17, s16
	s_cselect_b32 s10, s10, s3
	s_xor_b64 s[10:11], s[10:11], s[8:9]
	s_delay_alu instid0(SALU_CYCLE_1)
	s_sub_u32 s16, s10, s8
	s_load_b128 s[8:11], s[0:1], 0x44
	s_and_not1_b32 vcc_lo, exec_lo, s2
	s_cbranch_vccnz .LBB12_3
.LBB12_2:
	v_cvt_f32_u32_e32 v1, s20
	s_sub_i32 s3, 0, s20
	s_delay_alu instid0(VALU_DEP_1) | instskip(SKIP_2) | instid1(VALU_DEP_1)
	v_rcp_iflag_f32_e32 v1, v1
	s_waitcnt_depctr 0xfff
	v_mul_f32_e32 v1, 0x4f7ffffe, v1
	v_cvt_u32_f32_e32 v1, v1
	s_delay_alu instid0(VALU_DEP_1) | instskip(NEXT) | instid1(VALU_DEP_1)
	v_readfirstlane_b32 s2, v1
	s_mul_i32 s3, s3, s2
	s_delay_alu instid0(SALU_CYCLE_1) | instskip(NEXT) | instid1(SALU_CYCLE_1)
	s_mul_hi_u32 s3, s2, s3
	s_add_i32 s2, s2, s3
	s_delay_alu instid0(SALU_CYCLE_1) | instskip(NEXT) | instid1(SALU_CYCLE_1)
	s_mul_hi_u32 s2, s12, s2
	s_mul_i32 s3, s2, s20
	s_waitcnt lgkmcnt(0)
	s_add_i32 s11, s2, 1
	s_sub_i32 s3, s12, s3
	s_delay_alu instid0(SALU_CYCLE_1)
	s_sub_i32 s12, s3, s20
	s_cmp_ge_u32 s3, s20
	s_cselect_b32 s2, s11, s2
	s_cselect_b32 s3, s12, s3
	s_add_i32 s11, s2, 1
	s_cmp_ge_u32 s3, s20
	s_cselect_b32 s16, s11, s2
.LBB12_3:
	s_waitcnt lgkmcnt(0)
	s_add_i32 s11, s13, 1
	s_mov_b32 s2, 0
	s_mul_hi_i32 s3, s7, s11
	s_mul_i32 s11, s7, s11
	s_cmp_lg_u64 s[2:3], 0
	s_cbranch_scc0 .LBB12_22
; %bb.4:
	v_cvt_f32_ubyte0_e32 v1, 0
	v_cvt_f32_u32_e32 v2, s20
	s_sub_u32 s18, 0, s20
	s_subb_u32 s19, 0, 0
	s_delay_alu instid0(VALU_DEP_1) | instskip(NEXT) | instid1(VALU_DEP_1)
	v_fmamk_f32 v1, v1, 0x4f800000, v2
	v_rcp_f32_e32 v1, v1
	s_waitcnt_depctr 0xfff
	v_mul_f32_e32 v1, 0x5f7ffffc, v1
	s_delay_alu instid0(VALU_DEP_1) | instskip(NEXT) | instid1(VALU_DEP_1)
	v_mul_f32_e32 v2, 0x2f800000, v1
	v_trunc_f32_e32 v2, v2
	s_delay_alu instid0(VALU_DEP_1) | instskip(SKIP_1) | instid1(VALU_DEP_2)
	v_fmamk_f32 v1, v2, 0xcf800000, v1
	v_cvt_u32_f32_e32 v2, v2
	v_cvt_u32_f32_e32 v1, v1
	s_delay_alu instid0(VALU_DEP_2) | instskip(NEXT) | instid1(VALU_DEP_2)
	v_readfirstlane_b32 s12, v2
	v_readfirstlane_b32 s17, v1
	s_delay_alu instid0(VALU_DEP_2) | instskip(NEXT) | instid1(VALU_DEP_1)
	s_mul_i32 s21, s18, s12
	s_mul_hi_u32 s23, s18, s17
	s_mul_i32 s22, s19, s17
	s_add_i32 s21, s23, s21
	s_mul_i32 s24, s18, s17
	s_add_i32 s21, s21, s22
	s_mul_hi_u32 s23, s17, s24
	s_mul_hi_u32 s25, s12, s24
	s_mul_i32 s22, s12, s24
	s_mul_hi_u32 s24, s17, s21
	s_mul_i32 s17, s17, s21
	s_mul_hi_u32 s26, s12, s21
	s_add_u32 s17, s23, s17
	s_addc_u32 s23, 0, s24
	s_add_u32 s17, s17, s22
	s_mul_i32 s21, s12, s21
	s_addc_u32 s17, s23, s25
	s_addc_u32 s22, s26, 0
	s_add_u32 s17, s17, s21
	s_addc_u32 s21, 0, s22
	v_add_co_u32 v1, s17, v1, s17
	s_delay_alu instid0(VALU_DEP_1) | instskip(SKIP_1) | instid1(VALU_DEP_1)
	s_cmp_lg_u32 s17, 0
	s_addc_u32 s12, s12, s21
	v_readfirstlane_b32 s17, v1
	s_mul_i32 s21, s18, s12
	s_delay_alu instid0(VALU_DEP_1)
	s_mul_hi_u32 s22, s18, s17
	s_mul_i32 s19, s19, s17
	s_add_i32 s21, s22, s21
	s_mul_i32 s18, s18, s17
	s_add_i32 s21, s21, s19
	s_mul_hi_u32 s22, s12, s18
	s_mul_i32 s23, s12, s18
	s_mul_hi_u32 s18, s17, s18
	s_mul_hi_u32 s24, s17, s21
	s_mul_i32 s17, s17, s21
	s_mul_hi_u32 s19, s12, s21
	s_add_u32 s17, s18, s17
	s_addc_u32 s18, 0, s24
	s_add_u32 s17, s17, s23
	s_mul_i32 s21, s12, s21
	s_addc_u32 s17, s18, s22
	s_addc_u32 s18, s19, 0
	s_add_u32 s17, s17, s21
	s_addc_u32 s18, 0, s18
	v_add_co_u32 v1, s17, v1, s17
	s_delay_alu instid0(VALU_DEP_1) | instskip(SKIP_2) | instid1(SALU_CYCLE_1)
	s_cmp_lg_u32 s17, 0
	s_addc_u32 s12, s12, s18
	s_ashr_i32 s18, s3, 31
	s_add_u32 s22, s11, s18
	s_addc_u32 s23, s3, s18
	v_readfirstlane_b32 s3, v1
	s_mov_b32 s19, s18
	s_delay_alu instid0(SALU_CYCLE_1) | instskip(NEXT) | instid1(SALU_CYCLE_1)
	s_xor_b64 s[22:23], s[22:23], s[18:19]
	s_mul_i32 s21, s22, s12
	s_delay_alu instid0(VALU_DEP_1)
	s_mul_hi_u32 s24, s22, s3
	s_mul_hi_u32 s17, s22, s12
	;; [unrolled: 1-line block ×3, first 2 shown]
	s_mul_i32 s3, s23, s3
	s_add_u32 s21, s24, s21
	s_addc_u32 s17, 0, s17
	s_mul_hi_u32 s25, s23, s12
	s_add_u32 s3, s21, s3
	s_mul_i32 s12, s23, s12
	s_addc_u32 s3, s17, s26
	s_addc_u32 s17, s25, 0
	s_add_u32 s3, s3, s12
	s_addc_u32 s12, 0, s17
	s_mul_i32 s21, s20, s3
	s_add_u32 s17, s3, 1
	v_sub_co_u32 v1, s21, s22, s21
	s_mul_hi_u32 s22, s20, s3
	s_addc_u32 s24, s12, 0
	s_mul_i32 s25, s20, s12
	s_delay_alu instid0(VALU_DEP_1)
	v_sub_co_u32 v2, s26, v1, s20
	s_add_u32 s27, s3, 2
	s_addc_u32 s28, s12, 0
	s_add_i32 s22, s22, s25
	s_cmp_lg_u32 s21, 0
	v_readfirstlane_b32 s21, v2
	s_subb_u32 s22, s23, s22
	s_cmp_lg_u32 s26, 0
	s_subb_u32 s23, s22, 0
	s_delay_alu instid0(VALU_DEP_1) | instskip(SKIP_4) | instid1(SALU_CYCLE_1)
	s_cmp_ge_u32 s21, s20
	s_cselect_b32 s21, -1, 0
	s_cmp_eq_u32 s23, 0
	v_readfirstlane_b32 s23, v1
	s_cselect_b32 s21, s21, -1
	s_cmp_lg_u32 s21, 0
	s_cselect_b32 s17, s27, s17
	s_cselect_b32 s21, s28, s24
	s_cmp_ge_u32 s23, s20
	s_cselect_b32 s23, -1, 0
	s_cmp_eq_u32 s22, 0
	s_cselect_b32 s22, s23, -1
	s_delay_alu instid0(SALU_CYCLE_1) | instskip(SKIP_2) | instid1(SALU_CYCLE_1)
	s_cmp_lg_u32 s22, 0
	s_cselect_b32 s23, s21, s12
	s_cselect_b32 s22, s17, s3
	s_xor_b64 s[22:23], s[22:23], s[18:19]
	s_delay_alu instid0(SALU_CYCLE_1)
	s_sub_u32 s18, s22, s18
	s_and_not1_b32 vcc_lo, exec_lo, s2
	s_cbranch_vccnz .LBB12_6
.LBB12_5:
	v_cvt_f32_u32_e32 v1, s20
	s_sub_i32 s3, 0, s20
	s_delay_alu instid0(VALU_DEP_1) | instskip(SKIP_2) | instid1(VALU_DEP_1)
	v_rcp_iflag_f32_e32 v1, v1
	s_waitcnt_depctr 0xfff
	v_mul_f32_e32 v1, 0x4f7ffffe, v1
	v_cvt_u32_f32_e32 v1, v1
	s_delay_alu instid0(VALU_DEP_1) | instskip(NEXT) | instid1(VALU_DEP_1)
	v_readfirstlane_b32 s2, v1
	s_mul_i32 s3, s3, s2
	s_delay_alu instid0(SALU_CYCLE_1) | instskip(NEXT) | instid1(SALU_CYCLE_1)
	s_mul_hi_u32 s3, s2, s3
	s_add_i32 s2, s2, s3
	s_delay_alu instid0(SALU_CYCLE_1) | instskip(NEXT) | instid1(SALU_CYCLE_1)
	s_mul_hi_u32 s2, s11, s2
	s_mul_i32 s3, s2, s20
	s_delay_alu instid0(SALU_CYCLE_1)
	s_sub_i32 s3, s11, s3
	s_add_i32 s11, s2, 1
	s_sub_i32 s12, s3, s20
	s_cmp_ge_u32 s3, s20
	s_cselect_b32 s2, s11, s2
	s_cselect_b32 s3, s12, s3
	s_add_i32 s11, s2, 1
	s_cmp_ge_u32 s3, s20
	s_cselect_b32 s18, s11, s2
.LBB12_6:
	s_delay_alu instid0(SALU_CYCLE_1) | instskip(SKIP_3) | instid1(SALU_CYCLE_1)
	s_cmp_eq_u32 s16, s18
	s_mul_hi_u32 s2, s16, s8
	s_cselect_b32 s3, -1, 0
	s_add_i32 s2, s2, s16
	s_lshr_b32 s11, s2, s9
	s_delay_alu instid0(SALU_CYCLE_1) | instskip(NEXT) | instid1(SALU_CYCLE_1)
	s_mul_i32 s2, s11, s10
	s_cmp_eq_u32 s2, s16
	s_mul_hi_u32 s2, s18, s8
	s_cselect_b32 s12, -1, 0
	s_add_i32 s2, s2, s18
	s_delay_alu instid0(SALU_CYCLE_1) | instskip(NEXT) | instid1(SALU_CYCLE_1)
	s_lshr_b32 s2, s2, s9
	s_cmp_eq_u32 s11, s2
	s_mul_i32 s2, s2, s10
	s_cselect_b32 s17, -1, 0
	s_cmp_lg_u32 s2, s18
	s_cselect_b32 s2, -1, 0
	s_or_b32 s3, s3, s12
	s_and_b32 s2, s17, s2
	s_delay_alu instid0(SALU_CYCLE_1) | instskip(NEXT) | instid1(SALU_CYCLE_1)
	s_or_b32 s2, s3, s2
	s_and_b32 vcc_lo, exec_lo, s2
	s_cbranch_vccnz .LBB12_24
; %bb.7:
	s_load_b256 s[24:31], s[0:1], 0x20
	s_waitcnt lgkmcnt(0)
	s_mul_hi_u32 s2, s16, s24
	s_delay_alu instid0(SALU_CYCLE_1) | instskip(NEXT) | instid1(SALU_CYCLE_1)
	s_add_i32 s2, s2, s16
	s_lshr_b32 s17, s2, s25
	s_load_b32 s2, s[0:1], 0x40
	s_mul_i32 s3, s17, s26
	s_delay_alu instid0(SALU_CYCLE_1) | instskip(NEXT) | instid1(SALU_CYCLE_1)
	s_sub_i32 s3, s16, s3
	s_mul_hi_u32 s12, s3, s27
	s_delay_alu instid0(SALU_CYCLE_1) | instskip(NEXT) | instid1(SALU_CYCLE_1)
	s_add_i32 s12, s3, s12
	s_lshr_b32 s18, s12, s28
	s_delay_alu instid0(SALU_CYCLE_1) | instskip(NEXT) | instid1(SALU_CYCLE_1)
	s_mul_i32 s12, s18, s29
	s_sub_i32 s3, s3, s12
	s_delay_alu instid0(SALU_CYCLE_1) | instskip(NEXT) | instid1(SALU_CYCLE_1)
	s_mul_hi_u32 s12, s3, s30
	s_add_i32 s12, s3, s12
	s_delay_alu instid0(SALU_CYCLE_1)
	s_lshr_b32 s12, s12, s31
	s_waitcnt lgkmcnt(0)
	s_mul_i32 s2, s12, s2
	s_lshl_b32 s21, s12, 3
	s_sub_i32 s2, s3, s2
	s_mov_b32 s12, 0
	s_mul_hi_u32 s3, s2, s8
	s_delay_alu instid0(SALU_CYCLE_1) | instskip(NEXT) | instid1(SALU_CYCLE_1)
	s_add_i32 s2, s2, s3
	s_lshr_b32 s19, s2, s9
	s_delay_alu instid0(SALU_CYCLE_1) | instskip(NEXT) | instid1(SALU_CYCLE_1)
	s_add_i32 s19, s19, s14
	s_cmp_lt_i32 s19, s4
	s_cselect_b32 s2, -1, 0
	s_add_i32 s21, s21, s15
	s_delay_alu instid0(SALU_CYCLE_1) | instskip(SKIP_1) | instid1(SALU_CYCLE_1)
	s_cmp_lt_i32 s21, s6
	s_cselect_b32 s3, -1, 0
	s_and_b32 s2, s2, s3
	s_delay_alu instid0(SALU_CYCLE_1)
	s_and_not1_b32 vcc_lo, exec_lo, s2
	s_cbranch_vccnz .LBB12_24
; %bb.8:
	s_load_b128 s[0:3], s[0:1], 0x0
	s_lshl_b32 s22, s20, 5
	s_mov_b32 s23, s12
	s_mul_i32 s4, s17, s4
	s_lshl_b64 s[22:23], s[22:23], 2
	s_mul_i32 s18, s18, s6
	v_cvt_f32_ubyte0_e32 v4, 0
	v_cvt_f32_u32_e32 v5, s20
	s_waitcnt lgkmcnt(0)
	s_add_u32 s6, s2, s22
	s_addc_u32 s17, s3, s23
	s_add_i32 s4, s19, s4
	s_add_i32 s18, s21, s18
	s_mul_i32 s4, s4, s5
	s_delay_alu instid0(SALU_CYCLE_1) | instskip(NEXT) | instid1(SALU_CYCLE_1)
	s_add_i32 s18, s18, s4
	v_lshl_or_b32 v1, s18, 8, v0
	v_lshl_or_b32 v0, s15, 8, v0
	s_delay_alu instid0(VALU_DEP_2) | instskip(NEXT) | instid1(VALU_DEP_1)
	v_ashrrev_i32_e32 v2, 31, v1
	v_lshlrev_b64 v[1:2], 2, v[1:2]
	s_delay_alu instid0(VALU_DEP_1) | instskip(NEXT) | instid1(VALU_DEP_2)
	v_add_co_u32 v1, vcc_lo, s0, v1
	v_add_co_ci_u32_e32 v2, vcc_lo, s1, v2, vcc_lo
	s_add_i32 s0, s14, s13
	s_delay_alu instid0(SALU_CYCLE_1) | instskip(SKIP_2) | instid1(SALU_CYCLE_1)
	s_lshl_b32 s0, s0, 3
	global_load_b32 v3, v[1:2], off
	s_add_i32 s0, s0, s15
	s_ashr_i32 s1, s0, 31
	s_delay_alu instid0(SALU_CYCLE_1) | instskip(NEXT) | instid1(SALU_CYCLE_1)
	s_lshl_b64 s[0:1], s[0:1], 3
	s_add_u32 s0, s2, s0
	s_addc_u32 s1, s3, s1
	s_add_i32 s19, s13, -1
	s_load_b64 s[0:1], s[0:1], 0x0
	v_fmac_f32_e32 v5, 0x4f800000, v4
	s_sub_i32 s18, 0, s20
	s_waitcnt lgkmcnt(0)
	v_mov_b32_e32 v8, s0
	s_delay_alu instid0(VALU_DEP_2) | instskip(SKIP_2) | instid1(VALU_DEP_2)
	v_rcp_f32_e32 v4, v5
	v_cvt_f32_u32_e32 v5, s20
	v_mov_b32_e32 v7, s1
	v_rcp_iflag_f32_e32 v5, v5
	s_waitcnt_depctr 0xfff
	v_mul_f32_e32 v4, 0x5f7ffffc, v4
	s_delay_alu instid0(VALU_DEP_1) | instskip(SKIP_1) | instid1(VALU_DEP_2)
	v_mul_f32_e32 v6, 0x2f800000, v4
	v_mul_f32_e32 v9, 0x4f7ffffe, v5
	v_trunc_f32_e32 v6, v6
	s_delay_alu instid0(VALU_DEP_1) | instskip(SKIP_1) | instid1(VALU_DEP_4)
	v_fmac_f32_e32 v4, 0xcf800000, v6
	v_cvt_u32_f32_e32 v5, v6
	v_cvt_u32_f32_e32 v6, v9
	s_delay_alu instid0(VALU_DEP_3)
	v_cvt_u32_f32_e32 v4, v4
.LBB12_9:                               ; =>This Inner Loop Header: Depth=1
	s_mul_hi_i32 s13, s19, s7
	s_mul_i32 s4, s19, s7
	s_cmp_lg_u64 s[12:13], 0
	s_mov_b32 s5, -1
                                        ; implicit-def: $sgpr0_sgpr1
	s_cbranch_scc0 .LBB12_11
; %bb.10:                               ;   in Loop: Header=BB12_9 Depth=1
	v_readfirstlane_b32 s0, v4
	v_readfirstlane_b32 s1, v5
	s_sub_u32 s5, 0, s20
	s_subb_u32 s21, 0, 0
	s_delay_alu instid0(VALU_DEP_2) | instskip(NEXT) | instid1(VALU_DEP_1)
	s_mul_hi_u32 s22, s5, s0
	s_mul_i32 s23, s5, s1
	s_mul_i32 s24, s21, s0
	s_add_i32 s22, s22, s23
	s_mul_i32 s23, s5, s0
	s_add_i32 s22, s22, s24
	s_mul_hi_u32 s24, s0, s23
	s_mul_i32 s25, s0, s22
	s_mul_hi_u32 s0, s0, s22
	s_add_u32 s24, s24, s25
	s_mul_i32 s26, s1, s23
	s_addc_u32 s0, 0, s0
	s_mul_hi_u32 s23, s1, s23
	s_mul_hi_u32 s25, s1, s22
	s_add_u32 s24, s24, s26
	s_addc_u32 s0, s0, s23
	s_mul_i32 s22, s1, s22
	s_addc_u32 s23, s25, 0
	s_add_u32 s0, s0, s22
	s_addc_u32 s22, 0, s23
	v_add_co_u32 v9, s0, v4, s0
	s_delay_alu instid0(VALU_DEP_1) | instskip(SKIP_1) | instid1(VALU_DEP_1)
	s_cmp_lg_u32 s0, 0
	s_addc_u32 s1, s1, s22
	v_readfirstlane_b32 s0, v9
	s_mul_i32 s22, s5, s1
	s_delay_alu instid0(VALU_DEP_1)
	s_mul_hi_u32 s23, s5, s0
	s_mul_i32 s21, s21, s0
	s_add_i32 s22, s23, s22
	s_mul_i32 s5, s5, s0
	s_add_i32 s22, s22, s21
	s_mul_hi_u32 s21, s1, s5
	s_mul_i32 s24, s1, s5
	s_mul_i32 s25, s0, s22
	s_mul_hi_u32 s5, s0, s5
	s_mul_hi_u32 s0, s0, s22
	s_add_u32 s5, s5, s25
	s_addc_u32 s0, 0, s0
	s_mul_hi_u32 s23, s1, s22
	s_add_u32 s5, s5, s24
	s_addc_u32 s0, s0, s21
	s_mul_i32 s5, s1, s22
	s_addc_u32 s21, s23, 0
	s_add_u32 s0, s0, s5
	s_addc_u32 s5, 0, s21
	v_add_co_u32 v9, s0, v9, s0
	s_delay_alu instid0(VALU_DEP_1) | instskip(SKIP_2) | instid1(SALU_CYCLE_1)
	s_cmp_lg_u32 s0, 0
	s_addc_u32 s5, s1, s5
	s_ashr_i32 s0, s13, 31
	s_add_u32 s22, s4, s0
	s_addc_u32 s23, s13, s0
	v_readfirstlane_b32 s13, v9
	s_mov_b32 s1, s0
	s_delay_alu instid0(SALU_CYCLE_1) | instskip(NEXT) | instid1(SALU_CYCLE_1)
	s_xor_b64 s[22:23], s[22:23], s[0:1]
	s_mul_i32 s21, s22, s5
	s_delay_alu instid0(VALU_DEP_1)
	s_mul_hi_u32 s24, s22, s13
	s_mul_hi_u32 s25, s22, s5
	s_add_u32 s21, s24, s21
	s_mul_i32 s26, s23, s13
	s_addc_u32 s24, 0, s25
	s_mul_hi_u32 s13, s23, s13
	s_mul_hi_u32 s25, s23, s5
	s_add_u32 s21, s21, s26
	s_addc_u32 s13, s24, s13
	s_mul_i32 s5, s23, s5
	s_addc_u32 s21, s25, 0
	s_add_u32 s5, s13, s5
	s_addc_u32 s13, 0, s21
	s_mul_i32 s24, s20, s5
	s_add_u32 s21, s5, 1
	v_sub_co_u32 v9, s22, s22, s24
	s_addc_u32 s24, s13, 0
	s_mul_i32 s26, s20, s13
	s_mul_hi_u32 s28, s20, s5
	s_delay_alu instid0(VALU_DEP_1)
	v_sub_co_u32 v10, s27, v9, s20
	s_add_u32 s25, s5, 2
	s_addc_u32 s29, s13, 0
	s_add_i32 s28, s28, s26
	s_cmp_lg_u32 s22, 0
	v_readfirstlane_b32 s22, v10
	s_subb_u32 s23, s23, s28
	s_cmp_lg_u32 s27, 0
	s_subb_u32 s26, s23, 0
	s_delay_alu instid0(VALU_DEP_1) | instskip(SKIP_4) | instid1(SALU_CYCLE_1)
	s_cmp_ge_u32 s22, s20
	s_cselect_b32 s22, -1, 0
	s_cmp_eq_u32 s26, 0
	v_readfirstlane_b32 s26, v9
	s_cselect_b32 s22, s22, -1
	s_cmp_lg_u32 s22, 0
	s_cselect_b32 s21, s25, s21
	s_cselect_b32 s22, s29, s24
	s_cmp_ge_u32 s26, s20
	s_cselect_b32 s24, -1, 0
	s_cmp_eq_u32 s23, 0
	s_cselect_b32 s23, s24, -1
	s_delay_alu instid0(SALU_CYCLE_1) | instskip(SKIP_4) | instid1(SALU_CYCLE_1)
	s_cmp_lg_u32 s23, 0
	s_cselect_b32 s23, s22, s13
	s_cselect_b32 s22, s21, s5
	s_mov_b32 s5, 0
	s_xor_b64 s[22:23], s[22:23], s[0:1]
	s_sub_u32 s0, s22, s0
.LBB12_11:                              ;   in Loop: Header=BB12_9 Depth=1
	s_and_not1_b32 vcc_lo, exec_lo, s5
	s_cbranch_vccnz .LBB12_13
; %bb.12:                               ;   in Loop: Header=BB12_9 Depth=1
	v_readfirstlane_b32 s0, v6
	s_delay_alu instid0(VALU_DEP_1) | instskip(NEXT) | instid1(SALU_CYCLE_1)
	s_mul_i32 s1, s18, s0
	s_mul_hi_u32 s1, s0, s1
	s_delay_alu instid0(SALU_CYCLE_1) | instskip(NEXT) | instid1(SALU_CYCLE_1)
	s_add_i32 s0, s0, s1
	s_mul_hi_u32 s0, s4, s0
	s_delay_alu instid0(SALU_CYCLE_1) | instskip(NEXT) | instid1(SALU_CYCLE_1)
	s_mul_i32 s1, s0, s20
	s_sub_i32 s1, s4, s1
	s_add_i32 s4, s0, 1
	s_sub_i32 s5, s1, s20
	s_cmp_ge_u32 s1, s20
	s_cselect_b32 s0, s4, s0
	s_cselect_b32 s1, s5, s1
	s_add_i32 s4, s0, 1
	s_cmp_ge_u32 s1, s20
	s_cselect_b32 s0, s4, s0
.LBB12_13:                              ;   in Loop: Header=BB12_9 Depth=1
	s_delay_alu instid0(SALU_CYCLE_1)
	s_cmp_lg_u32 s16, s0
	s_cbranch_scc0 .LBB12_17
; %bb.14:                               ;   in Loop: Header=BB12_9 Depth=1
	s_add_i32 s22, s19, s14
	s_mov_b32 s5, s12
	s_add_i32 s1, s22, s20
	s_mov_b32 s21, s16
	s_lshl_b32 s1, s1, 3
	s_delay_alu instid0(SALU_CYCLE_1) | instskip(SKIP_2) | instid1(SALU_CYCLE_1)
	s_add_i32 s4, s1, s15
	s_mul_hi_u32 s1, s0, s8
	s_lshl_b64 s[4:5], s[4:5], 3
	s_add_u32 s4, s2, s4
	s_addc_u32 s5, s3, s5
	s_add_i32 s1, s1, s0
	s_delay_alu instid0(SALU_CYCLE_1) | instskip(NEXT) | instid1(SALU_CYCLE_1)
	s_lshr_b32 s1, s1, s9
	s_mul_i32 s13, s1, s10
	s_delay_alu instid0(SALU_CYCLE_1) | instskip(SKIP_3) | instid1(SALU_CYCLE_1)
	s_cmp_eq_u32 s13, s0
	s_cselect_b32 s13, -1, 0
	s_cmp_lt_u32 s1, s11
	s_cselect_b32 s1, -1, 0
	s_or_b32 s1, s1, s13
	s_mov_b32 s13, -1
	s_and_b32 vcc_lo, exec_lo, s1
	s_mov_b32 s1, s19
	s_cbranch_vccnz .LBB12_16
; %bb.15:                               ;   in Loop: Header=BB12_9 Depth=1
	s_add_i32 s1, s19, -1
	s_mov_b32 s13, 0
	s_mov_b32 s21, s0
.LBB12_16:                              ;   in Loop: Header=BB12_9 Depth=1
	v_lshl_add_u32 v9, s22, 11, v0
	s_load_b64 s[4:5], s[4:5], 0x0
	s_delay_alu instid0(VALU_DEP_1) | instskip(NEXT) | instid1(VALU_DEP_1)
	v_ashrrev_i32_e32 v10, 31, v9
	v_lshlrev_b64 v[9:10], 2, v[9:10]
	s_delay_alu instid0(VALU_DEP_1) | instskip(NEXT) | instid1(VALU_DEP_2)
	v_add_co_u32 v9, vcc_lo, s6, v9
	v_add_co_ci_u32_e32 v10, vcc_lo, s17, v10, vcc_lo
	s_waitcnt lgkmcnt(0)
	v_max_f32_e64 v11, s4, s4
	global_load_b32 v10, v[9:10], off
	v_max_f32_e32 v9, v8, v8
	s_delay_alu instid0(VALU_DEP_1) | instskip(NEXT) | instid1(VALU_DEP_1)
	v_max_f32_e32 v9, v9, v11
	v_sub_f32_e32 v12, v8, v9
	s_delay_alu instid0(VALU_DEP_1) | instskip(NEXT) | instid1(VALU_DEP_1)
	v_dual_mul_f32 v14, 0x3fb8aa3b, v12 :: v_dual_sub_f32 v11, s4, v9
	v_rndne_f32_e32 v18, v14
	s_delay_alu instid0(VALU_DEP_2) | instskip(SKIP_2) | instid1(VALU_DEP_4)
	v_mul_f32_e32 v13, 0x3fb8aa3b, v11
	v_fma_f32 v17, 0x3fb8aa3b, v12, -v14
	v_cmp_ngt_f32_e32 vcc_lo, 0xc2ce8ed0, v11
	v_sub_f32_e32 v14, v14, v18
	s_delay_alu instid0(VALU_DEP_4) | instskip(SKIP_2) | instid1(VALU_DEP_3)
	v_fma_f32 v15, 0x3fb8aa3b, v11, -v13
	v_rndne_f32_e32 v16, v13
	v_fmac_f32_e32 v17, 0x32a5705f, v12
	v_fmac_f32_e32 v15, 0x32a5705f, v11
	s_delay_alu instid0(VALU_DEP_2) | instskip(NEXT) | instid1(VALU_DEP_1)
	v_dual_sub_f32 v13, v13, v16 :: v_dual_add_f32 v14, v14, v17
	v_add_f32_e32 v13, v13, v15
	s_delay_alu instid0(VALU_DEP_2) | instskip(SKIP_2) | instid1(VALU_DEP_3)
	v_exp_f32_e32 v14, v14
	v_cvt_i32_f32_e32 v15, v16
	v_cvt_i32_f32_e32 v16, v18
	v_exp_f32_e32 v13, v13
	s_waitcnt_depctr 0xfff
	v_ldexp_f32 v14, v14, v16
	v_ldexp_f32 v13, v13, v15
	s_delay_alu instid0(VALU_DEP_1) | instskip(SKIP_1) | instid1(VALU_DEP_4)
	v_cndmask_b32_e32 v13, 0, v13, vcc_lo
	v_cmp_ngt_f32_e32 vcc_lo, 0xc2ce8ed0, v12
	v_cndmask_b32_e32 v14, 0, v14, vcc_lo
	v_cmp_nlt_f32_e32 vcc_lo, 0x42b17218, v11
	s_delay_alu instid0(VALU_DEP_4) | instskip(SKIP_1) | instid1(VALU_DEP_4)
	v_cndmask_b32_e32 v13, 0x7f800000, v13, vcc_lo
	v_cmp_nlt_f32_e32 vcc_lo, 0x42b17218, v12
	v_cndmask_b32_e32 v14, 0x7f800000, v14, vcc_lo
	v_cmp_le_f32_e32 vcc_lo, 0xc1a00000, v11
	s_delay_alu instid0(VALU_DEP_4) | instskip(SKIP_1) | instid1(VALU_DEP_4)
	v_cndmask_b32_e32 v11, 0, v13, vcc_lo
	v_cmp_le_f32_e32 vcc_lo, 0xc1a00000, v12
	v_cndmask_b32_e32 v12, 0, v14, vcc_lo
	s_waitcnt vmcnt(0)
	s_delay_alu instid0(VALU_DEP_3) | instskip(NEXT) | instid1(VALU_DEP_1)
	v_mul_f32_e32 v10, v10, v11
	v_dual_mul_f32 v11, s5, v11 :: v_dual_fmac_f32 v10, v3, v12
	s_delay_alu instid0(VALU_DEP_1)
	v_fmac_f32_e32 v11, v7, v12
	s_cbranch_execz .LBB12_18
	s_branch .LBB12_19
.LBB12_17:                              ;   in Loop: Header=BB12_9 Depth=1
                                        ; implicit-def: $sgpr13
                                        ; implicit-def: $vgpr10
                                        ; implicit-def: $vgpr9
                                        ; implicit-def: $vgpr11
                                        ; implicit-def: $sgpr1
                                        ; implicit-def: $sgpr21
.LBB12_18:                              ;   in Loop: Header=BB12_9 Depth=1
	v_mov_b32_e32 v11, v7
	s_waitcnt vmcnt(0)
	v_dual_mov_b32 v9, v8 :: v_dual_mov_b32 v10, v3
	s_add_i32 s1, s19, -1
	s_mov_b32 s13, 0
	s_mov_b32 s21, s16
.LBB12_19:                              ;   in Loop: Header=BB12_9 Depth=1
	s_and_not1_b32 vcc_lo, exec_lo, s13
	s_cbranch_vccz .LBB12_23
; %bb.20:                               ;   in Loop: Header=BB12_9 Depth=1
	v_dual_mov_b32 v7, v11 :: v_dual_mov_b32 v8, v9
	s_waitcnt vmcnt(0)
	v_mov_b32_e32 v3, v10
	s_mov_b32 s16, s21
	s_mov_b32 s19, s1
	s_branch .LBB12_9
.LBB12_21:
                                        ; implicit-def: $sgpr16_sgpr17
	s_load_b128 s[8:11], s[0:1], 0x44
	s_branch .LBB12_2
.LBB12_22:
                                        ; implicit-def: $sgpr18_sgpr19
	s_branch .LBB12_5
.LBB12_23:
	v_div_scale_f32 v0, null, v11, v11, v10
	s_waitcnt vmcnt(0)
	s_delay_alu instid0(VALU_DEP_1) | instskip(SKIP_2) | instid1(VALU_DEP_1)
	v_rcp_f32_e32 v3, v0
	s_waitcnt_depctr 0xfff
	v_fma_f32 v4, -v0, v3, 1.0
	v_fmac_f32_e32 v3, v4, v3
	v_div_scale_f32 v4, vcc_lo, v10, v11, v10
	s_delay_alu instid0(VALU_DEP_1) | instskip(NEXT) | instid1(VALU_DEP_1)
	v_mul_f32_e32 v5, v4, v3
	v_fma_f32 v6, -v0, v5, v4
	s_delay_alu instid0(VALU_DEP_1) | instskip(NEXT) | instid1(VALU_DEP_1)
	v_fmac_f32_e32 v5, v6, v3
	v_fma_f32 v0, -v0, v5, v4
	s_delay_alu instid0(VALU_DEP_1) | instskip(NEXT) | instid1(VALU_DEP_1)
	v_div_fmas_f32 v0, v0, v3, v5
	v_div_fixup_f32 v0, v0, v11, v10
	global_store_b32 v[1:2], v0, off
.LBB12_24:
	s_nop 0
	s_sendmsg sendmsg(MSG_DEALLOC_VGPRS)
	s_endpgm
	.section	.rodata,"a",@progbits
	.p2align	6, 0x0
	.amdhsa_kernel _ZL33flash_attn_stream_k_fixup_generalILi256ELi1ELi8EEvPfPK15HIP_vector_typeIfLj2EEiiiiS1_IjLj3EES5_S5_S5_
		.amdhsa_group_segment_fixed_size 0
		.amdhsa_private_segment_fixed_size 0
		.amdhsa_kernarg_size 336
		.amdhsa_user_sgpr_count 13
		.amdhsa_user_sgpr_dispatch_ptr 0
		.amdhsa_user_sgpr_queue_ptr 0
		.amdhsa_user_sgpr_kernarg_segment_ptr 1
		.amdhsa_user_sgpr_dispatch_id 0
		.amdhsa_user_sgpr_private_segment_size 0
		.amdhsa_wavefront_size32 1
		.amdhsa_uses_dynamic_stack 0
		.amdhsa_enable_private_segment 0
		.amdhsa_system_sgpr_workgroup_id_x 1
		.amdhsa_system_sgpr_workgroup_id_y 1
		.amdhsa_system_sgpr_workgroup_id_z 1
		.amdhsa_system_sgpr_workgroup_info 0
		.amdhsa_system_vgpr_workitem_id 0
		.amdhsa_next_free_vgpr 19
		.amdhsa_next_free_sgpr 32
		.amdhsa_reserve_vcc 1
		.amdhsa_float_round_mode_32 0
		.amdhsa_float_round_mode_16_64 0
		.amdhsa_float_denorm_mode_32 3
		.amdhsa_float_denorm_mode_16_64 3
		.amdhsa_dx10_clamp 1
		.amdhsa_ieee_mode 1
		.amdhsa_fp16_overflow 0
		.amdhsa_workgroup_processor_mode 1
		.amdhsa_memory_ordered 1
		.amdhsa_forward_progress 0
		.amdhsa_shared_vgpr_count 0
		.amdhsa_exception_fp_ieee_invalid_op 0
		.amdhsa_exception_fp_denorm_src 0
		.amdhsa_exception_fp_ieee_div_zero 0
		.amdhsa_exception_fp_ieee_overflow 0
		.amdhsa_exception_fp_ieee_underflow 0
		.amdhsa_exception_fp_ieee_inexact 0
		.amdhsa_exception_int_div_zero 0
	.end_amdhsa_kernel
	.section	.text._ZL33flash_attn_stream_k_fixup_generalILi256ELi1ELi8EEvPfPK15HIP_vector_typeIfLj2EEiiiiS1_IjLj3EES5_S5_S5_,"axG",@progbits,_ZL33flash_attn_stream_k_fixup_generalILi256ELi1ELi8EEvPfPK15HIP_vector_typeIfLj2EEiiiiS1_IjLj3EES5_S5_S5_,comdat
.Lfunc_end12:
	.size	_ZL33flash_attn_stream_k_fixup_generalILi256ELi1ELi8EEvPfPK15HIP_vector_typeIfLj2EEiiiiS1_IjLj3EES5_S5_S5_, .Lfunc_end12-_ZL33flash_attn_stream_k_fixup_generalILi256ELi1ELi8EEvPfPK15HIP_vector_typeIfLj2EEiiiiS1_IjLj3EES5_S5_S5_
                                        ; -- End function
	.section	.AMDGPU.csdata,"",@progbits
; Kernel info:
; codeLenInByte = 3200
; NumSgprs: 34
; NumVgprs: 19
; ScratchSize: 0
; MemoryBound: 0
; FloatMode: 240
; IeeeMode: 1
; LDSByteSize: 0 bytes/workgroup (compile time only)
; SGPRBlocks: 4
; VGPRBlocks: 2
; NumSGPRsForWavesPerEU: 34
; NumVGPRsForWavesPerEU: 19
; Occupancy: 16
; WaveLimiterHint : 0
; COMPUTE_PGM_RSRC2:SCRATCH_EN: 0
; COMPUTE_PGM_RSRC2:USER_SGPR: 13
; COMPUTE_PGM_RSRC2:TRAP_HANDLER: 0
; COMPUTE_PGM_RSRC2:TGID_X_EN: 1
; COMPUTE_PGM_RSRC2:TGID_Y_EN: 1
; COMPUTE_PGM_RSRC2:TGID_Z_EN: 1
; COMPUTE_PGM_RSRC2:TIDIG_COMP_CNT: 0
	.section	.text._ZL15flash_attn_tileILi256ELi256ELi8ELi4ELb0EEvPKcS1_S1_S1_S1_PKiPfP15HIP_vector_typeIfLj2EEffffjfiS5_IjLj3EEiiiiiiiiiiiliiliiiiil,"axG",@progbits,_ZL15flash_attn_tileILi256ELi256ELi8ELi4ELb0EEvPKcS1_S1_S1_S1_PKiPfP15HIP_vector_typeIfLj2EEffffjfiS5_IjLj3EEiiiiiiiiiiiliiliiiiil,comdat
	.globl	_ZL15flash_attn_tileILi256ELi256ELi8ELi4ELb0EEvPKcS1_S1_S1_S1_PKiPfP15HIP_vector_typeIfLj2EEffffjfiS5_IjLj3EEiiiiiiiiiiiliiliiiiil ; -- Begin function _ZL15flash_attn_tileILi256ELi256ELi8ELi4ELb0EEvPKcS1_S1_S1_S1_PKiPfP15HIP_vector_typeIfLj2EEffffjfiS5_IjLj3EEiiiiiiiiiiiliiliiiiil
	.p2align	8
	.type	_ZL15flash_attn_tileILi256ELi256ELi8ELi4ELb0EEvPKcS1_S1_S1_S1_PKiPfP15HIP_vector_typeIfLj2EEffffjfiS5_IjLj3EEiiiiiiiiiiiliiliiiiil,@function
_ZL15flash_attn_tileILi256ELi256ELi8ELi4ELb0EEvPKcS1_S1_S1_S1_PKiPfP15HIP_vector_typeIfLj2EEffffjfiS5_IjLj3EEiiiiiiiiiiiliiliiiiil: ; @_ZL15flash_attn_tileILi256ELi256ELi8ELi4ELb0EEvPKcS1_S1_S1_S1_PKiPfP15HIP_vector_typeIfLj2EEffffjfiS5_IjLj3EEiiiiiiiiiiiliiliiiiil
; %bb.0:
	s_clause 0x1
	s_load_b128 s[24:27], s[0:1], 0x5c
	s_load_b64 s[30:31], s[0:1], 0x80
	s_mov_b64 s[34:35], 0
	s_waitcnt lgkmcnt(0)
	s_ashr_i32 s2, s27, 31
	s_delay_alu instid0(SALU_CYCLE_1) | instskip(NEXT) | instid1(SALU_CYCLE_1)
	s_lshr_b32 s2, s2, 30
	s_add_i32 s2, s27, s2
	s_delay_alu instid0(SALU_CYCLE_1) | instskip(NEXT) | instid1(SALU_CYCLE_1)
	s_ashr_i32 s2, s2, 2
	v_cvt_f32_u32_e32 v1, s2
	s_sub_i32 s4, 0, s2
	s_delay_alu instid0(VALU_DEP_1) | instskip(SKIP_2) | instid1(VALU_DEP_1)
	v_rcp_iflag_f32_e32 v1, v1
	s_waitcnt_depctr 0xfff
	v_mul_f32_e32 v1, 0x4f7ffffe, v1
	v_cvt_u32_f32_e32 v1, v1
	s_delay_alu instid0(VALU_DEP_1) | instskip(NEXT) | instid1(VALU_DEP_1)
	v_readfirstlane_b32 s3, v1
	s_mul_i32 s4, s4, s3
	s_delay_alu instid0(SALU_CYCLE_1) | instskip(NEXT) | instid1(SALU_CYCLE_1)
	s_mul_hi_u32 s4, s3, s4
	s_add_i32 s3, s3, s4
	s_delay_alu instid0(SALU_CYCLE_1) | instskip(NEXT) | instid1(SALU_CYCLE_1)
	s_mul_hi_u32 s3, s15, s3
	s_mul_i32 s4, s3, s2
	s_add_i32 s5, s3, 1
	s_sub_i32 s4, s15, s4
	s_delay_alu instid0(SALU_CYCLE_1)
	s_sub_i32 s6, s4, s2
	s_cmp_ge_u32 s4, s2
	s_cselect_b32 s3, s5, s3
	s_cselect_b32 s4, s6, s4
	s_add_i32 s5, s3, 1
	s_cmp_ge_u32 s4, s2
	s_cselect_b32 s33, s5, s3
	s_abs_i32 s2, s31
	s_abs_i32 s7, s27
	v_cvt_f32_u32_e32 v1, s2
	s_sub_i32 s4, 0, s2
	s_lshl_b32 s5, s15, 2
	s_mul_i32 s6, s33, s27
	s_delay_alu instid0(VALU_DEP_1) | instskip(SKIP_3) | instid1(VALU_DEP_1)
	v_rcp_iflag_f32_e32 v1, v1
	s_sub_i32 s28, s5, s6
	s_waitcnt_depctr 0xfff
	v_mul_f32_e32 v1, 0x4f7ffffe, v1
	v_cvt_u32_f32_e32 v1, v1
	s_delay_alu instid0(VALU_DEP_1) | instskip(NEXT) | instid1(VALU_DEP_1)
	v_readfirstlane_b32 s3, v1
	s_mul_i32 s4, s4, s3
	s_delay_alu instid0(SALU_CYCLE_1) | instskip(NEXT) | instid1(SALU_CYCLE_1)
	s_mul_hi_u32 s4, s3, s4
	s_add_i32 s3, s3, s4
	s_xor_b32 s4, s27, s31
	s_mul_hi_u32 s3, s7, s3
	s_ashr_i32 s4, s4, 31
	s_mul_i32 s5, s3, s2
	s_add_i32 s6, s3, 1
	s_sub_i32 s5, s7, s5
	s_delay_alu instid0(SALU_CYCLE_1)
	s_sub_i32 s7, s5, s2
	s_cmp_ge_u32 s5, s2
	s_cselect_b32 s3, s6, s3
	s_cselect_b32 s5, s7, s5
	s_add_i32 s6, s3, 1
	s_cmp_ge_u32 s5, s2
	s_cselect_b32 s2, s6, s3
	s_delay_alu instid0(SALU_CYCLE_1) | instskip(NEXT) | instid1(SALU_CYCLE_1)
	s_xor_b32 s2, s2, s4
	s_sub_i32 s9, s2, s4
	s_clause 0x1
	s_load_b512 s[36:51], s[0:1], 0x0
	s_load_b64 s[2:3], s[0:1], 0xb8
	s_abs_i32 s8, s9
	s_delay_alu instid0(SALU_CYCLE_1) | instskip(NEXT) | instid1(VALU_DEP_1)
	v_cvt_f32_u32_e32 v1, s8
	v_rcp_iflag_f32_e32 v1, v1
	s_waitcnt_depctr 0xfff
	v_mul_f32_e32 v1, 0x4f7ffffe, v1
	s_waitcnt lgkmcnt(0)
	s_cmp_eq_u64 s[42:43], 0
	s_delay_alu instid0(VALU_DEP_1) | instskip(NEXT) | instid1(VALU_DEP_1)
	v_cvt_u32_f32_e32 v1, v1
	v_readfirstlane_b32 s10, v1
	s_cbranch_scc1 .LBB13_2
; %bb.1:
	s_abs_i32 s2, s2
	s_abs_i32 s6, s33
	v_cvt_f32_u32_e32 v1, s2
	s_sub_i32 s5, 0, s2
	s_delay_alu instid0(VALU_DEP_1) | instskip(SKIP_2) | instid1(VALU_DEP_1)
	v_rcp_iflag_f32_e32 v1, v1
	s_waitcnt_depctr 0xfff
	v_mul_f32_e32 v1, 0x4f7ffffe, v1
	v_cvt_u32_f32_e32 v1, v1
	s_delay_alu instid0(VALU_DEP_1) | instskip(NEXT) | instid1(VALU_DEP_1)
	v_readfirstlane_b32 s4, v1
	s_mul_i32 s5, s5, s4
	s_delay_alu instid0(SALU_CYCLE_1) | instskip(NEXT) | instid1(SALU_CYCLE_1)
	s_mul_hi_u32 s5, s4, s5
	s_add_i32 s7, s4, s5
	s_load_b64 s[4:5], s[0:1], 0xc8
	s_mul_hi_u32 s7, s6, s7
	s_delay_alu instid0(SALU_CYCLE_1) | instskip(NEXT) | instid1(SALU_CYCLE_1)
	s_mul_i32 s7, s7, s2
	s_sub_i32 s6, s6, s7
	s_ashr_i32 s7, s33, 31
	s_sub_i32 s11, s6, s2
	s_cmp_ge_u32 s6, s2
	s_cselect_b32 s6, s11, s6
	s_delay_alu instid0(SALU_CYCLE_1) | instskip(SKIP_2) | instid1(SALU_CYCLE_1)
	s_sub_i32 s11, s6, s2
	s_cmp_ge_u32 s6, s2
	s_cselect_b32 s2, s11, s6
	s_xor_b32 s2, s2, s7
	s_delay_alu instid0(SALU_CYCLE_1)
	s_sub_i32 s2, s2, s7
	s_waitcnt lgkmcnt(0)
	s_mul_i32 s5, s2, s5
	s_mul_hi_u32 s6, s2, s4
	s_ashr_i32 s7, s2, 31
	s_add_i32 s5, s6, s5
	s_mul_i32 s7, s7, s4
	s_mul_i32 s2, s2, s4
	s_add_i32 s5, s5, s7
	s_add_u32 s34, s42, s2
	s_addc_u32 s35, s43, s5
.LBB13_2:
	v_bfe_u32 v4, v0, 10, 10
	s_load_b128 s[4:7], s[0:1], 0x70
	v_and_b32_e32 v161, 0x3ff, v0
	s_delay_alu instid0(VALU_DEP_2) | instskip(SKIP_1) | instid1(VALU_DEP_2)
	v_lshl_add_u32 v160, s13, 3, v4
	v_lshlrev_b32_e32 v34, 11, v4
	v_mul_hi_u32 v1, s24, v160
	s_delay_alu instid0(VALU_DEP_1) | instskip(SKIP_3) | instid1(VALU_DEP_1)
	v_add_nc_u32_e32 v1, v160, v1
	s_waitcnt lgkmcnt(0)
	s_mul_i32 s2, s33, s6
	s_mul_i32 s6, s28, s5
	v_lshrrev_b32_e32 v1, s25, v1
	s_ashr_i32 s7, s2, 31
	s_add_u32 s2, s36, s2
	s_addc_u32 s7, s37, s7
	s_ashr_i32 s11, s6, 31
	v_mul_lo_u32 v1, v1, s26
	s_add_u32 s2, s2, s6
	s_addc_u32 s11, s7, s11
	s_ashr_i32 s6, s4, 31
	s_ashr_i32 s7, s5, 31
	v_alignbit_b32 v3, s6, s4, 2
	s_lshr_b32 s4, s6, 2
	s_mov_b32 s6, s5
	v_sub_nc_u32_e32 v5, v160, v1
	s_delay_alu instid0(VALU_DEP_1) | instskip(NEXT) | instid1(VALU_DEP_1)
	v_mad_u64_u32 v[1:2], null, v3, v5, 0
	v_mad_u64_u32 v[6:7], null, s4, v5, v[2:3]
	v_alignbit_b32 v3, s7, s5, 2
	s_delay_alu instid0(VALU_DEP_2) | instskip(NEXT) | instid1(VALU_DEP_1)
	v_mov_b32_e32 v2, v6
	v_lshlrev_b64 v[0:1], 2, v[1:2]
	v_lshlrev_b32_e32 v2, 4, v161
	s_delay_alu instid0(VALU_DEP_2) | instskip(NEXT) | instid1(VALU_DEP_3)
	v_add_co_u32 v0, vcc_lo, s2, v0
	v_add_co_ci_u32_e32 v1, vcc_lo, s11, v1, vcc_lo
	s_and_b32 s2, s5, -4
	s_delay_alu instid0(VALU_DEP_2) | instskip(NEXT) | instid1(VALU_DEP_2)
	v_add_co_u32 v10, vcc_lo, v0, v2
	v_add_co_ci_u32_e32 v11, vcc_lo, 0, v1, vcc_lo
	s_lshr_b64 s[4:5], s[6:7], 2
	s_lshr_b32 s6, s7, 2
	s_delay_alu instid0(VALU_DEP_2) | instskip(NEXT) | instid1(VALU_DEP_2)
	v_add_co_u32 v14, vcc_lo, v10, s2
	v_mad_u64_u32 v[30:31], null, v3, 12, v[10:11]
	s_lshl_b64 s[4:5], s[4:5], 3
	s_clause 0x1
	global_load_b128 v[0:3], v[10:11], off
	global_load_b128 v[6:9], v[10:11], off offset:512
	v_add_co_ci_u32_e32 v15, vcc_lo, s7, v11, vcc_lo
	v_add_co_u32 v22, vcc_lo, v10, s4
	v_mov_b32_e32 v18, v31
	v_add_co_ci_u32_e32 v23, vcc_lo, s5, v11, vcc_lo
	s_clause 0x1
	global_load_b128 v[10:13], v[14:15], off
	global_load_b128 v[14:17], v[14:15], off offset:512
	s_load_b32 s2, s[0:1], 0x40
	v_mad_u64_u32 v[26:27], null, s6, 12, v[18:19]
	s_clause 0x1
	global_load_b128 v[18:21], v[22:23], off
	global_load_b128 v[22:25], v[22:23], off offset:512
	v_lshl_or_b32 v38, v161, 3, v34
	s_mov_b32 s5, 0
	s_cmp_eq_u64 s[46:47], 0
	v_mov_b32_e32 v31, v26
	s_delay_alu instid0(VALU_DEP_2)
	v_add_nc_u32_e32 v39, 0x4000, v38
	v_add_nc_u32_e32 v38, 0x4800, v38
	s_clause 0x1
	global_load_b128 v[26:29], v[30:31], off
	global_load_b128 v[30:33], v[30:31], off offset:512
	s_waitcnt vmcnt(7) lgkmcnt(0)
	v_fma_mixlo_f16 v34, v0, s2, 0
	v_fma_mixlo_f16 v35, v2, s2, 0
	s_waitcnt vmcnt(6)
	v_fma_mixlo_f16 v37, v8, s2, 0
	v_fma_mixlo_f16 v36, v6, s2, 0
	v_fma_mixhi_f16 v34, v1, s2, 0
	v_fma_mixhi_f16 v35, v3, s2, 0
	s_delay_alu instid0(VALU_DEP_4)
	v_fma_mixhi_f16 v37, v9, s2, 0
	s_waitcnt vmcnt(5)
	v_fma_mixlo_f16 v0, v10, s2, 0
	v_fma_mixlo_f16 v1, v12, s2, 0
	s_waitcnt vmcnt(4)
	v_fma_mixlo_f16 v2, v14, s2, 0
	v_fma_mixlo_f16 v3, v16, s2, 0
	v_fma_mixhi_f16 v36, v7, s2, 0
	s_waitcnt vmcnt(3)
	v_fma_mixlo_f16 v6, v18, s2, 0
	v_fma_mixlo_f16 v7, v20, s2, 0
	s_waitcnt vmcnt(2)
	v_fma_mixlo_f16 v8, v22, s2, 0
	v_fma_mixlo_f16 v9, v24, s2, 0
	v_fma_mixhi_f16 v1, v13, s2, 0
	v_fma_mixhi_f16 v0, v11, s2, 0
	;; [unrolled: 1-line block ×6, first 2 shown]
	s_waitcnt vmcnt(1)
	v_fma_mixlo_f16 v11, v28, s2, 0
	v_fma_mixlo_f16 v10, v26, s2, 0
	s_waitcnt vmcnt(0)
	v_fma_mixlo_f16 v13, v32, s2, 0
	v_fma_mixlo_f16 v12, v30, s2, 0
	v_fma_mixhi_f16 v9, v25, s2, 0
	v_fma_mixhi_f16 v8, v23, s2, 0
	;; [unrolled: 1-line block ×6, first 2 shown]
	ds_store_2addr_b64 v39, v[34:35], v[36:37] offset0:128 offset1:160
	ds_store_2addr_b64 v39, v[0:1], v[2:3] offset0:192 offset1:224
	ds_store_2addr_b64 v38, v[6:7], v[8:9] offset1:32
	ds_store_2addr_b64 v38, v[10:11], v[12:13] offset0:64 offset1:96
	s_waitcnt lgkmcnt(0)
	s_barrier
	buffer_gl0_inv
	s_cbranch_scc1 .LBB13_4
; %bb.3:
	s_load_b32 s2, s[0:1], 0xd0
	s_waitcnt lgkmcnt(0)
	s_mul_i32 s2, s2, s33
	s_delay_alu instid0(SALU_CYCLE_1) | instskip(NEXT) | instid1(SALU_CYCLE_1)
	s_add_i32 s4, s2, s13
	s_lshl_b64 s[4:5], s[4:5], 2
	s_delay_alu instid0(SALU_CYCLE_1)
	s_add_u32 s4, s46, s4
	s_addc_u32 s5, s47, s5
	s_load_b32 s30, s[4:5], 0x0
.LBB13_4:
	v_lshlrev_b32_e32 v179, 2, v161
	v_mbcnt_lo_u32_b32 v180, -1, 0
	s_lshl_b32 s29, s14, 6
	s_waitcnt lgkmcnt(0)
	s_cmp_lt_i32 s29, s30
	s_cbranch_scc1 .LBB13_6
; %bb.5:
	v_mbcnt_lo_u32_b32 v7, -1, 0
	v_mov_b32_e32 v6, 32
	s_mov_b32 s2, 0
	s_mov_b32 s4, 0xfeffffff
	s_delay_alu instid0(VALU_DEP_2)
	v_xor_b32_e32 v185, 16, v7
	v_xor_b32_e32 v184, 8, v7
	;; [unrolled: 1-line block ×5, first 2 shown]
	s_branch .LBB13_7
.LBB13_6:
	s_mov_b32 s2, -1
                                        ; implicit-def: $sgpr4
                                        ; implicit-def: $vgpr7
                                        ; implicit-def: $vgpr6
                                        ; implicit-def: $vgpr185
                                        ; implicit-def: $vgpr184
                                        ; implicit-def: $vgpr183
                                        ; implicit-def: $vgpr182
                                        ; implicit-def: $vgpr181
.LBB13_7:
	s_delay_alu instid0(SALU_CYCLE_1) | instskip(SKIP_2) | instid1(VALU_DEP_3)
	v_cndmask_b32_e64 v0, 0, 1, s2
	v_dual_mov_b32 v3, s4 :: v_dual_mov_b32 v208, s2
	v_dual_mov_b32 v38, s2 :: v_dual_mov_b32 v1, s4
	v_cmp_ne_u32_e32 vcc_lo, 1, v0
	v_dual_mov_b32 v2, s4 :: v_dual_mov_b32 v211, s2
	v_dual_mov_b32 v0, s4 :: v_dual_mov_b32 v209, s2
	;; [unrolled: 1-line block ×10, first 2 shown]
	s_cbranch_vccnz .LBB13_11
; %bb.8:
	s_clause 0x1
	s_load_b128 s[4:7], s[0:1], 0x98
	s_load_b64 s[12:13], s[0:1], 0x8c
	s_sub_i32 s2, 0, s8
	s_abs_i32 s11, s28
	s_mul_i32 s2, s2, s10
	s_ashr_i32 s15, s28, 31
	s_mul_hi_u32 s2, s10, s2
	s_ashr_i32 s9, s9, 31
	s_add_i32 s10, s10, s2
	s_ashr_i32 s2, s3, 1
	s_mul_hi_u32 s3, s11, s10
	s_ashr_i32 s10, s33, 31
	s_load_b64 s[16:17], s[0:1], 0xa8
	s_mul_i32 s18, s3, s8
	v_lshrrev_b32_e32 v0, 4, v161
	v_dual_mov_b32 v27, 0 :: v_dual_and_b32 v18, 60, v179
	v_dual_mov_b32 v41, 0 :: v_dual_lshlrev_b32 v192, 2, v179
	s_delay_alu instid0(VALU_DEP_3)
	v_lshl_add_u32 v0, v4, 1, v0
	s_waitcnt lgkmcnt(0)
	s_ashr_i32 s31, s6, 2
	s_mul_i32 s5, s33, s5
	s_mul_hi_u32 s6, s33, s4
	s_ashr_i32 s42, s12, 2
	s_mul_i32 s12, s10, s4
	s_add_i32 s5, s6, s5
	s_mul_i32 s4, s33, s4
	s_add_i32 s5, s5, s12
	s_add_u32 s4, s38, s4
	s_addc_u32 s5, s39, s5
	s_xor_b32 s6, s15, s9
	s_sub_i32 s9, s11, s18
	s_add_i32 s11, s3, 1
	s_sub_i32 s12, s9, s8
	s_cmp_ge_u32 s9, s8
	s_mul_i32 s10, s10, s16
	s_cselect_b32 s3, s11, s3
	s_cselect_b32 s9, s12, s9
	s_add_i32 s11, s3, 1
	s_cmp_ge_u32 s9, s8
	s_mul_i32 s8, s33, s17
	s_cselect_b32 s3, s11, s3
	s_mul_hi_u32 s9, s33, s16
	s_xor_b32 s3, s3, s6
	v_mul_lo_u32 v1, s42, v0
	s_sub_i32 s3, s3, s6
	s_mul_i32 s11, s33, s16
	s_mul_i32 s6, s3, s13
	;; [unrolled: 1-line block ×3, first 2 shown]
	s_ashr_i32 s12, s6, 31
	s_add_u32 s38, s4, s6
	s_addc_u32 s39, s5, s12
	s_add_i32 s4, s9, s8
	v_mul_lo_u32 v3, s31, v4
	s_add_i32 s4, s4, s10
	s_add_u32 s5, s40, s11
	s_addc_u32 s4, s41, s4
	s_ashr_i32 s6, s3, 31
	s_add_u32 s40, s5, s3
	s_addc_u32 s41, s4, s6
	s_lshl_b32 s3, s42, 4
	s_delay_alu instid0(SALU_CYCLE_1) | instskip(SKIP_3) | instid1(VALU_DEP_4)
	v_dual_mov_b32 v31, 0 :: v_dual_add_nc_u32 v6, s3, v1
	v_dual_mov_b32 v29, 0 :: v_dual_lshlrev_b32 v2, 2, v18
	v_mov_b32_e32 v35, 0
	v_mad_u64_u32 v[162:163], null, v5, s2, v[161:162]
	v_add_nc_u32_e32 v8, s3, v6
	s_delay_alu instid0(VALU_DEP_4) | instskip(SKIP_2) | instid1(VALU_DEP_4)
	v_mad_u32_u24 v186, 0x110, v0, v2
	v_ashrrev_i32_e32 v2, 31, v1
	v_dual_mov_b32 v33, 0 :: v_dual_lshlrev_b32 v0, 9, v4
	v_dual_mov_b32 v37, 0 :: v_dual_add_nc_u32 v10, s3, v8
	s_lshl_b32 s3, s31, 3
	v_lshl_add_u32 v191, v4, 11, 0x4400
	v_add_nc_u32_e32 v12, s3, v3
	v_lshl_add_u32 v5, v4, 9, v192
	v_ashrrev_i32_e32 v4, 31, v3
	v_lshlrev_b64 v[163:164], 2, v[1:2]
	s_delay_alu instid0(VALU_DEP_4) | instskip(SKIP_1) | instid1(VALU_DEP_4)
	v_dual_mov_b32 v1, 0xfeffffff :: v_dual_add_nc_u32 v14, s3, v12
	v_ashrrev_i32_e32 v7, 31, v6
	v_lshlrev_b64 v[171:172], 2, v[3:4]
	v_mov_b32_e32 v3, 0xfeffffff
	v_ashrrev_i32_e32 v9, 31, v8
	v_add_nc_u32_e32 v16, s3, v14
	v_ashrrev_i32_e32 v11, 31, v10
	v_ashrrev_i32_e32 v13, 31, v12
	;; [unrolled: 1-line block ×3, first 2 shown]
	v_dual_mov_b32 v32, 0 :: v_dual_add_nc_u32 v193, 0x8400, v0
	v_ashrrev_i32_e32 v17, 31, v16
	v_dual_mov_b32 v209, 0 :: v_dual_lshlrev_b32 v194, 3, v161
	v_lshlrev_b64 v[165:166], 2, v[6:7]
	v_lshlrev_b64 v[167:168], 2, v[8:9]
	;; [unrolled: 1-line block ×6, first 2 shown]
	v_dual_mov_b32 v26, 0 :: v_dual_add_nc_u32 v187, 0x1100, v186
	v_dual_mov_b32 v39, 0 :: v_dual_add_nc_u32 v188, 0x2200, v186
	v_dual_mov_b32 v28, 0 :: v_dual_add_nc_u32 v189, 0x3300, v186
	v_mul_u32_u24_e32 v190, 0x110, v161
	v_dual_mov_b32 v0, 0xfeffffff :: v_dual_add_nc_u32 v195, v0, v192
	v_dual_mov_b32 v211, 0 :: v_dual_add_nc_u32 v196, 0x1000, v5
	;; [unrolled: 1-line block ×3, first 2 shown]
	v_add_nc_u32_e32 v198, 0x3000, v5
	v_dual_mov_b32 v36, 0 :: v_dual_lshlrev_b32 v199, 2, v18
	v_xor_b32_e32 v185, 16, v180
	v_xor_b32_e32 v184, 8, v180
	;; [unrolled: 1-line block ×5, first 2 shown]
	v_add_nc_u32_e32 v200, v193, v194
	v_dual_mov_b32 v34, 0 :: v_dual_add_nc_u32 v201, 0x800, v194
	v_add_nc_u32_e32 v202, 0x1000, v194
	v_dual_mov_b32 v40, 0 :: v_dual_add_nc_u32 v203, 0x1800, v194
	;; [unrolled: 2-line block ×4, first 2 shown]
	v_mov_b32_e32 v2, 0xfeffffff
	v_mov_b32_e32 v208, 0
	s_add_u32 s36, s0, 0xd0
	s_addc_u32 s37, s1, 0
.LBB13_9:                               ; =>This Inner Loop Header: Depth=1
	s_mul_hi_i32 s7, s29, s42
	s_mul_i32 s6, s29, s42
	v_cmp_gt_i32_e64 s5, 32, v181
	v_dual_mov_b32 v48, v0 :: v_dual_mov_b32 v49, 0
	v_add_nc_u32_e32 v0, s29, v162
	v_cmp_gt_i32_e32 vcc_lo, 32, v185
	v_cmp_gt_i32_e64 s2, 32, v184
	v_cmp_gt_i32_e64 s4, 32, v182
	;; [unrolled: 1-line block ×3, first 2 shown]
	s_lshl_b64 s[6:7], s[6:7], 2
	s_mul_hi_i32 s9, s29, s31
	s_mul_i32 s8, s29, s31
	s_add_u32 s10, s38, s6
	v_cndmask_b32_e64 v14, v180, v181, s5
	s_addc_u32 s5, s39, s7
	s_lshl_b64 s[6:7], s[8:9], 2
	v_dual_mov_b32 v46, v2 :: v_dual_mov_b32 v47, v1
	v_cndmask_b32_e64 v11, v180, v184, s2
	v_cndmask_b32_e32 v10, v180, v185, vcc_lo
	v_cndmask_b32_e64 v13, v180, v182, s4
	v_ashrrev_i32_e32 v1, 31, v0
	v_add_co_u32 v6, s4, s10, v163
	v_lshlrev_b32_e32 v61, 2, v11
	v_cndmask_b32_e64 v12, v180, v183, s3
	v_add_co_u32 v7, vcc_lo, s10, v165
	v_add_co_u32 v8, s2, s10, v167
	v_add_co_u32 v9, s3, s10, v169
	s_add_u32 s6, s40, s6
	v_add_co_ci_u32_e64 v2, s4, s5, v164, s4
	v_dual_mov_b32 v44, v209 :: v_dual_mov_b32 v45, v3
	v_add_co_ci_u32_e32 v3, vcc_lo, s5, v166, vcc_lo
	v_add_co_ci_u32_e64 v4, vcc_lo, s5, v168, s2
	v_add_co_ci_u32_e64 v5, vcc_lo, s5, v170, s3
	s_addc_u32 s5, s41, s7
	v_add_co_u32 v63, s4, s6, v171
	v_add_co_u32 v15, vcc_lo, s6, v173
	v_add_co_u32 v16, s2, s6, v175
	v_add_co_u32 v17, s3, s6, v177
	v_lshlrev_b32_e32 v62, 2, v10
	v_lshlrev_b64 v[10:11], 1, v[0:1]
	v_add_co_ci_u32_e64 v1, s4, s5, v172, s4
	v_lshlrev_b32_e32 v59, 2, v13
	v_add_co_ci_u32_e32 v13, vcc_lo, s5, v174, vcc_lo
	v_add_co_ci_u32_e64 v64, vcc_lo, s5, v176, s2
	v_add_co_ci_u32_e64 v65, vcc_lo, s5, v178, s3
	v_add_co_u32 v24, s4, v6, v199
	v_add_co_u32 v18, vcc_lo, v7, v199
	v_add_co_u32 v20, s2, v8, v199
	v_add_co_u32 v22, s3, v9, v199
	v_add_co_ci_u32_e64 v25, s4, 0, v2, s4
	v_add_co_ci_u32_e32 v19, vcc_lo, 0, v3, vcc_lo
	v_add_co_ci_u32_e64 v21, vcc_lo, 0, v4, s2
	v_add_co_ci_u32_e64 v23, vcc_lo, 0, v5, s3
	v_lshlrev_b32_e32 v60, 2, v12
	v_lshlrev_b32_e32 v58, 2, v14
	v_add_co_u32 v0, vcc_lo, v15, v192
	v_add_co_u32 v2, s2, v16, v192
	v_add_co_u32 v12, s3, v17, v192
	;; [unrolled: 1-line block ×3, first 2 shown]
	s_delay_alu instid0(VALU_DEP_1)
	v_add_co_ci_u32_e64 v15, s4, 0, v1, s4
	v_add_co_ci_u32_e32 v1, vcc_lo, 0, v13, vcc_lo
	v_add_co_ci_u32_e64 v3, vcc_lo, 0, v64, s2
	v_add_co_ci_u32_e64 v13, vcc_lo, 0, v65, s3
	s_clause 0x3
	global_load_b128 v[63:66], v[24:25], off
	global_load_b128 v[67:70], v[18:19], off
	;; [unrolled: 1-line block ×4, first 2 shown]
	s_or_b32 s8, s29, 32
	v_add_co_u32 v16, vcc_lo, s34, v10
	s_mul_hi_i32 s7, s8, s31
	s_mul_i32 s6, s8, s31
	v_add_co_ci_u32_e32 v17, vcc_lo, s35, v11, vcc_lo
	s_lshl_b64 s[6:7], s[6:7], 2
	v_dual_mov_b32 v50, 0 :: v_dual_mov_b32 v51, 0
	s_add_u32 s5, s40, s6
	s_addc_u32 s6, s41, s7
	v_add_co_u32 v5, s2, s5, v171
	v_add_co_u32 v4, s3, s5, v173
	;; [unrolled: 1-line block ×4, first 2 shown]
	v_add_co_ci_u32_e64 v79, vcc_lo, s6, v174, s3
	v_add_co_ci_u32_e64 v80, vcc_lo, s6, v176, s4
	;; [unrolled: 1-line block ×4, first 2 shown]
	v_add_co_u32 v6, vcc_lo, v4, v192
	v_add_co_u32 v8, s2, v7, v192
	v_add_co_u32 v4, s3, v9, v192
	;; [unrolled: 1-line block ×3, first 2 shown]
	v_add_co_ci_u32_e32 v7, vcc_lo, 0, v79, vcc_lo
	v_add_co_ci_u32_e64 v9, vcc_lo, 0, v80, s2
	v_add_co_ci_u32_e64 v5, vcc_lo, 0, v81, s3
	v_dual_mov_b32 v52, 0 :: v_dual_mov_b32 v53, 0
	v_dual_mov_b32 v54, 0 :: v_dual_mov_b32 v55, 0
	v_dual_mov_b32 v56, 0 :: v_dual_mov_b32 v57, v208
	v_dual_mov_b32 v42, v211 :: v_dual_mov_b32 v43, v210
	v_add_co_ci_u32_e64 v11, s4, 0, v11, s4
	s_waitcnt vmcnt(3)
	ds_store_b128 v186, v[63:66]
	s_waitcnt vmcnt(2)
	ds_store_b128 v187, v[67:70]
	;; [unrolled: 2-line block ×4, first 2 shown]
	s_waitcnt lgkmcnt(0)
	s_barrier
	buffer_gl0_inv
	ds_load_b128 v[63:66], v190
	ds_load_b128 v[67:70], v191
	ds_load_b128 v[71:74], v191 offset:512
	ds_load_b128 v[75:78], v191 offset:1024
	;; [unrolled: 1-line block ×4, first 2 shown]
	s_waitcnt lgkmcnt(4)
	;;#ASMSTART
	v_dot2_f32_f16 v49, v63, v67, v49
	;;#ASMEND
	;;#ASMSTART
	v_dot2_f32_f16 v49, v64, v68, v49
	;;#ASMEND
	;;#ASMSTART
	v_dot2_f32_f16 v49, v65, v69, v49
	;;#ASMEND
	;;#ASMSTART
	v_dot2_f32_f16 v49, v66, v70, v49
	;;#ASMEND
	s_waitcnt lgkmcnt(3)
	;;#ASMSTART
	v_dot2_f32_f16 v50, v63, v71, v50
	;;#ASMEND
	;;#ASMSTART
	v_dot2_f32_f16 v50, v64, v72, v50
	;;#ASMEND
	;;#ASMSTART
	v_dot2_f32_f16 v50, v65, v73, v50
	;;#ASMEND
	;;#ASMSTART
	v_dot2_f32_f16 v50, v66, v74, v50
	;;#ASMEND
	;; [unrolled: 13-line block ×5, first 2 shown]
	;;#ASMSTART
	v_dot2_f32_f16 v54, v83, v71, v54
	;;#ASMEND
	;;#ASMSTART
	v_dot2_f32_f16 v54, v84, v72, v54
	;;#ASMEND
	;;#ASMSTART
	v_dot2_f32_f16 v54, v85, v73, v54
	;;#ASMEND
	;;#ASMSTART
	v_dot2_f32_f16 v54, v86, v74, v54
	;;#ASMEND
	;;#ASMSTART
	v_dot2_f32_f16 v55, v83, v75, v55
	;;#ASMEND
	;;#ASMSTART
	v_dot2_f32_f16 v55, v84, v76, v55
	;;#ASMEND
	;;#ASMSTART
	v_dot2_f32_f16 v55, v85, v77, v55
	;;#ASMEND
	;;#ASMSTART
	v_dot2_f32_f16 v55, v86, v78, v55
	;;#ASMEND
	;;#ASMSTART
	v_dot2_f32_f16 v56, v83, v79, v56
	;;#ASMEND
	;;#ASMSTART
	v_dot2_f32_f16 v56, v84, v80, v56
	;;#ASMEND
	;;#ASMSTART
	v_dot2_f32_f16 v56, v85, v81, v56
	;;#ASMEND
	;;#ASMSTART
	v_dot2_f32_f16 v56, v86, v82, v56
	;;#ASMEND
	ds_load_b128 v[63:66], v190 offset:16
	ds_load_b128 v[67:70], v191 offset:16
	;; [unrolled: 1-line block ×6, first 2 shown]
	s_waitcnt lgkmcnt(4)
	;;#ASMSTART
	v_dot2_f32_f16 v49, v63, v67, v49
	;;#ASMEND
	;;#ASMSTART
	v_dot2_f32_f16 v49, v64, v68, v49
	;;#ASMEND
	;;#ASMSTART
	v_dot2_f32_f16 v49, v65, v69, v49
	;;#ASMEND
	;;#ASMSTART
	v_dot2_f32_f16 v49, v66, v70, v49
	;;#ASMEND
	s_waitcnt lgkmcnt(3)
	;;#ASMSTART
	v_dot2_f32_f16 v50, v63, v71, v50
	;;#ASMEND
	;;#ASMSTART
	v_dot2_f32_f16 v50, v64, v72, v50
	;;#ASMEND
	;;#ASMSTART
	v_dot2_f32_f16 v50, v65, v73, v50
	;;#ASMEND
	;;#ASMSTART
	v_dot2_f32_f16 v50, v66, v74, v50
	;;#ASMEND
	s_waitcnt lgkmcnt(2)
	;;#ASMSTART
	v_dot2_f32_f16 v51, v63, v75, v51
	;;#ASMEND
	;;#ASMSTART
	v_dot2_f32_f16 v51, v64, v76, v51
	;;#ASMEND
	;;#ASMSTART
	v_dot2_f32_f16 v51, v65, v77, v51
	;;#ASMEND
	;;#ASMSTART
	v_dot2_f32_f16 v51, v66, v78, v51
	;;#ASMEND
	s_waitcnt lgkmcnt(1)
	;;#ASMSTART
	v_dot2_f32_f16 v52, v63, v79, v52
	;;#ASMEND
	;;#ASMSTART
	v_dot2_f32_f16 v52, v64, v80, v52
	;;#ASMEND
	;;#ASMSTART
	v_dot2_f32_f16 v52, v65, v81, v52
	;;#ASMEND
	;;#ASMSTART
	v_dot2_f32_f16 v52, v66, v82, v52
	;;#ASMEND
	s_waitcnt lgkmcnt(0)
	;;#ASMSTART
	v_dot2_f32_f16 v53, v83, v67, v53
	;;#ASMEND
	;;#ASMSTART
	v_dot2_f32_f16 v53, v84, v68, v53
	;;#ASMEND
	;;#ASMSTART
	v_dot2_f32_f16 v53, v85, v69, v53
	;;#ASMEND
	;;#ASMSTART
	v_dot2_f32_f16 v53, v86, v70, v53
	;;#ASMEND
	;;#ASMSTART
	v_dot2_f32_f16 v54, v83, v71, v54
	;;#ASMEND
	;;#ASMSTART
	v_dot2_f32_f16 v54, v84, v72, v54
	;;#ASMEND
	;; [unrolled: 3-line block ×12, first 2 shown]
	ds_load_b128 v[63:66], v190 offset:32
	ds_load_b128 v[67:70], v191 offset:32
	;; [unrolled: 1-line block ×6, first 2 shown]
	s_waitcnt lgkmcnt(4)
	;;#ASMSTART
	v_dot2_f32_f16 v49, v63, v67, v49
	;;#ASMEND
	;;#ASMSTART
	v_dot2_f32_f16 v49, v64, v68, v49
	;;#ASMEND
	;;#ASMSTART
	v_dot2_f32_f16 v49, v65, v69, v49
	;;#ASMEND
	;;#ASMSTART
	v_dot2_f32_f16 v49, v66, v70, v49
	;;#ASMEND
	s_waitcnt lgkmcnt(3)
	;;#ASMSTART
	v_dot2_f32_f16 v50, v63, v71, v50
	;;#ASMEND
	;;#ASMSTART
	v_dot2_f32_f16 v50, v64, v72, v50
	;;#ASMEND
	;;#ASMSTART
	v_dot2_f32_f16 v50, v65, v73, v50
	;;#ASMEND
	;;#ASMSTART
	v_dot2_f32_f16 v50, v66, v74, v50
	;;#ASMEND
	;; [unrolled: 13-line block ×5, first 2 shown]
	;;#ASMSTART
	v_dot2_f32_f16 v54, v83, v71, v54
	;;#ASMEND
	;;#ASMSTART
	v_dot2_f32_f16 v54, v84, v72, v54
	;;#ASMEND
	;; [unrolled: 3-line block ×12, first 2 shown]
	ds_load_b128 v[63:66], v190 offset:48
	ds_load_b128 v[67:70], v191 offset:48
	;; [unrolled: 1-line block ×6, first 2 shown]
	s_waitcnt lgkmcnt(4)
	;;#ASMSTART
	v_dot2_f32_f16 v49, v63, v67, v49
	;;#ASMEND
	;;#ASMSTART
	v_dot2_f32_f16 v49, v64, v68, v49
	;;#ASMEND
	;;#ASMSTART
	v_dot2_f32_f16 v49, v65, v69, v49
	;;#ASMEND
	;;#ASMSTART
	v_dot2_f32_f16 v49, v66, v70, v49
	;;#ASMEND
	s_waitcnt lgkmcnt(3)
	;;#ASMSTART
	v_dot2_f32_f16 v50, v63, v71, v50
	;;#ASMEND
	;;#ASMSTART
	v_dot2_f32_f16 v50, v64, v72, v50
	;;#ASMEND
	;;#ASMSTART
	v_dot2_f32_f16 v50, v65, v73, v50
	;;#ASMEND
	;;#ASMSTART
	v_dot2_f32_f16 v50, v66, v74, v50
	;;#ASMEND
	;; [unrolled: 13-line block ×5, first 2 shown]
	;;#ASMSTART
	v_dot2_f32_f16 v54, v83, v71, v54
	;;#ASMEND
	;;#ASMSTART
	v_dot2_f32_f16 v54, v84, v72, v54
	;;#ASMEND
	;; [unrolled: 3-line block ×12, first 2 shown]
	ds_load_b128 v[63:66], v190 offset:64
	ds_load_b128 v[67:70], v191 offset:64
	;; [unrolled: 1-line block ×6, first 2 shown]
	s_waitcnt lgkmcnt(4)
	;;#ASMSTART
	v_dot2_f32_f16 v49, v63, v67, v49
	;;#ASMEND
	;;#ASMSTART
	v_dot2_f32_f16 v49, v64, v68, v49
	;;#ASMEND
	;;#ASMSTART
	v_dot2_f32_f16 v49, v65, v69, v49
	;;#ASMEND
	;;#ASMSTART
	v_dot2_f32_f16 v49, v66, v70, v49
	;;#ASMEND
	s_waitcnt lgkmcnt(3)
	;;#ASMSTART
	v_dot2_f32_f16 v50, v63, v71, v50
	;;#ASMEND
	;;#ASMSTART
	v_dot2_f32_f16 v50, v64, v72, v50
	;;#ASMEND
	;;#ASMSTART
	v_dot2_f32_f16 v50, v65, v73, v50
	;;#ASMEND
	;;#ASMSTART
	v_dot2_f32_f16 v50, v66, v74, v50
	;;#ASMEND
	;; [unrolled: 13-line block ×5, first 2 shown]
	;;#ASMSTART
	v_dot2_f32_f16 v54, v83, v71, v54
	;;#ASMEND
	;;#ASMSTART
	v_dot2_f32_f16 v54, v84, v72, v54
	;;#ASMEND
	;; [unrolled: 3-line block ×12, first 2 shown]
	ds_load_b128 v[63:66], v190 offset:80
	ds_load_b128 v[67:70], v191 offset:80
	;; [unrolled: 1-line block ×6, first 2 shown]
	s_waitcnt lgkmcnt(4)
	;;#ASMSTART
	v_dot2_f32_f16 v49, v63, v67, v49
	;;#ASMEND
	;;#ASMSTART
	v_dot2_f32_f16 v49, v64, v68, v49
	;;#ASMEND
	;;#ASMSTART
	v_dot2_f32_f16 v49, v65, v69, v49
	;;#ASMEND
	;;#ASMSTART
	v_dot2_f32_f16 v49, v66, v70, v49
	;;#ASMEND
	s_waitcnt lgkmcnt(3)
	;;#ASMSTART
	v_dot2_f32_f16 v50, v63, v71, v50
	;;#ASMEND
	;;#ASMSTART
	v_dot2_f32_f16 v50, v64, v72, v50
	;;#ASMEND
	;;#ASMSTART
	v_dot2_f32_f16 v50, v65, v73, v50
	;;#ASMEND
	;;#ASMSTART
	v_dot2_f32_f16 v50, v66, v74, v50
	;;#ASMEND
	;; [unrolled: 13-line block ×5, first 2 shown]
	;;#ASMSTART
	v_dot2_f32_f16 v54, v83, v71, v54
	;;#ASMEND
	;;#ASMSTART
	v_dot2_f32_f16 v54, v84, v72, v54
	;;#ASMEND
	;;#ASMSTART
	v_dot2_f32_f16 v54, v85, v73, v54
	;;#ASMEND
	;;#ASMSTART
	v_dot2_f32_f16 v54, v86, v74, v54
	;;#ASMEND
	;;#ASMSTART
	v_dot2_f32_f16 v55, v83, v75, v55
	;;#ASMEND
	;;#ASMSTART
	v_dot2_f32_f16 v55, v84, v76, v55
	;;#ASMEND
	;;#ASMSTART
	v_dot2_f32_f16 v55, v85, v77, v55
	;;#ASMEND
	;;#ASMSTART
	v_dot2_f32_f16 v55, v86, v78, v55
	;;#ASMEND
	;;#ASMSTART
	v_dot2_f32_f16 v56, v83, v79, v56
	;;#ASMEND
	;;#ASMSTART
	v_dot2_f32_f16 v56, v84, v80, v56
	;;#ASMEND
	;;#ASMSTART
	v_dot2_f32_f16 v56, v85, v81, v56
	;;#ASMEND
	;;#ASMSTART
	v_dot2_f32_f16 v56, v86, v82, v56
	;;#ASMEND
	ds_load_b128 v[63:66], v190 offset:96
	ds_load_b128 v[67:70], v191 offset:96
	;; [unrolled: 1-line block ×6, first 2 shown]
	s_waitcnt lgkmcnt(4)
	;;#ASMSTART
	v_dot2_f32_f16 v49, v63, v67, v49
	;;#ASMEND
	;;#ASMSTART
	v_dot2_f32_f16 v49, v64, v68, v49
	;;#ASMEND
	;;#ASMSTART
	v_dot2_f32_f16 v49, v65, v69, v49
	;;#ASMEND
	;;#ASMSTART
	v_dot2_f32_f16 v49, v66, v70, v49
	;;#ASMEND
	s_waitcnt lgkmcnt(3)
	;;#ASMSTART
	v_dot2_f32_f16 v50, v63, v71, v50
	;;#ASMEND
	;;#ASMSTART
	v_dot2_f32_f16 v50, v64, v72, v50
	;;#ASMEND
	;;#ASMSTART
	v_dot2_f32_f16 v50, v65, v73, v50
	;;#ASMEND
	;;#ASMSTART
	v_dot2_f32_f16 v50, v66, v74, v50
	;;#ASMEND
	;; [unrolled: 13-line block ×5, first 2 shown]
	;;#ASMSTART
	v_dot2_f32_f16 v54, v83, v71, v54
	;;#ASMEND
	;;#ASMSTART
	v_dot2_f32_f16 v54, v84, v72, v54
	;;#ASMEND
	;; [unrolled: 3-line block ×12, first 2 shown]
	ds_load_b128 v[63:66], v190 offset:112
	ds_load_b128 v[67:70], v191 offset:112
	;; [unrolled: 1-line block ×6, first 2 shown]
	s_waitcnt lgkmcnt(4)
	;;#ASMSTART
	v_dot2_f32_f16 v49, v63, v67, v49
	;;#ASMEND
	;;#ASMSTART
	v_dot2_f32_f16 v49, v64, v68, v49
	;;#ASMEND
	;;#ASMSTART
	v_dot2_f32_f16 v49, v65, v69, v49
	;;#ASMEND
	;;#ASMSTART
	v_dot2_f32_f16 v49, v66, v70, v49
	;;#ASMEND
	s_waitcnt lgkmcnt(3)
	;;#ASMSTART
	v_dot2_f32_f16 v50, v63, v71, v50
	;;#ASMEND
	;;#ASMSTART
	v_dot2_f32_f16 v50, v64, v72, v50
	;;#ASMEND
	;;#ASMSTART
	v_dot2_f32_f16 v50, v65, v73, v50
	;;#ASMEND
	;;#ASMSTART
	v_dot2_f32_f16 v50, v66, v74, v50
	;;#ASMEND
	;; [unrolled: 13-line block ×5, first 2 shown]
	;;#ASMSTART
	v_dot2_f32_f16 v54, v83, v71, v54
	;;#ASMEND
	;;#ASMSTART
	v_dot2_f32_f16 v54, v84, v72, v54
	;;#ASMEND
	;; [unrolled: 3-line block ×12, first 2 shown]
	ds_load_b128 v[63:66], v190 offset:128
	ds_load_b128 v[67:70], v191 offset:128
	;; [unrolled: 1-line block ×6, first 2 shown]
	s_waitcnt lgkmcnt(4)
	;;#ASMSTART
	v_dot2_f32_f16 v49, v63, v67, v49
	;;#ASMEND
	;;#ASMSTART
	v_dot2_f32_f16 v49, v64, v68, v49
	;;#ASMEND
	;;#ASMSTART
	v_dot2_f32_f16 v49, v65, v69, v49
	;;#ASMEND
	;;#ASMSTART
	v_dot2_f32_f16 v49, v66, v70, v49
	;;#ASMEND
	s_waitcnt lgkmcnt(3)
	;;#ASMSTART
	v_dot2_f32_f16 v50, v63, v71, v50
	;;#ASMEND
	;;#ASMSTART
	v_dot2_f32_f16 v50, v64, v72, v50
	;;#ASMEND
	;;#ASMSTART
	v_dot2_f32_f16 v50, v65, v73, v50
	;;#ASMEND
	;;#ASMSTART
	v_dot2_f32_f16 v50, v66, v74, v50
	;;#ASMEND
	;; [unrolled: 13-line block ×5, first 2 shown]
	;;#ASMSTART
	v_dot2_f32_f16 v54, v83, v71, v54
	;;#ASMEND
	;;#ASMSTART
	v_dot2_f32_f16 v54, v84, v72, v54
	;;#ASMEND
	;; [unrolled: 3-line block ×12, first 2 shown]
	ds_load_b128 v[63:66], v190 offset:144
	ds_load_b128 v[67:70], v191 offset:144
	;; [unrolled: 1-line block ×6, first 2 shown]
	s_waitcnt lgkmcnt(4)
	;;#ASMSTART
	v_dot2_f32_f16 v49, v63, v67, v49
	;;#ASMEND
	;;#ASMSTART
	v_dot2_f32_f16 v49, v64, v68, v49
	;;#ASMEND
	;;#ASMSTART
	v_dot2_f32_f16 v49, v65, v69, v49
	;;#ASMEND
	;;#ASMSTART
	v_dot2_f32_f16 v49, v66, v70, v49
	;;#ASMEND
	s_waitcnt lgkmcnt(3)
	;;#ASMSTART
	v_dot2_f32_f16 v50, v63, v71, v50
	;;#ASMEND
	;;#ASMSTART
	v_dot2_f32_f16 v50, v64, v72, v50
	;;#ASMEND
	;;#ASMSTART
	v_dot2_f32_f16 v50, v65, v73, v50
	;;#ASMEND
	;;#ASMSTART
	v_dot2_f32_f16 v50, v66, v74, v50
	;;#ASMEND
	;; [unrolled: 13-line block ×5, first 2 shown]
	;;#ASMSTART
	v_dot2_f32_f16 v54, v83, v71, v54
	;;#ASMEND
	;;#ASMSTART
	v_dot2_f32_f16 v54, v84, v72, v54
	;;#ASMEND
	;; [unrolled: 3-line block ×12, first 2 shown]
	ds_load_b128 v[63:66], v190 offset:160
	ds_load_b128 v[67:70], v191 offset:160
	;; [unrolled: 1-line block ×6, first 2 shown]
	s_waitcnt lgkmcnt(4)
	;;#ASMSTART
	v_dot2_f32_f16 v49, v63, v67, v49
	;;#ASMEND
	;;#ASMSTART
	v_dot2_f32_f16 v49, v64, v68, v49
	;;#ASMEND
	;;#ASMSTART
	v_dot2_f32_f16 v49, v65, v69, v49
	;;#ASMEND
	;;#ASMSTART
	v_dot2_f32_f16 v49, v66, v70, v49
	;;#ASMEND
	s_waitcnt lgkmcnt(3)
	;;#ASMSTART
	v_dot2_f32_f16 v50, v63, v71, v50
	;;#ASMEND
	;;#ASMSTART
	v_dot2_f32_f16 v50, v64, v72, v50
	;;#ASMEND
	;;#ASMSTART
	v_dot2_f32_f16 v50, v65, v73, v50
	;;#ASMEND
	;;#ASMSTART
	v_dot2_f32_f16 v50, v66, v74, v50
	;;#ASMEND
	;; [unrolled: 13-line block ×5, first 2 shown]
	;;#ASMSTART
	v_dot2_f32_f16 v54, v83, v71, v54
	;;#ASMEND
	;;#ASMSTART
	v_dot2_f32_f16 v54, v84, v72, v54
	;;#ASMEND
	;; [unrolled: 3-line block ×12, first 2 shown]
	ds_load_b128 v[63:66], v190 offset:176
	ds_load_b128 v[67:70], v191 offset:176
	;; [unrolled: 1-line block ×6, first 2 shown]
	s_waitcnt lgkmcnt(4)
	;;#ASMSTART
	v_dot2_f32_f16 v49, v63, v67, v49
	;;#ASMEND
	;;#ASMSTART
	v_dot2_f32_f16 v49, v64, v68, v49
	;;#ASMEND
	;;#ASMSTART
	v_dot2_f32_f16 v49, v65, v69, v49
	;;#ASMEND
	;;#ASMSTART
	v_dot2_f32_f16 v49, v66, v70, v49
	;;#ASMEND
	s_waitcnt lgkmcnt(3)
	;;#ASMSTART
	v_dot2_f32_f16 v50, v63, v71, v50
	;;#ASMEND
	;;#ASMSTART
	v_dot2_f32_f16 v50, v64, v72, v50
	;;#ASMEND
	;;#ASMSTART
	v_dot2_f32_f16 v50, v65, v73, v50
	;;#ASMEND
	;;#ASMSTART
	v_dot2_f32_f16 v50, v66, v74, v50
	;;#ASMEND
	;; [unrolled: 13-line block ×5, first 2 shown]
	;;#ASMSTART
	v_dot2_f32_f16 v54, v83, v71, v54
	;;#ASMEND
	;;#ASMSTART
	v_dot2_f32_f16 v54, v84, v72, v54
	;;#ASMEND
	;; [unrolled: 3-line block ×12, first 2 shown]
	ds_load_b128 v[63:66], v190 offset:192
	ds_load_b128 v[67:70], v191 offset:192
	;; [unrolled: 1-line block ×6, first 2 shown]
	s_waitcnt lgkmcnt(4)
	;;#ASMSTART
	v_dot2_f32_f16 v49, v63, v67, v49
	;;#ASMEND
	;;#ASMSTART
	v_dot2_f32_f16 v49, v64, v68, v49
	;;#ASMEND
	;;#ASMSTART
	v_dot2_f32_f16 v49, v65, v69, v49
	;;#ASMEND
	;;#ASMSTART
	v_dot2_f32_f16 v49, v66, v70, v49
	;;#ASMEND
	s_waitcnt lgkmcnt(3)
	;;#ASMSTART
	v_dot2_f32_f16 v50, v63, v71, v50
	;;#ASMEND
	;;#ASMSTART
	v_dot2_f32_f16 v50, v64, v72, v50
	;;#ASMEND
	;;#ASMSTART
	v_dot2_f32_f16 v50, v65, v73, v50
	;;#ASMEND
	;;#ASMSTART
	v_dot2_f32_f16 v50, v66, v74, v50
	;;#ASMEND
	;; [unrolled: 13-line block ×5, first 2 shown]
	;;#ASMSTART
	v_dot2_f32_f16 v54, v83, v71, v54
	;;#ASMEND
	;;#ASMSTART
	v_dot2_f32_f16 v54, v84, v72, v54
	;;#ASMEND
	;; [unrolled: 3-line block ×12, first 2 shown]
	ds_load_b128 v[63:66], v190 offset:208
	ds_load_b128 v[67:70], v191 offset:208
	;; [unrolled: 1-line block ×6, first 2 shown]
	s_waitcnt lgkmcnt(4)
	;;#ASMSTART
	v_dot2_f32_f16 v49, v63, v67, v49
	;;#ASMEND
	;;#ASMSTART
	v_dot2_f32_f16 v49, v64, v68, v49
	;;#ASMEND
	;;#ASMSTART
	v_dot2_f32_f16 v49, v65, v69, v49
	;;#ASMEND
	;;#ASMSTART
	v_dot2_f32_f16 v49, v66, v70, v49
	;;#ASMEND
	s_waitcnt lgkmcnt(3)
	;;#ASMSTART
	v_dot2_f32_f16 v50, v63, v71, v50
	;;#ASMEND
	;;#ASMSTART
	v_dot2_f32_f16 v50, v64, v72, v50
	;;#ASMEND
	;;#ASMSTART
	v_dot2_f32_f16 v50, v65, v73, v50
	;;#ASMEND
	;;#ASMSTART
	v_dot2_f32_f16 v50, v66, v74, v50
	;;#ASMEND
	;; [unrolled: 13-line block ×5, first 2 shown]
	;;#ASMSTART
	v_dot2_f32_f16 v54, v83, v71, v54
	;;#ASMEND
	;;#ASMSTART
	v_dot2_f32_f16 v54, v84, v72, v54
	;;#ASMEND
	;; [unrolled: 3-line block ×12, first 2 shown]
	ds_load_b128 v[63:66], v190 offset:224
	ds_load_b128 v[67:70], v191 offset:224
	ds_load_b128 v[71:74], v191 offset:736
	ds_load_b128 v[75:78], v191 offset:1248
	ds_load_b128 v[79:82], v191 offset:1760
	ds_load_b128 v[83:86], v190 offset:8928
	s_waitcnt lgkmcnt(4)
	;;#ASMSTART
	v_dot2_f32_f16 v49, v63, v67, v49
	;;#ASMEND
	;;#ASMSTART
	v_dot2_f32_f16 v49, v64, v68, v49
	;;#ASMEND
	;;#ASMSTART
	v_dot2_f32_f16 v49, v65, v69, v49
	;;#ASMEND
	;;#ASMSTART
	v_dot2_f32_f16 v49, v66, v70, v49
	;;#ASMEND
	s_waitcnt lgkmcnt(3)
	;;#ASMSTART
	v_dot2_f32_f16 v50, v63, v71, v50
	;;#ASMEND
	;;#ASMSTART
	v_dot2_f32_f16 v50, v64, v72, v50
	;;#ASMEND
	;;#ASMSTART
	v_dot2_f32_f16 v50, v65, v73, v50
	;;#ASMEND
	;;#ASMSTART
	v_dot2_f32_f16 v50, v66, v74, v50
	;;#ASMEND
	;; [unrolled: 13-line block ×5, first 2 shown]
	;;#ASMSTART
	v_dot2_f32_f16 v54, v83, v71, v54
	;;#ASMEND
	;;#ASMSTART
	v_dot2_f32_f16 v54, v84, v72, v54
	;;#ASMEND
	;;#ASMSTART
	v_dot2_f32_f16 v54, v85, v73, v54
	;;#ASMEND
	;;#ASMSTART
	v_dot2_f32_f16 v54, v86, v74, v54
	;;#ASMEND
	;;#ASMSTART
	v_dot2_f32_f16 v55, v83, v75, v55
	;;#ASMEND
	;;#ASMSTART
	v_dot2_f32_f16 v55, v84, v76, v55
	;;#ASMEND
	;;#ASMSTART
	v_dot2_f32_f16 v55, v85, v77, v55
	;;#ASMEND
	;;#ASMSTART
	v_dot2_f32_f16 v55, v86, v78, v55
	;;#ASMEND
	;;#ASMSTART
	v_dot2_f32_f16 v56, v83, v79, v56
	;;#ASMEND
	;;#ASMSTART
	v_dot2_f32_f16 v56, v84, v80, v56
	;;#ASMEND
	;;#ASMSTART
	v_dot2_f32_f16 v56, v85, v81, v56
	;;#ASMEND
	;;#ASMSTART
	v_dot2_f32_f16 v56, v86, v82, v56
	;;#ASMEND
	ds_load_b128 v[63:66], v190 offset:240
	ds_load_b128 v[67:70], v191 offset:240
	;; [unrolled: 1-line block ×6, first 2 shown]
	s_waitcnt lgkmcnt(4)
	;;#ASMSTART
	v_dot2_f32_f16 v49, v63, v67, v49
	;;#ASMEND
	;;#ASMSTART
	v_dot2_f32_f16 v49, v64, v68, v49
	;;#ASMEND
	;;#ASMSTART
	v_dot2_f32_f16 v49, v65, v69, v49
	;;#ASMEND
	;;#ASMSTART
	v_dot2_f32_f16 v49, v66, v70, v49
	;;#ASMEND
	s_waitcnt lgkmcnt(3)
	;;#ASMSTART
	v_dot2_f32_f16 v50, v63, v71, v50
	;;#ASMEND
	;;#ASMSTART
	v_dot2_f32_f16 v50, v64, v72, v50
	;;#ASMEND
	;;#ASMSTART
	v_dot2_f32_f16 v50, v65, v73, v50
	;;#ASMEND
	;;#ASMSTART
	v_dot2_f32_f16 v50, v66, v74, v50
	;;#ASMEND
	;; [unrolled: 13-line block ×5, first 2 shown]
	;;#ASMSTART
	v_dot2_f32_f16 v54, v83, v71, v54
	;;#ASMEND
	;;#ASMSTART
	v_dot2_f32_f16 v54, v84, v72, v54
	;;#ASMEND
	;; [unrolled: 3-line block ×12, first 2 shown]
	s_barrier
	buffer_gl0_inv
	s_clause 0x3
	global_load_b128 v[63:66], v[24:25], off offset:256
	global_load_b128 v[67:70], v[18:19], off offset:256
	;; [unrolled: 1-line block ×4, first 2 shown]
	s_waitcnt vmcnt(3)
	ds_store_b128 v186, v[63:66]
	s_waitcnt vmcnt(2)
	ds_store_b128 v187, v[67:70]
	;; [unrolled: 2-line block ×4, first 2 shown]
	s_waitcnt lgkmcnt(0)
	s_barrier
	buffer_gl0_inv
	ds_load_b128 v[18:21], v190
	ds_load_b128 v[22:25], v191 offset:256
	ds_load_b128 v[63:66], v191 offset:768
	ds_load_b128 v[67:70], v191 offset:1280
	ds_load_b128 v[71:74], v191 offset:1792
	ds_load_b128 v[75:78], v190 offset:8704
	s_waitcnt lgkmcnt(4)
	;;#ASMSTART
	v_dot2_f32_f16 v49, v18, v22, v49
	;;#ASMEND
	;;#ASMSTART
	v_dot2_f32_f16 v49, v19, v23, v49
	;;#ASMEND
	;;#ASMSTART
	v_dot2_f32_f16 v49, v20, v24, v49
	;;#ASMEND
	;;#ASMSTART
	v_dot2_f32_f16 v49, v21, v25, v49
	;;#ASMEND
	s_waitcnt lgkmcnt(3)
	;;#ASMSTART
	v_dot2_f32_f16 v50, v18, v63, v50
	;;#ASMEND
	;;#ASMSTART
	v_dot2_f32_f16 v50, v19, v64, v50
	;;#ASMEND
	;;#ASMSTART
	v_dot2_f32_f16 v50, v20, v65, v50
	;;#ASMEND
	;;#ASMSTART
	v_dot2_f32_f16 v50, v21, v66, v50
	;;#ASMEND
	;; [unrolled: 13-line block ×5, first 2 shown]
	;;#ASMSTART
	v_dot2_f32_f16 v54, v75, v63, v54
	;;#ASMEND
	;;#ASMSTART
	v_dot2_f32_f16 v54, v76, v64, v54
	;;#ASMEND
	;; [unrolled: 3-line block ×12, first 2 shown]
	ds_load_b128 v[18:21], v190 offset:16
	ds_load_b128 v[22:25], v191 offset:272
	;; [unrolled: 1-line block ×6, first 2 shown]
	s_waitcnt lgkmcnt(4)
	;;#ASMSTART
	v_dot2_f32_f16 v49, v18, v22, v49
	;;#ASMEND
	;;#ASMSTART
	v_dot2_f32_f16 v49, v19, v23, v49
	;;#ASMEND
	;;#ASMSTART
	v_dot2_f32_f16 v49, v20, v24, v49
	;;#ASMEND
	;;#ASMSTART
	v_dot2_f32_f16 v49, v21, v25, v49
	;;#ASMEND
	s_waitcnt lgkmcnt(3)
	;;#ASMSTART
	v_dot2_f32_f16 v50, v18, v63, v50
	;;#ASMEND
	;;#ASMSTART
	v_dot2_f32_f16 v50, v19, v64, v50
	;;#ASMEND
	;;#ASMSTART
	v_dot2_f32_f16 v50, v20, v65, v50
	;;#ASMEND
	;;#ASMSTART
	v_dot2_f32_f16 v50, v21, v66, v50
	;;#ASMEND
	;; [unrolled: 13-line block ×5, first 2 shown]
	;;#ASMSTART
	v_dot2_f32_f16 v54, v75, v63, v54
	;;#ASMEND
	;;#ASMSTART
	v_dot2_f32_f16 v54, v76, v64, v54
	;;#ASMEND
	;; [unrolled: 3-line block ×12, first 2 shown]
	ds_load_b128 v[18:21], v190 offset:32
	ds_load_b128 v[22:25], v191 offset:288
	;; [unrolled: 1-line block ×6, first 2 shown]
	s_waitcnt lgkmcnt(4)
	;;#ASMSTART
	v_dot2_f32_f16 v49, v18, v22, v49
	;;#ASMEND
	;;#ASMSTART
	v_dot2_f32_f16 v49, v19, v23, v49
	;;#ASMEND
	;;#ASMSTART
	v_dot2_f32_f16 v49, v20, v24, v49
	;;#ASMEND
	;;#ASMSTART
	v_dot2_f32_f16 v49, v21, v25, v49
	;;#ASMEND
	s_waitcnt lgkmcnt(3)
	;;#ASMSTART
	v_dot2_f32_f16 v50, v18, v63, v50
	;;#ASMEND
	;;#ASMSTART
	v_dot2_f32_f16 v50, v19, v64, v50
	;;#ASMEND
	;;#ASMSTART
	v_dot2_f32_f16 v50, v20, v65, v50
	;;#ASMEND
	;;#ASMSTART
	v_dot2_f32_f16 v50, v21, v66, v50
	;;#ASMEND
	;; [unrolled: 13-line block ×5, first 2 shown]
	;;#ASMSTART
	v_dot2_f32_f16 v54, v75, v63, v54
	;;#ASMEND
	;;#ASMSTART
	v_dot2_f32_f16 v54, v76, v64, v54
	;;#ASMEND
	;; [unrolled: 3-line block ×12, first 2 shown]
	ds_load_b128 v[18:21], v190 offset:48
	ds_load_b128 v[22:25], v191 offset:304
	;; [unrolled: 1-line block ×6, first 2 shown]
	s_waitcnt lgkmcnt(4)
	;;#ASMSTART
	v_dot2_f32_f16 v49, v18, v22, v49
	;;#ASMEND
	;;#ASMSTART
	v_dot2_f32_f16 v49, v19, v23, v49
	;;#ASMEND
	;;#ASMSTART
	v_dot2_f32_f16 v49, v20, v24, v49
	;;#ASMEND
	;;#ASMSTART
	v_dot2_f32_f16 v49, v21, v25, v49
	;;#ASMEND
	s_waitcnt lgkmcnt(3)
	;;#ASMSTART
	v_dot2_f32_f16 v50, v18, v63, v50
	;;#ASMEND
	;;#ASMSTART
	v_dot2_f32_f16 v50, v19, v64, v50
	;;#ASMEND
	;;#ASMSTART
	v_dot2_f32_f16 v50, v20, v65, v50
	;;#ASMEND
	;;#ASMSTART
	v_dot2_f32_f16 v50, v21, v66, v50
	;;#ASMEND
	;; [unrolled: 13-line block ×5, first 2 shown]
	;;#ASMSTART
	v_dot2_f32_f16 v54, v75, v63, v54
	;;#ASMEND
	;;#ASMSTART
	v_dot2_f32_f16 v54, v76, v64, v54
	;;#ASMEND
	;;#ASMSTART
	v_dot2_f32_f16 v54, v77, v65, v54
	;;#ASMEND
	;;#ASMSTART
	v_dot2_f32_f16 v54, v78, v66, v54
	;;#ASMEND
	;;#ASMSTART
	v_dot2_f32_f16 v55, v75, v67, v55
	;;#ASMEND
	;;#ASMSTART
	v_dot2_f32_f16 v55, v76, v68, v55
	;;#ASMEND
	;;#ASMSTART
	v_dot2_f32_f16 v55, v77, v69, v55
	;;#ASMEND
	;;#ASMSTART
	v_dot2_f32_f16 v55, v78, v70, v55
	;;#ASMEND
	;;#ASMSTART
	v_dot2_f32_f16 v56, v75, v71, v56
	;;#ASMEND
	;;#ASMSTART
	v_dot2_f32_f16 v56, v76, v72, v56
	;;#ASMEND
	;;#ASMSTART
	v_dot2_f32_f16 v56, v77, v73, v56
	;;#ASMEND
	;;#ASMSTART
	v_dot2_f32_f16 v56, v78, v74, v56
	;;#ASMEND
	ds_load_b128 v[18:21], v190 offset:64
	ds_load_b128 v[22:25], v191 offset:320
	;; [unrolled: 1-line block ×6, first 2 shown]
	s_waitcnt lgkmcnt(4)
	;;#ASMSTART
	v_dot2_f32_f16 v49, v18, v22, v49
	;;#ASMEND
	;;#ASMSTART
	v_dot2_f32_f16 v49, v19, v23, v49
	;;#ASMEND
	;;#ASMSTART
	v_dot2_f32_f16 v49, v20, v24, v49
	;;#ASMEND
	;;#ASMSTART
	v_dot2_f32_f16 v49, v21, v25, v49
	;;#ASMEND
	s_waitcnt lgkmcnt(3)
	;;#ASMSTART
	v_dot2_f32_f16 v50, v18, v63, v50
	;;#ASMEND
	;;#ASMSTART
	v_dot2_f32_f16 v50, v19, v64, v50
	;;#ASMEND
	;;#ASMSTART
	v_dot2_f32_f16 v50, v20, v65, v50
	;;#ASMEND
	;;#ASMSTART
	v_dot2_f32_f16 v50, v21, v66, v50
	;;#ASMEND
	;; [unrolled: 13-line block ×5, first 2 shown]
	;;#ASMSTART
	v_dot2_f32_f16 v54, v75, v63, v54
	;;#ASMEND
	;;#ASMSTART
	v_dot2_f32_f16 v54, v76, v64, v54
	;;#ASMEND
	;; [unrolled: 3-line block ×12, first 2 shown]
	ds_load_b128 v[18:21], v190 offset:80
	ds_load_b128 v[22:25], v191 offset:336
	;; [unrolled: 1-line block ×6, first 2 shown]
	s_waitcnt lgkmcnt(4)
	;;#ASMSTART
	v_dot2_f32_f16 v49, v18, v22, v49
	;;#ASMEND
	;;#ASMSTART
	v_dot2_f32_f16 v49, v19, v23, v49
	;;#ASMEND
	;;#ASMSTART
	v_dot2_f32_f16 v49, v20, v24, v49
	;;#ASMEND
	;;#ASMSTART
	v_dot2_f32_f16 v49, v21, v25, v49
	;;#ASMEND
	s_waitcnt lgkmcnt(3)
	;;#ASMSTART
	v_dot2_f32_f16 v50, v18, v63, v50
	;;#ASMEND
	;;#ASMSTART
	v_dot2_f32_f16 v50, v19, v64, v50
	;;#ASMEND
	;;#ASMSTART
	v_dot2_f32_f16 v50, v20, v65, v50
	;;#ASMEND
	;;#ASMSTART
	v_dot2_f32_f16 v50, v21, v66, v50
	;;#ASMEND
	;; [unrolled: 13-line block ×5, first 2 shown]
	;;#ASMSTART
	v_dot2_f32_f16 v54, v75, v63, v54
	;;#ASMEND
	;;#ASMSTART
	v_dot2_f32_f16 v54, v76, v64, v54
	;;#ASMEND
	;; [unrolled: 3-line block ×12, first 2 shown]
	ds_load_b128 v[18:21], v190 offset:96
	ds_load_b128 v[22:25], v191 offset:352
	;; [unrolled: 1-line block ×6, first 2 shown]
	s_waitcnt lgkmcnt(4)
	;;#ASMSTART
	v_dot2_f32_f16 v49, v18, v22, v49
	;;#ASMEND
	;;#ASMSTART
	v_dot2_f32_f16 v49, v19, v23, v49
	;;#ASMEND
	;;#ASMSTART
	v_dot2_f32_f16 v49, v20, v24, v49
	;;#ASMEND
	;;#ASMSTART
	v_dot2_f32_f16 v49, v21, v25, v49
	;;#ASMEND
	s_waitcnt lgkmcnt(3)
	;;#ASMSTART
	v_dot2_f32_f16 v50, v18, v63, v50
	;;#ASMEND
	;;#ASMSTART
	v_dot2_f32_f16 v50, v19, v64, v50
	;;#ASMEND
	;;#ASMSTART
	v_dot2_f32_f16 v50, v20, v65, v50
	;;#ASMEND
	;;#ASMSTART
	v_dot2_f32_f16 v50, v21, v66, v50
	;;#ASMEND
	;; [unrolled: 13-line block ×5, first 2 shown]
	;;#ASMSTART
	v_dot2_f32_f16 v54, v75, v63, v54
	;;#ASMEND
	;;#ASMSTART
	v_dot2_f32_f16 v54, v76, v64, v54
	;;#ASMEND
	;; [unrolled: 3-line block ×12, first 2 shown]
	ds_load_b128 v[18:21], v190 offset:112
	ds_load_b128 v[22:25], v191 offset:368
	ds_load_b128 v[63:66], v191 offset:880
	ds_load_b128 v[67:70], v191 offset:1392
	ds_load_b128 v[71:74], v191 offset:1904
	ds_load_b128 v[75:78], v190 offset:8816
	s_waitcnt lgkmcnt(4)
	;;#ASMSTART
	v_dot2_f32_f16 v49, v18, v22, v49
	;;#ASMEND
	;;#ASMSTART
	v_dot2_f32_f16 v49, v19, v23, v49
	;;#ASMEND
	;;#ASMSTART
	v_dot2_f32_f16 v49, v20, v24, v49
	;;#ASMEND
	;;#ASMSTART
	v_dot2_f32_f16 v49, v21, v25, v49
	;;#ASMEND
	s_waitcnt lgkmcnt(3)
	;;#ASMSTART
	v_dot2_f32_f16 v50, v18, v63, v50
	;;#ASMEND
	;;#ASMSTART
	v_dot2_f32_f16 v50, v19, v64, v50
	;;#ASMEND
	;;#ASMSTART
	v_dot2_f32_f16 v50, v20, v65, v50
	;;#ASMEND
	;;#ASMSTART
	v_dot2_f32_f16 v50, v21, v66, v50
	;;#ASMEND
	;; [unrolled: 13-line block ×5, first 2 shown]
	;;#ASMSTART
	v_dot2_f32_f16 v54, v75, v63, v54
	;;#ASMEND
	;;#ASMSTART
	v_dot2_f32_f16 v54, v76, v64, v54
	;;#ASMEND
	;; [unrolled: 3-line block ×12, first 2 shown]
	ds_load_b128 v[18:21], v190 offset:128
	ds_load_b128 v[22:25], v191 offset:384
	;; [unrolled: 1-line block ×6, first 2 shown]
	s_waitcnt lgkmcnt(4)
	;;#ASMSTART
	v_dot2_f32_f16 v49, v18, v22, v49
	;;#ASMEND
	;;#ASMSTART
	v_dot2_f32_f16 v49, v19, v23, v49
	;;#ASMEND
	;;#ASMSTART
	v_dot2_f32_f16 v49, v20, v24, v49
	;;#ASMEND
	;;#ASMSTART
	v_dot2_f32_f16 v49, v21, v25, v49
	;;#ASMEND
	s_waitcnt lgkmcnt(3)
	;;#ASMSTART
	v_dot2_f32_f16 v50, v18, v63, v50
	;;#ASMEND
	;;#ASMSTART
	v_dot2_f32_f16 v50, v19, v64, v50
	;;#ASMEND
	;;#ASMSTART
	v_dot2_f32_f16 v50, v20, v65, v50
	;;#ASMEND
	;;#ASMSTART
	v_dot2_f32_f16 v50, v21, v66, v50
	;;#ASMEND
	;; [unrolled: 13-line block ×5, first 2 shown]
	;;#ASMSTART
	v_dot2_f32_f16 v54, v75, v63, v54
	;;#ASMEND
	;;#ASMSTART
	v_dot2_f32_f16 v54, v76, v64, v54
	;;#ASMEND
	;; [unrolled: 3-line block ×12, first 2 shown]
	ds_load_b128 v[18:21], v190 offset:144
	ds_load_b128 v[22:25], v191 offset:400
	;; [unrolled: 1-line block ×6, first 2 shown]
	s_waitcnt lgkmcnt(4)
	;;#ASMSTART
	v_dot2_f32_f16 v49, v18, v22, v49
	;;#ASMEND
	;;#ASMSTART
	v_dot2_f32_f16 v49, v19, v23, v49
	;;#ASMEND
	;;#ASMSTART
	v_dot2_f32_f16 v49, v20, v24, v49
	;;#ASMEND
	;;#ASMSTART
	v_dot2_f32_f16 v49, v21, v25, v49
	;;#ASMEND
	s_waitcnt lgkmcnt(3)
	;;#ASMSTART
	v_dot2_f32_f16 v50, v18, v63, v50
	;;#ASMEND
	;;#ASMSTART
	v_dot2_f32_f16 v50, v19, v64, v50
	;;#ASMEND
	;;#ASMSTART
	v_dot2_f32_f16 v50, v20, v65, v50
	;;#ASMEND
	;;#ASMSTART
	v_dot2_f32_f16 v50, v21, v66, v50
	;;#ASMEND
	;; [unrolled: 13-line block ×5, first 2 shown]
	;;#ASMSTART
	v_dot2_f32_f16 v54, v75, v63, v54
	;;#ASMEND
	;;#ASMSTART
	v_dot2_f32_f16 v54, v76, v64, v54
	;;#ASMEND
	;; [unrolled: 3-line block ×12, first 2 shown]
	ds_load_b128 v[18:21], v190 offset:160
	ds_load_b128 v[22:25], v191 offset:416
	;; [unrolled: 1-line block ×6, first 2 shown]
	s_waitcnt lgkmcnt(4)
	;;#ASMSTART
	v_dot2_f32_f16 v49, v18, v22, v49
	;;#ASMEND
	;;#ASMSTART
	v_dot2_f32_f16 v49, v19, v23, v49
	;;#ASMEND
	;;#ASMSTART
	v_dot2_f32_f16 v49, v20, v24, v49
	;;#ASMEND
	;;#ASMSTART
	v_dot2_f32_f16 v49, v21, v25, v49
	;;#ASMEND
	s_waitcnt lgkmcnt(3)
	;;#ASMSTART
	v_dot2_f32_f16 v50, v18, v63, v50
	;;#ASMEND
	;;#ASMSTART
	v_dot2_f32_f16 v50, v19, v64, v50
	;;#ASMEND
	;;#ASMSTART
	v_dot2_f32_f16 v50, v20, v65, v50
	;;#ASMEND
	;;#ASMSTART
	v_dot2_f32_f16 v50, v21, v66, v50
	;;#ASMEND
	;; [unrolled: 13-line block ×5, first 2 shown]
	;;#ASMSTART
	v_dot2_f32_f16 v54, v75, v63, v54
	;;#ASMEND
	;;#ASMSTART
	v_dot2_f32_f16 v54, v76, v64, v54
	;;#ASMEND
	;; [unrolled: 3-line block ×12, first 2 shown]
	ds_load_b128 v[18:21], v190 offset:176
	ds_load_b128 v[22:25], v191 offset:432
	;; [unrolled: 1-line block ×6, first 2 shown]
	s_waitcnt lgkmcnt(4)
	;;#ASMSTART
	v_dot2_f32_f16 v49, v18, v22, v49
	;;#ASMEND
	;;#ASMSTART
	v_dot2_f32_f16 v49, v19, v23, v49
	;;#ASMEND
	;;#ASMSTART
	v_dot2_f32_f16 v49, v20, v24, v49
	;;#ASMEND
	;;#ASMSTART
	v_dot2_f32_f16 v49, v21, v25, v49
	;;#ASMEND
	s_waitcnt lgkmcnt(3)
	;;#ASMSTART
	v_dot2_f32_f16 v50, v18, v63, v50
	;;#ASMEND
	;;#ASMSTART
	v_dot2_f32_f16 v50, v19, v64, v50
	;;#ASMEND
	;;#ASMSTART
	v_dot2_f32_f16 v50, v20, v65, v50
	;;#ASMEND
	;;#ASMSTART
	v_dot2_f32_f16 v50, v21, v66, v50
	;;#ASMEND
	;; [unrolled: 13-line block ×5, first 2 shown]
	;;#ASMSTART
	v_dot2_f32_f16 v54, v75, v63, v54
	;;#ASMEND
	;;#ASMSTART
	v_dot2_f32_f16 v54, v76, v64, v54
	;;#ASMEND
	;; [unrolled: 3-line block ×12, first 2 shown]
	ds_load_b128 v[18:21], v190 offset:192
	ds_load_b128 v[22:25], v191 offset:448
	;; [unrolled: 1-line block ×6, first 2 shown]
	s_waitcnt lgkmcnt(4)
	;;#ASMSTART
	v_dot2_f32_f16 v49, v18, v22, v49
	;;#ASMEND
	;;#ASMSTART
	v_dot2_f32_f16 v49, v19, v23, v49
	;;#ASMEND
	;;#ASMSTART
	v_dot2_f32_f16 v49, v20, v24, v49
	;;#ASMEND
	;;#ASMSTART
	v_dot2_f32_f16 v49, v21, v25, v49
	;;#ASMEND
	s_waitcnt lgkmcnt(3)
	;;#ASMSTART
	v_dot2_f32_f16 v50, v18, v63, v50
	;;#ASMEND
	;;#ASMSTART
	v_dot2_f32_f16 v50, v19, v64, v50
	;;#ASMEND
	;;#ASMSTART
	v_dot2_f32_f16 v50, v20, v65, v50
	;;#ASMEND
	;;#ASMSTART
	v_dot2_f32_f16 v50, v21, v66, v50
	;;#ASMEND
	;; [unrolled: 13-line block ×5, first 2 shown]
	;;#ASMSTART
	v_dot2_f32_f16 v54, v75, v63, v54
	;;#ASMEND
	;;#ASMSTART
	v_dot2_f32_f16 v54, v76, v64, v54
	;;#ASMEND
	;; [unrolled: 3-line block ×12, first 2 shown]
	ds_load_b128 v[18:21], v190 offset:208
	ds_load_b128 v[22:25], v191 offset:464
	;; [unrolled: 1-line block ×6, first 2 shown]
	s_waitcnt lgkmcnt(4)
	;;#ASMSTART
	v_dot2_f32_f16 v49, v18, v22, v49
	;;#ASMEND
	;;#ASMSTART
	v_dot2_f32_f16 v49, v19, v23, v49
	;;#ASMEND
	;;#ASMSTART
	v_dot2_f32_f16 v49, v20, v24, v49
	;;#ASMEND
	;;#ASMSTART
	v_dot2_f32_f16 v49, v21, v25, v49
	;;#ASMEND
	s_waitcnt lgkmcnt(3)
	;;#ASMSTART
	v_dot2_f32_f16 v50, v18, v63, v50
	;;#ASMEND
	;;#ASMSTART
	v_dot2_f32_f16 v50, v19, v64, v50
	;;#ASMEND
	;;#ASMSTART
	v_dot2_f32_f16 v50, v20, v65, v50
	;;#ASMEND
	;;#ASMSTART
	v_dot2_f32_f16 v50, v21, v66, v50
	;;#ASMEND
	;; [unrolled: 13-line block ×5, first 2 shown]
	;;#ASMSTART
	v_dot2_f32_f16 v54, v75, v63, v54
	;;#ASMEND
	;;#ASMSTART
	v_dot2_f32_f16 v54, v76, v64, v54
	;;#ASMEND
	;; [unrolled: 3-line block ×12, first 2 shown]
	ds_load_b128 v[18:21], v190 offset:224
	ds_load_b128 v[22:25], v191 offset:480
	;; [unrolled: 1-line block ×6, first 2 shown]
	s_waitcnt lgkmcnt(4)
	;;#ASMSTART
	v_dot2_f32_f16 v49, v18, v22, v49
	;;#ASMEND
	;;#ASMSTART
	v_dot2_f32_f16 v49, v19, v23, v49
	;;#ASMEND
	;;#ASMSTART
	v_dot2_f32_f16 v49, v20, v24, v49
	;;#ASMEND
	;;#ASMSTART
	v_dot2_f32_f16 v49, v21, v25, v49
	;;#ASMEND
	s_waitcnt lgkmcnt(3)
	;;#ASMSTART
	v_dot2_f32_f16 v50, v18, v63, v50
	;;#ASMEND
	;;#ASMSTART
	v_dot2_f32_f16 v50, v19, v64, v50
	;;#ASMEND
	;;#ASMSTART
	v_dot2_f32_f16 v50, v20, v65, v50
	;;#ASMEND
	;;#ASMSTART
	v_dot2_f32_f16 v50, v21, v66, v50
	;;#ASMEND
	;; [unrolled: 13-line block ×5, first 2 shown]
	;;#ASMSTART
	v_dot2_f32_f16 v54, v75, v63, v54
	;;#ASMEND
	;;#ASMSTART
	v_dot2_f32_f16 v54, v76, v64, v54
	;;#ASMEND
	;; [unrolled: 3-line block ×12, first 2 shown]
	ds_load_b128 v[18:21], v190 offset:240
	ds_load_b128 v[22:25], v191 offset:496
	;; [unrolled: 1-line block ×6, first 2 shown]
	s_waitcnt lgkmcnt(4)
	;;#ASMSTART
	v_dot2_f32_f16 v49, v18, v22, v49
	;;#ASMEND
	;;#ASMSTART
	v_dot2_f32_f16 v49, v19, v23, v49
	;;#ASMEND
	;;#ASMSTART
	v_dot2_f32_f16 v49, v20, v24, v49
	;;#ASMEND
	;;#ASMSTART
	v_dot2_f32_f16 v49, v21, v25, v49
	;;#ASMEND
	s_waitcnt lgkmcnt(3)
	;;#ASMSTART
	v_dot2_f32_f16 v50, v18, v63, v50
	;;#ASMEND
	;;#ASMSTART
	v_dot2_f32_f16 v50, v19, v64, v50
	;;#ASMEND
	;;#ASMSTART
	v_dot2_f32_f16 v50, v20, v65, v50
	;;#ASMEND
	;;#ASMSTART
	v_dot2_f32_f16 v50, v21, v66, v50
	;;#ASMEND
	;; [unrolled: 13-line block ×5, first 2 shown]
	;;#ASMSTART
	v_dot2_f32_f16 v54, v75, v63, v54
	;;#ASMEND
	;;#ASMSTART
	v_dot2_f32_f16 v54, v76, v64, v54
	;;#ASMEND
	;; [unrolled: 3-line block ×12, first 2 shown]
	s_clause 0x1
	flat_load_u16 v63, v[16:17]
	flat_load_u16 v64, v[16:17] offset:64
	s_waitcnt vmcnt(0) lgkmcnt(0)
	s_barrier
	buffer_gl0_inv
	s_clause 0x3
	global_load_b128 v[14:17], v[14:15], off
	global_load_b128 v[18:21], v[0:1], off
	;; [unrolled: 1-line block ×4, first 2 shown]
	s_waitcnt vmcnt(3)
	ds_store_b128 v195, v[14:17]
	s_waitcnt vmcnt(2)
	ds_store_b128 v196, v[18:21]
	;; [unrolled: 2-line block ×4, first 2 shown]
	v_cvt_f32_f16_e32 v12, v63
	v_cvt_f32_f16_e32 v13, v64
	s_delay_alu instid0(VALU_DEP_2) | instskip(NEXT) | instid1(VALU_DEP_2)
	v_add_f32_e32 v14, v50, v12
	v_add_f32_e32 v16, v54, v13
	;; [unrolled: 1-line block ×9, first 2 shown]
	v_dual_add_f32 v23, 0x40051340, v13 :: v_dual_add_f32 v12, v51, v12
	s_delay_alu instid0(VALU_DEP_3) | instskip(NEXT) | instid1(VALU_DEP_3)
	v_dual_add_f32 v0, 0x40051340, v15 :: v_dual_add_f32 v21, 0x40051340, v18
	v_max3_f32 v1, v47, v1, v3
	v_add_f32_e32 v22, 0x40051340, v19
	s_delay_alu instid0(VALU_DEP_4) | instskip(NEXT) | instid1(VALU_DEP_1)
	v_add_f32_e32 v20, 0x40051340, v12
	v_max3_f32 v3, v46, v20, v23
	ds_bpermute_b32 v23, v62, v3
	s_waitcnt lgkmcnt(0)
	v_dual_add_f32 v2, 0x40051340, v17 :: v_dual_max_f32 v23, v23, v23
	s_delay_alu instid0(VALU_DEP_1)
	v_max3_f32 v0, v48, v0, v2
	v_max3_f32 v2, v45, v21, v22
	ds_bpermute_b32 v21, v62, v1
	v_max_f32_e32 v3, v3, v23
	ds_bpermute_b32 v20, v62, v0
	ds_bpermute_b32 v22, v62, v2
	ds_bpermute_b32 v23, v61, v3
	s_waitcnt lgkmcnt(2)
	v_dual_max_f32 v21, v21, v21 :: v_dual_max_f32 v20, v20, v20
	s_delay_alu instid0(VALU_DEP_1) | instskip(SKIP_1) | instid1(VALU_DEP_2)
	v_max_f32_e32 v1, v1, v21
	s_waitcnt lgkmcnt(0)
	v_dual_max_f32 v23, v23, v23 :: v_dual_max_f32 v0, v0, v20
	ds_bpermute_b32 v21, v61, v1
	v_dual_max_f32 v22, v22, v22 :: v_dual_max_f32 v3, v3, v23
	ds_bpermute_b32 v20, v61, v0
	ds_bpermute_b32 v23, v60, v3
	s_waitcnt lgkmcnt(2)
	v_dual_max_f32 v21, v21, v21 :: v_dual_max_f32 v2, v2, v22
	s_waitcnt lgkmcnt(1)
	s_delay_alu instid0(VALU_DEP_1)
	v_dual_max_f32 v20, v20, v20 :: v_dual_max_f32 v1, v1, v21
	ds_bpermute_b32 v22, v61, v2
	s_waitcnt lgkmcnt(1)
	v_dual_max_f32 v23, v23, v23 :: v_dual_max_f32 v0, v0, v20
	ds_bpermute_b32 v21, v60, v1
	v_max_f32_e32 v3, v3, v23
	ds_bpermute_b32 v20, v60, v0
	ds_bpermute_b32 v23, v59, v3
	s_waitcnt lgkmcnt(2)
	v_dual_max_f32 v22, v22, v22 :: v_dual_max_f32 v21, v21, v21
	s_delay_alu instid0(VALU_DEP_1) | instskip(SKIP_1) | instid1(VALU_DEP_2)
	v_max_f32_e32 v2, v2, v22
	s_waitcnt lgkmcnt(1)
	v_dual_max_f32 v20, v20, v20 :: v_dual_max_f32 v1, v1, v21
	ds_bpermute_b32 v22, v60, v2
	s_waitcnt lgkmcnt(1)
	v_dual_max_f32 v23, v23, v23 :: v_dual_max_f32 v0, v0, v20
	ds_bpermute_b32 v21, v59, v1
	ds_bpermute_b32 v20, v59, v0
	s_waitcnt lgkmcnt(1)
	v_dual_max_f32 v22, v22, v22 :: v_dual_max_f32 v21, v21, v21
	s_delay_alu instid0(VALU_DEP_1) | instskip(SKIP_1) | instid1(VALU_DEP_2)
	v_max_f32_e32 v2, v2, v22
	s_waitcnt lgkmcnt(0)
	v_dual_max_f32 v20, v20, v20 :: v_dual_max_f32 v1, v1, v21
	ds_bpermute_b32 v22, v59, v2
	v_max_f32_e32 v0, v0, v20
	ds_bpermute_b32 v21, v58, v1
	s_waitcnt lgkmcnt(0)
	v_dual_max_f32 v22, v22, v22 :: v_dual_max_f32 v21, v21, v21
	s_delay_alu instid0(VALU_DEP_1) | instskip(SKIP_2) | instid1(VALU_DEP_1)
	v_dual_max_f32 v2, v2, v22 :: v_dual_max_f32 v1, v1, v21
	ds_bpermute_b32 v22, v58, v2
	v_sub_f32_e32 v21, v47, v1
	v_cmp_ngt_f32_e64 s5, 0xc2ce8ed0, v21
	v_cmp_nlt_f32_e64 s18, 0x42b17218, v21
	s_waitcnt lgkmcnt(0)
	v_max_f32_e32 v22, v22, v22
	v_max_f32_e32 v20, v3, v23
	ds_bpermute_b32 v23, v58, v20
	s_waitcnt lgkmcnt(0)
	v_max_f32_e32 v23, v23, v23
	ds_bpermute_b32 v3, v58, v0
	s_waitcnt lgkmcnt(0)
	v_max_f32_e32 v3, v3, v3
	s_delay_alu instid0(VALU_DEP_1) | instskip(NEXT) | instid1(VALU_DEP_1)
	v_max_f32_e32 v0, v0, v3
	v_sub_f32_e32 v17, v17, v0
	v_dual_max_f32 v3, v2, v22 :: v_dual_max_f32 v2, v20, v23
	v_dual_sub_f32 v15, v15, v0 :: v_dual_sub_f32 v14, v14, v1
	s_delay_alu instid0(VALU_DEP_2) | instskip(NEXT) | instid1(VALU_DEP_3)
	v_dual_sub_f32 v16, v16, v1 :: v_dual_sub_f32 v19, v19, v3
	v_dual_sub_f32 v22, v46, v2 :: v_dual_sub_f32 v23, v45, v3
	s_delay_alu instid0(VALU_DEP_3) | instskip(SKIP_1) | instid1(VALU_DEP_4)
	v_dual_mul_f32 v45, 0x3fb8aa3b, v15 :: v_dual_sub_f32 v20, v48, v0
	v_dual_sub_f32 v13, v13, v2 :: v_dual_mul_f32 v48, 0x3fb8aa3b, v21
	v_mul_f32_e32 v53, 0x3fb8aa3b, v19
	s_delay_alu instid0(VALU_DEP_3)
	v_fma_f32 v60, 0x3fb8aa3b, v15, -v45
	v_rndne_f32_e32 v61, v45
	v_mul_f32_e32 v52, 0x3fb8aa3b, v22
	v_cmp_ngt_f32_e64 s2, 0xc2ce8ed0, v15
	v_cmp_nlt_f32_e64 s15, 0x42b17218, v15
	v_rndne_f32_e32 v77, v53
	v_dual_fmac_f32 v60, 0x32a5705f, v15 :: v_dual_sub_f32 v15, v45, v61
	v_fma_f32 v74, 0x3fb8aa3b, v22, -v52
	v_rndne_f32_e32 v75, v52
	v_cmp_ngt_f32_e64 s9, 0xc2ce8ed0, v22
	v_cmp_nlt_f32_e64 s22, 0x42b17218, v22
	v_dual_sub_f32 v12, v12, v2 :: v_dual_mul_f32 v47, 0x3fb8aa3b, v16
	v_fmac_f32_e32 v74, 0x32a5705f, v22
	v_sub_f32_e32 v22, v52, v75
	v_cvt_i32_f32_e32 v52, v75
	s_delay_alu instid0(VALU_DEP_4) | instskip(SKIP_1) | instid1(VALU_DEP_4)
	v_dual_mul_f32 v24, 0x3fb8aa3b, v17 :: v_dual_mul_f32 v51, 0x3fb8aa3b, v12
	v_dual_mul_f32 v46, 0x3fb8aa3b, v20 :: v_dual_mul_f32 v49, 0x3fb8aa3b, v13
	v_add_f32_e32 v22, v22, v74
	v_dual_sub_f32 v18, v18, v3 :: v_dual_mul_f32 v25, 0x3fb8aa3b, v14
	s_delay_alu instid0(VALU_DEP_4) | instskip(SKIP_1) | instid1(VALU_DEP_4)
	v_fma_f32 v55, 0x3fb8aa3b, v17, -v24
	v_rndne_f32_e32 v56, v24
	v_exp_f32_e32 v22, v22
	v_fma_f32 v68, 0x3fb8aa3b, v13, -v49
	v_rndne_f32_e32 v69, v49
	v_fma_f32 v76, 0x3fb8aa3b, v19, -v53
	v_mul_f32_e32 v50, 0x3fb8aa3b, v18
	v_mul_f32_e32 v54, 0x3fb8aa3b, v23
	v_cmp_ngt_f32_e64 s6, 0xc2ce8ed0, v13
	v_cmp_ngt_f32_e64 s10, 0xc2ce8ed0, v19
	;; [unrolled: 1-line block ×3, first 2 shown]
	v_cmp_nlt_f32_e64 s19, 0x42b17218, v13
	v_ldexp_f32 v22, v22, v52
	v_cmp_nlt_f32_e64 s23, 0x42b17218, v19
	v_cmp_nlt_f32_e64 s25, 0x42b17218, v17
	v_fma_f32 v58, 0x3fb8aa3b, v14, -v25
	v_rndne_f32_e32 v59, v25
	v_cndmask_b32_e64 v22, 0, v22, s9
	v_fma_f32 v62, 0x3fb8aa3b, v20, -v46
	v_rndne_f32_e32 v63, v46
	v_fma_f32 v64, 0x3fb8aa3b, v16, -v47
	v_rndne_f32_e32 v65, v47
	;; [unrolled: 2-line block ×3, first 2 shown]
	v_dual_fmac_f32 v55, 0x32a5705f, v17 :: v_dual_fmac_f32 v58, 0x32a5705f, v14
	v_sub_f32_e32 v17, v24, v56
	v_cndmask_b32_e64 v22, 0x7f800000, v22, s22
	v_dual_fmac_f32 v76, 0x32a5705f, v19 :: v_dual_sub_f32 v19, v53, v77
	v_fmac_f32_e32 v68, 0x32a5705f, v13
	v_sub_f32_e32 v13, v49, v69
	v_cmp_ngt_f32_e32 vcc_lo, 0xc2ce8ed0, v14
	v_cmp_ngt_f32_e64 s3, 0xc2ce8ed0, v20
	v_add_f32_e32 v19, v19, v76
	v_cmp_ngt_f32_e64 s4, 0xc2ce8ed0, v16
	v_cmp_nlt_f32_e64 s13, 0x42b17218, v14
	v_cmp_nlt_f32_e64 s16, 0x42b17218, v20
	;; [unrolled: 1-line block ×3, first 2 shown]
	v_rndne_f32_e32 v79, v54
	v_dual_sub_f32 v14, v25, v59 :: v_dual_add_f32 v15, v15, v60
	v_fmac_f32_e32 v62, 0x32a5705f, v20
	v_fmac_f32_e32 v64, 0x32a5705f, v16
	v_dual_sub_f32 v16, v47, v65 :: v_dual_add_f32 v17, v17, v55
	v_dual_fmac_f32 v66, 0x32a5705f, v21 :: v_dual_add_f32 v13, v13, v68
	v_sub_f32_e32 v21, v48, v67
	v_sub_f32_e32 v20, v46, v63
	s_delay_alu instid0(VALU_DEP_4)
	v_exp_f32_e32 v17, v17
	v_exp_f32_e32 v15, v15
	v_cvt_i32_f32_e32 v24, v56
	v_add_f32_e32 v21, v21, v66
	v_add_f32_e32 v20, v20, v62
	v_cvt_i32_f32_e32 v45, v61
	v_exp_f32_e32 v13, v13
	v_cvt_i32_f32_e32 v46, v63
	v_cvt_i32_f32_e32 v49, v69
	v_exp_f32_e32 v20, v20
	v_ldexp_f32 v17, v17, v24
	v_ldexp_f32 v15, v15, v45
	v_fma_f32 v70, 0x3fb8aa3b, v18, -v50
	v_rndne_f32_e32 v71, v50
	v_fma_f32 v72, 0x3fb8aa3b, v12, -v51
	v_cndmask_b32_e64 v17, 0, v17, s12
	v_ldexp_f32 v13, v13, v49
	v_cndmask_b32_e64 v15, 0, v15, s2
	v_rndne_f32_e32 v73, v51
	v_ldexp_f32 v20, v20, v46
	v_fma_f32 v78, 0x3fb8aa3b, v23, -v54
	v_cndmask_b32_e64 v13, 0, v13, s6
	v_cndmask_b32_e64 v17, 0x7f800000, v17, s25
	v_cndmask_b32_e64 v15, 0x7f800000, v15, s15
	v_cndmask_b32_e64 v20, 0, v20, s3
	v_cmp_ngt_f32_e64 s7, 0xc2ce8ed0, v18
	v_cmp_ngt_f32_e64 s8, 0xc2ce8ed0, v12
	;; [unrolled: 1-line block ×3, first 2 shown]
	v_cmp_nlt_f32_e64 s20, 0x42b17218, v18
	v_cmp_nlt_f32_e64 s21, 0x42b17218, v12
	;; [unrolled: 1-line block ×3, first 2 shown]
	v_dual_fmac_f32 v70, 0x32a5705f, v18 :: v_dual_add_f32 v209, v15, v17
	v_fmac_f32_e32 v78, 0x32a5705f, v23
	v_sub_f32_e32 v23, v54, v79
	v_sub_f32_e32 v18, v50, v71
	v_cndmask_b32_e64 v20, 0x7f800000, v20, s16
	v_cndmask_b32_e64 v13, 0x7f800000, v13, s19
	v_fmac_f32_e32 v72, 0x32a5705f, v12
	v_sub_f32_e32 v12, v51, v73
	s_delay_alu instid0(VALU_DEP_4) | instskip(SKIP_2) | instid1(VALU_DEP_4)
	v_dual_add_f32 v14, v14, v58 :: v_dual_fmac_f32 v209, v44, v20
	v_dual_add_f32 v16, v16, v64 :: v_dual_add_f32 v23, v23, v78
	v_add_f32_e32 v18, v18, v70
	v_add_f32_e32 v12, v12, v72
	s_delay_alu instid0(VALU_DEP_4) | instskip(NEXT) | instid1(VALU_DEP_3)
	v_exp_f32_e32 v14, v14
	v_exp_f32_e32 v16, v16
	;; [unrolled: 1-line block ×5, first 2 shown]
	v_cvt_i32_f32_e32 v25, v59
	v_cvt_i32_f32_e32 v47, v65
	;; [unrolled: 1-line block ×5, first 2 shown]
	v_exp_f32_e32 v21, v21
	v_exp_f32_e32 v23, v23
	v_cvt_i32_f32_e32 v48, v67
	v_cvt_i32_f32_e32 v54, v79
	v_ldexp_f32 v14, v14, v25
	v_ldexp_f32 v16, v16, v47
	;; [unrolled: 1-line block ×5, first 2 shown]
	v_cndmask_b32_e32 v14, 0, v14, vcc_lo
	v_ldexp_f32 v21, v21, v48
	v_ldexp_f32 v23, v23, v54
	v_cndmask_b32_e64 v16, 0, v16, s4
	v_cndmask_b32_e64 v18, 0, v18, s7
	;; [unrolled: 1-line block ×13, first 2 shown]
	v_cvt_f16_f32_e32 v17, v17
	v_cvt_f16_f32_e32 v24, v14
	;; [unrolled: 1-line block ×3, first 2 shown]
	v_add_f32_e32 v210, v14, v16
	v_cvt_f16_f32_e32 v14, v16
	v_add_f32_e32 v211, v12, v13
	v_cvt_f16_f32_e32 v16, v13
	v_cvt_f16_f32_e32 v13, v18
	;; [unrolled: 1-line block ×3, first 2 shown]
	v_add_f32_e32 v208, v18, v19
	v_cvt_f16_f32_e32 v18, v19
	v_cvt_f16_f32_e64 v159, v20
	v_cvt_f16_f32_e64 v220, v21
	v_cvt_f16_f32_e64 v221, v22
	v_cvt_f16_f32_e32 v19, v23
	v_pack_b32_f16 v13, v12, v13
	v_pack_b32_f16 v12, v15, v24
	;; [unrolled: 1-line block ×4, first 2 shown]
	v_pk_mul_f16 v222, v159, v41 op_sel_hi:[0,1]
	v_pk_mul_f16 v223, v159, v39 op_sel_hi:[0,1]
	;; [unrolled: 1-line block ×3, first 2 shown]
	v_fmac_f32_e32 v210, v43, v21
	v_pk_mul_f16 v37, v220, v37 op_sel_hi:[0,1]
	v_pk_mul_f16 v35, v220, v35 op_sel_hi:[0,1]
	;; [unrolled: 1-line block ×3, first 2 shown]
	v_fmac_f32_e32 v211, v42, v22
	v_pk_mul_f16 v33, v221, v33 op_sel_hi:[0,1]
	v_pk_mul_f16 v31, v221, v31 op_sel_hi:[0,1]
	v_pk_mul_f16 v32, v221, v32 op_sel_hi:[0,1]
	v_pk_mul_f16 v28, v19, v28 op_sel_hi:[0,1]
	v_pk_mul_f16 v29, v19, v29 op_sel_hi:[0,1]
	v_pk_mul_f16 v225, v19, v27 op_sel_hi:[0,1]
	v_pk_mul_f16 v226, v19, v26 op_sel_hi:[0,1]
	v_fmac_f32_e32 v208, v57, v23
	ds_store_2addr_b64 v200, v[12:13], v[14:15] offset1:32
	s_waitcnt lgkmcnt(0)
	s_barrier
	buffer_gl0_inv
	ds_load_2addr_b64 v[12:15], v194 offset1:32
	ds_load_b128 v[16:19], v193
	ds_load_b128 v[20:23], v193 offset:16
	ds_load_b128 v[24:27], v193 offset:32
	ds_load_b128 v[39:42], v193 offset:48
	ds_load_2addr_b64 v[43:46], v194 offset0:64 offset1:96
	ds_load_2addr_b64 v[47:50], v194 offset0:128 offset1:160
	;; [unrolled: 1-line block ×3, first 2 shown]
	ds_load_2addr_b64 v[55:58], v201 offset1:32
	ds_load_2addr_b64 v[59:62], v201 offset0:64 offset1:96
	ds_load_2addr_b64 v[63:66], v201 offset0:128 offset1:160
	;; [unrolled: 1-line block ×3, first 2 shown]
	ds_load_2addr_b64 v[71:74], v202 offset1:32
	ds_load_2addr_b64 v[75:78], v202 offset0:64 offset1:96
	ds_load_2addr_b64 v[79:82], v202 offset0:128 offset1:160
	ds_load_b128 v[83:86], v193 offset:64
	ds_load_b128 v[87:90], v193 offset:80
	ds_load_2addr_b64 v[91:94], v202 offset0:192 offset1:224
	ds_load_2addr_b64 v[95:98], v203 offset1:32
	ds_load_2addr_b64 v[99:102], v203 offset0:64 offset1:96
	ds_load_2addr_b64 v[103:106], v203 offset0:128 offset1:160
	ds_load_b128 v[107:110], v193 offset:96
	ds_load_b128 v[111:114], v193 offset:112
	ds_load_2addr_b64 v[115:118], v203 offset0:192 offset1:224
	;; [unrolled: 6-line block ×4, first 2 shown]
	s_waitcnt lgkmcnt(34)
	v_pk_mul_f16 v227, v12, v16 op_sel_hi:[1,0]
	v_pk_mul_f16 v228, v12, v16 op_sel:[0,1]
	v_pk_mul_f16 v229, v12, v17 op_sel_hi:[1,0]
	v_pk_fma_f16 v28, v12, v17, v28 op_sel:[0,1,0]
	v_pk_fma_f16 v222, v13, v16, v222 op_sel_hi:[1,0,1]
	v_pk_fma_f16 v37, v13, v16, v37 op_sel:[0,1,0]
	v_pk_fma_f16 v230, v13, v17, v33 op_sel_hi:[1,0,1]
	;; [unrolled: 2-line block ×7, first 2 shown]
	v_pk_fma_f16 v159, v220, v34, v228 op_sel_hi:[0,1,1]
	v_pk_fma_f16 v30, v221, v30, v229 op_sel_hi:[0,1,1]
	s_waitcnt lgkmcnt(30)
	v_pk_fma_f16 v28, v43, v19, v28 op_sel:[0,1,0]
	v_pk_fma_f16 v220, v44, v18, v222 op_sel_hi:[1,0,1]
	v_pk_fma_f16 v221, v44, v18, v37 op_sel:[0,1,0]
	v_pk_fma_f16 v222, v44, v19, v230 op_sel_hi:[1,0,1]
	v_pk_fma_f16 v29, v44, v19, v29 op_sel:[0,1,0]
	v_pk_fma_f16 v44, v45, v18, v223 op_sel_hi:[1,0,1]
	v_pk_fma_f16 v223, v45, v18, v35 op_sel:[0,1,0]
	v_pk_fma_f16 v226, v45, v19, v231 op_sel_hi:[1,0,1]
	v_pk_fma_f16 v45, v45, v19, v225 op_sel:[0,1,0]
	v_pk_fma_f16 v224, v46, v18, v224 op_sel_hi:[1,0,1]
	v_pk_fma_f16 v225, v46, v18, v16 op_sel:[0,1,0]
	v_pk_fma_f16 v227, v46, v19, v36 op_sel_hi:[1,0,1]
	v_pk_fma_f16 v46, v46, v19, v17 op_sel:[0,1,0]
	v_pk_fma_f16 v228, v43, v18, v38 op_sel_hi:[1,0,1]
	v_pk_fma_f16 v159, v43, v18, v159 op_sel:[0,1,0]
	v_pk_fma_f16 v30, v43, v19, v30 op_sel_hi:[1,0,1]
	s_waitcnt lgkmcnt(29)
	v_pk_fma_f16 v28, v47, v21, v28 op_sel:[0,1,0]
	v_pk_fma_f16 v220, v48, v20, v220 op_sel_hi:[1,0,1]
	v_pk_fma_f16 v221, v48, v20, v221 op_sel:[0,1,0]
	v_pk_fma_f16 v222, v48, v21, v222 op_sel_hi:[1,0,1]
	v_pk_fma_f16 v29, v48, v21, v29 op_sel:[0,1,0]
	v_pk_fma_f16 v48, v49, v20, v44 op_sel_hi:[1,0,1]
	v_pk_fma_f16 v223, v49, v20, v223 op_sel:[0,1,0]
	v_pk_fma_f16 v226, v49, v21, v226 op_sel_hi:[1,0,1]
	v_pk_fma_f16 v49, v49, v21, v45 op_sel:[0,1,0]
	v_pk_fma_f16 v224, v50, v20, v224 op_sel_hi:[1,0,1]
	v_pk_fma_f16 v225, v50, v20, v225 op_sel:[0,1,0]
	v_pk_fma_f16 v227, v50, v21, v227 op_sel_hi:[1,0,1]
	v_pk_fma_f16 v50, v50, v21, v46 op_sel:[0,1,0]
	v_pk_fma_f16 v228, v47, v20, v228 op_sel_hi:[1,0,1]
	v_pk_fma_f16 v20, v47, v20, v159 op_sel:[0,1,0]
	;; [unrolled: 17-line block ×7, first 2 shown]
	v_pk_fma_f16 v231, v67, v42, v40 op_sel_hi:[1,0,1]
	ds_load_2addr_b64 v[12:15], v206 offset1:32
	ds_load_2addr_b64 v[31:34], v206 offset0:64 offset1:96
	ds_load_2addr_b64 v[16:19], v206 offset0:128 offset1:160
	ds_load_b128 v[35:38], v193 offset:192
	ds_load_b128 v[43:46], v193 offset:208
	ds_load_2addr_b64 v[20:23], v206 offset0:192 offset1:224
	ds_load_2addr_b64 v[47:50], v207 offset1:32
	ds_load_2addr_b64 v[51:54], v207 offset0:64 offset1:96
	ds_load_2addr_b64 v[24:27], v207 offset0:128 offset1:160
	ds_load_b128 v[55:58], v193 offset:224
	ds_load_b128 v[59:62], v193 offset:240
	ds_load_2addr_b64 v[39:42], v207 offset0:192 offset1:224
	s_waitcnt lgkmcnt(0)
	s_barrier
	buffer_gl0_inv
	s_clause 0x2
	global_load_b128 v[63:66], v[10:11], off
	global_load_b128 v[67:70], v[6:7], off
	;; [unrolled: 1-line block ×3, first 2 shown]
	v_pk_fma_f16 v10, v71, v84, v28 op_sel:[0,1,0]
	v_pk_fma_f16 v11, v72, v83, v30 op_sel_hi:[1,0,1]
	v_pk_fma_f16 v28, v72, v83, v159 op_sel:[0,1,0]
	v_pk_fma_f16 v30, v72, v84, v220 op_sel_hi:[1,0,1]
	;; [unrolled: 2-line block ×8, first 2 shown]
	global_load_b128 v[71:74], v[4:5], off
	v_pk_fma_f16 v4, v75, v86, v10 op_sel:[0,1,0]
	v_pk_fma_f16 v5, v76, v85, v11 op_sel_hi:[1,0,1]
	v_pk_fma_f16 v10, v76, v85, v28 op_sel:[0,1,0]
	v_pk_fma_f16 v11, v76, v86, v30 op_sel_hi:[1,0,1]
	;; [unrolled: 2-line block ×184, first 2 shown]
	s_waitcnt vmcnt(3)
	ds_store_b128 v195, v[63:66]
	s_waitcnt vmcnt(2)
	ds_store_b128 v196, v[67:70]
	;; [unrolled: 2-line block ×4, first 2 shown]
	s_waitcnt lgkmcnt(0)
	s_barrier
	buffer_gl0_inv
	ds_load_2addr_b64 v[156:159], v194 offset1:32
	ds_load_b128 v[148:151], v193 offset:256
	ds_load_b128 v[12:15], v193 offset:272
	;; [unrolled: 1-line block ×4, first 2 shown]
	ds_load_2addr_b64 v[152:155], v194 offset0:64 offset1:96
	ds_load_2addr_b64 v[128:131], v194 offset0:128 offset1:160
	;; [unrolled: 1-line block ×3, first 2 shown]
	ds_load_2addr_b64 v[88:91], v201 offset1:32
	ds_load_2addr_b64 v[28:31], v201 offset0:64 offset1:96
	ds_load_2addr_b64 v[16:19], v201 offset0:128 offset1:160
	;; [unrolled: 1-line block ×3, first 2 shown]
	ds_load_2addr_b64 v[32:35], v202 offset1:32
	ds_load_2addr_b64 v[36:39], v202 offset0:64 offset1:96
	ds_load_2addr_b64 v[40:43], v202 offset0:128 offset1:160
	ds_load_b128 v[64:67], v193 offset:320
	ds_load_b128 v[20:23], v193 offset:336
	ds_load_2addr_b64 v[48:51], v202 offset0:192 offset1:224
	ds_load_2addr_b64 v[52:55], v203 offset1:32
	ds_load_2addr_b64 v[56:59], v203 offset0:64 offset1:96
	ds_load_2addr_b64 v[60:63], v203 offset0:128 offset1:160
	ds_load_b128 v[92:95], v193 offset:352
	ds_load_b128 v[44:47], v193 offset:368
	ds_load_2addr_b64 v[72:75], v203 offset0:192 offset1:224
	;; [unrolled: 6-line block ×4, first 2 shown]
	ds_load_2addr_b64 v[132:135], v206 offset1:32
	ds_load_2addr_b64 v[136:139], v206 offset0:64 offset1:96
	ds_load_2addr_b64 v[140:143], v206 offset0:128 offset1:160
	s_waitcnt lgkmcnt(37)
	v_pk_fma_f16 v225, v156, v148, v225 op_sel_hi:[1,0,1]
	v_pk_fma_f16 v226, v156, v148, v226 op_sel:[0,1,0]
	v_pk_fma_f16 v227, v156, v149, v227 op_sel_hi:[1,0,1]
	v_pk_fma_f16 v212, v156, v149, v212 op_sel:[0,1,0]
	v_pk_fma_f16 v213, v157, v148, v213 op_sel_hi:[1,0,1]
	v_pk_fma_f16 v214, v157, v148, v214 op_sel:[0,1,0]
	v_pk_fma_f16 v215, v157, v149, v215 op_sel_hi:[1,0,1]
	v_pk_fma_f16 v216, v157, v149, v216 op_sel:[0,1,0]
	v_pk_fma_f16 v217, v158, v148, v217 op_sel_hi:[1,0,1]
	v_pk_fma_f16 v218, v158, v148, v218 op_sel:[0,1,0]
	v_pk_fma_f16 v219, v158, v149, v219 op_sel_hi:[1,0,1]
	v_pk_fma_f16 v220, v158, v149, v220 op_sel:[0,1,0]
	v_pk_fma_f16 v221, v159, v148, v221 op_sel_hi:[1,0,1]
	v_pk_fma_f16 v148, v159, v148, v222 op_sel:[0,1,0]
	v_pk_fma_f16 v222, v159, v149, v223 op_sel_hi:[1,0,1]
	v_pk_fma_f16 v149, v159, v149, v224 op_sel:[0,1,0]
	s_waitcnt lgkmcnt(33)
	v_pk_fma_f16 v223, v152, v150, v225 op_sel_hi:[1,0,1]
	v_pk_fma_f16 v224, v152, v150, v226 op_sel:[0,1,0]
	v_pk_fma_f16 v225, v152, v151, v227 op_sel_hi:[1,0,1]
	v_pk_fma_f16 v212, v152, v151, v212 op_sel:[0,1,0]
	v_pk_fma_f16 v213, v153, v150, v213 op_sel_hi:[1,0,1]
	v_pk_fma_f16 v214, v153, v150, v214 op_sel:[0,1,0]
	v_pk_fma_f16 v215, v153, v151, v215 op_sel_hi:[1,0,1]
	v_pk_fma_f16 v216, v153, v151, v216 op_sel:[0,1,0]
	v_pk_fma_f16 v217, v154, v150, v217 op_sel_hi:[1,0,1]
	v_pk_fma_f16 v218, v154, v150, v218 op_sel:[0,1,0]
	v_pk_fma_f16 v219, v154, v151, v219 op_sel_hi:[1,0,1]
	v_pk_fma_f16 v220, v154, v151, v220 op_sel:[0,1,0]
	v_pk_fma_f16 v221, v155, v150, v221 op_sel_hi:[1,0,1]
	v_pk_fma_f16 v226, v155, v150, v148 op_sel:[0,1,0]
	v_pk_fma_f16 v222, v155, v151, v222 op_sel_hi:[1,0,1]
	v_pk_fma_f16 v227, v155, v151, v149 op_sel:[0,1,0]
	;; [unrolled: 17-line block ×9, first 2 shown]
	v_pk_fma_f16 v7, v36, v66, v7 op_sel_hi:[1,0,1]
	v_pk_fma_f16 v19, v36, v66, v19 op_sel:[0,1,0]
	v_pk_fma_f16 v27, v36, v67, v27 op_sel_hi:[1,0,1]
	v_pk_fma_f16 v16, v36, v67, v16 op_sel:[0,1,0]
	v_pk_fma_f16 v24, v37, v66, v24 op_sel_hi:[1,0,1]
	v_pk_fma_f16 v28, v37, v66, v28 op_sel:[0,1,0]
	v_pk_fma_f16 v30, v37, v67, v30 op_sel_hi:[1,0,1]
	v_pk_fma_f16 v17, v37, v67, v17 op_sel:[0,1,0]
	v_pk_fma_f16 v25, v38, v66, v25 op_sel_hi:[1,0,1]
	v_pk_fma_f16 v29, v38, v66, v29 op_sel:[0,1,0]
	v_pk_fma_f16 v31, v38, v67, v31 op_sel_hi:[1,0,1]
	v_pk_fma_f16 v18, v38, v67, v18 op_sel:[0,1,0]
	v_pk_fma_f16 v26, v39, v66, v26 op_sel_hi:[1,0,1]
	v_pk_fma_f16 v4, v39, v66, v4 op_sel:[0,1,0]
	v_pk_fma_f16 v6, v39, v67, v6 op_sel_hi:[1,0,1]
	v_pk_fma_f16 v5, v39, v67, v5 op_sel:[0,1,0]
	s_waitcnt lgkmcnt(22)
	v_pk_fma_f16 v7, v40, v20, v7 op_sel_hi:[1,0,1]
	v_pk_fma_f16 v19, v40, v20, v19 op_sel:[0,1,0]
	v_pk_fma_f16 v27, v40, v21, v27 op_sel_hi:[1,0,1]
	v_pk_fma_f16 v16, v40, v21, v16 op_sel:[0,1,0]
	v_pk_fma_f16 v24, v41, v20, v24 op_sel_hi:[1,0,1]
	v_pk_fma_f16 v28, v41, v20, v28 op_sel:[0,1,0]
	v_pk_fma_f16 v30, v41, v21, v30 op_sel_hi:[1,0,1]
	v_pk_fma_f16 v17, v41, v21, v17 op_sel:[0,1,0]
	v_pk_fma_f16 v25, v42, v20, v25 op_sel_hi:[1,0,1]
	v_pk_fma_f16 v29, v42, v20, v29 op_sel:[0,1,0]
	v_pk_fma_f16 v31, v42, v21, v31 op_sel_hi:[1,0,1]
	v_pk_fma_f16 v18, v42, v21, v18 op_sel:[0,1,0]
	v_pk_fma_f16 v26, v43, v20, v26 op_sel_hi:[1,0,1]
	v_pk_fma_f16 v4, v43, v20, v4 op_sel:[0,1,0]
	v_pk_fma_f16 v6, v43, v21, v6 op_sel_hi:[1,0,1]
	v_pk_fma_f16 v5, v43, v21, v5 op_sel:[0,1,0]
	s_waitcnt lgkmcnt(21)
	;; [unrolled: 17-line block ×3, first 2 shown]
	v_pk_fma_f16 v7, v52, v92, v7 op_sel_hi:[1,0,1]
	v_pk_fma_f16 v19, v52, v92, v19 op_sel:[0,1,0]
	v_pk_fma_f16 v20, v52, v93, v20 op_sel_hi:[1,0,1]
	v_pk_fma_f16 v16, v52, v93, v16 op_sel:[0,1,0]
	;; [unrolled: 2-line block ×16, first 2 shown]
	s_waitcnt lgkmcnt(16)
	v_pk_fma_f16 v7, v60, v44, v7 op_sel_hi:[1,0,1]
	v_pk_fma_f16 v19, v60, v44, v19 op_sel:[0,1,0]
	v_pk_fma_f16 v20, v60, v45, v20 op_sel_hi:[1,0,1]
	v_pk_fma_f16 v16, v60, v45, v16 op_sel:[0,1,0]
	v_pk_fma_f16 v21, v61, v44, v21 op_sel_hi:[1,0,1]
	v_pk_fma_f16 v22, v61, v44, v22 op_sel:[0,1,0]
	v_pk_fma_f16 v23, v61, v45, v23 op_sel_hi:[1,0,1]
	v_pk_fma_f16 v17, v61, v45, v17 op_sel:[0,1,0]
	v_pk_fma_f16 v24, v62, v44, v24 op_sel_hi:[1,0,1]
	v_pk_fma_f16 v25, v62, v44, v25 op_sel:[0,1,0]
	v_pk_fma_f16 v27, v62, v45, v27 op_sel_hi:[1,0,1]
	v_pk_fma_f16 v18, v62, v45, v18 op_sel:[0,1,0]
	v_pk_fma_f16 v26, v63, v44, v26 op_sel_hi:[1,0,1]
	v_pk_fma_f16 v4, v63, v44, v4 op_sel:[0,1,0]
	v_pk_fma_f16 v6, v63, v45, v6 op_sel_hi:[1,0,1]
	v_pk_fma_f16 v5, v63, v45, v5 op_sel:[0,1,0]
	s_waitcnt lgkmcnt(15)
	v_pk_fma_f16 v7, v72, v46, v7 op_sel_hi:[1,0,1]
	v_pk_fma_f16 v19, v72, v46, v19 op_sel:[0,1,0]
	v_pk_fma_f16 v20, v72, v47, v20 op_sel_hi:[1,0,1]
	v_pk_fma_f16 v16, v72, v47, v16 op_sel:[0,1,0]
	v_pk_fma_f16 v21, v73, v46, v21 op_sel_hi:[1,0,1]
	v_pk_fma_f16 v22, v73, v46, v22 op_sel:[0,1,0]
	v_pk_fma_f16 v23, v73, v47, v23 op_sel_hi:[1,0,1]
	v_pk_fma_f16 v17, v73, v47, v17 op_sel:[0,1,0]
	v_pk_fma_f16 v24, v74, v46, v24 op_sel_hi:[1,0,1]
	v_pk_fma_f16 v25, v74, v46, v25 op_sel:[0,1,0]
	v_pk_fma_f16 v27, v74, v47, v27 op_sel_hi:[1,0,1]
	v_pk_fma_f16 v18, v74, v47, v18 op_sel:[0,1,0]
	v_pk_fma_f16 v26, v75, v46, v26 op_sel_hi:[1,0,1]
	v_pk_fma_f16 v4, v75, v46, v4 op_sel:[0,1,0]
	v_pk_fma_f16 v6, v75, v47, v6 op_sel_hi:[1,0,1]
	v_pk_fma_f16 v5, v75, v47, v5 op_sel:[0,1,0]
	;; [unrolled: 17-line block ×3, first 2 shown]
	v_pk_fma_f16 v7, v80, v122, v7 op_sel_hi:[1,0,1]
	v_pk_fma_f16 v19, v80, v122, v19 op_sel:[0,1,0]
	v_pk_fma_f16 v20, v80, v123, v20 op_sel_hi:[1,0,1]
	v_pk_fma_f16 v16, v80, v123, v16 op_sel:[0,1,0]
	;; [unrolled: 2-line block ×8, first 2 shown]
	s_waitcnt lgkmcnt(10)
	v_pk_fma_f16 v7, v84, v68, v7 op_sel_hi:[1,0,1]
	v_pk_fma_f16 v19, v84, v68, v19 op_sel:[0,1,0]
	v_pk_fma_f16 v20, v84, v69, v20 op_sel_hi:[1,0,1]
	v_pk_fma_f16 v16, v84, v69, v16 op_sel:[0,1,0]
	;; [unrolled: 2-line block ×8, first 2 shown]
	s_waitcnt lgkmcnt(9)
	v_pk_fma_f16 v7, v104, v70, v7 op_sel_hi:[1,0,1]
	v_pk_fma_f16 v19, v104, v70, v19 op_sel:[0,1,0]
	v_pk_fma_f16 v20, v104, v71, v20 op_sel_hi:[1,0,1]
	v_pk_fma_f16 v16, v104, v71, v16 op_sel:[0,1,0]
	;; [unrolled: 2-line block ×8, first 2 shown]
	ds_load_b128 v[156:159], v193 offset:448
	s_waitcnt lgkmcnt(6)
	v_pk_fma_f16 v7, v108, v144, v7 op_sel_hi:[1,0,1]
	v_pk_fma_f16 v19, v108, v144, v19 op_sel:[0,1,0]
	v_pk_fma_f16 v20, v108, v145, v20 op_sel_hi:[1,0,1]
	v_pk_fma_f16 v16, v108, v145, v16 op_sel:[0,1,0]
	;; [unrolled: 2-line block ×16, first 2 shown]
	s_waitcnt lgkmcnt(5)
	v_pk_fma_f16 v7, v116, v96, v7 op_sel_hi:[1,0,1]
	v_pk_fma_f16 v19, v116, v96, v19 op_sel:[0,1,0]
	v_pk_fma_f16 v20, v116, v97, v20 op_sel_hi:[1,0,1]
	v_pk_fma_f16 v16, v116, v97, v16 op_sel:[0,1,0]
	;; [unrolled: 2-line block ×8, first 2 shown]
	ds_load_b128 v[148:151], v193 offset:464
	ds_load_2addr_b64 v[152:155], v206 offset0:192 offset1:224
	s_waitcnt lgkmcnt(6)
	v_pk_fma_f16 v7, v124, v98, v7 op_sel_hi:[1,0,1]
	v_pk_fma_f16 v19, v124, v98, v19 op_sel:[0,1,0]
	v_pk_fma_f16 v20, v124, v99, v20 op_sel_hi:[1,0,1]
	v_pk_fma_f16 v16, v124, v99, v16 op_sel:[0,1,0]
	;; [unrolled: 2-line block ×8, first 2 shown]
	ds_load_2addr_b64 v[128:131], v207 offset1:32
	ds_load_2addr_b64 v[12:15], v207 offset0:64 offset1:96
	ds_load_2addr_b64 v[100:103], v207 offset0:128 offset1:160
	ds_load_b128 v[88:91], v193 offset:480
	s_waitcnt lgkmcnt(6)
	v_pk_fma_f16 v7, v132, v156, v7 op_sel_hi:[1,0,1]
	v_pk_fma_f16 v19, v132, v156, v19 op_sel:[0,1,0]
	v_pk_fma_f16 v20, v132, v157, v20 op_sel_hi:[1,0,1]
	v_pk_fma_f16 v16, v132, v157, v16 op_sel:[0,1,0]
	;; [unrolled: 2-line block ×16, first 2 shown]
	s_waitcnt lgkmcnt(5)
	v_pk_fma_f16 v7, v140, v148, v7 op_sel_hi:[1,0,1]
	v_pk_fma_f16 v19, v140, v148, v19 op_sel:[0,1,0]
	v_pk_fma_f16 v20, v140, v149, v20 op_sel_hi:[1,0,1]
	v_pk_fma_f16 v16, v140, v149, v16 op_sel:[0,1,0]
	;; [unrolled: 2-line block ×8, first 2 shown]
	ds_load_b128 v[8:11], v193 offset:496
	ds_load_2addr_b64 v[212:215], v207 offset0:192 offset1:224
	s_waitcnt lgkmcnt(0)
	s_barrier
	buffer_gl0_inv
	s_load_b32 s2, s[36:37], 0x4
	v_pk_fma_f16 v7, v152, v150, v7 op_sel_hi:[1,0,1]
	v_pk_fma_f16 v19, v152, v150, v19 op_sel:[0,1,0]
	v_pk_fma_f16 v20, v152, v151, v20 op_sel_hi:[1,0,1]
	v_pk_fma_f16 v16, v152, v151, v16 op_sel:[0,1,0]
	;; [unrolled: 2-line block ×32, first 2 shown]
	s_waitcnt lgkmcnt(0)
	s_lshl_b32 s2, s2, 6
	v_pk_fma_f16 v38, v212, v10, v7 op_sel_hi:[1,0,1]
	v_pk_fma_f16 v34, v212, v10, v15 op_sel:[0,1,0]
	v_pk_fma_f16 v30, v212, v11, v19 op_sel_hi:[1,0,1]
	v_pk_fma_f16 v28, v212, v11, v12 op_sel:[0,1,0]
	;; [unrolled: 2-line block ×8, first 2 shown]
	s_add_i32 s29, s2, s29
	s_delay_alu instid0(SALU_CYCLE_1)
	s_cmp_ge_i32 s29, s30
	s_cbranch_scc0 .LBB13_9
; %bb.10:
	v_dual_mov_b32 v6, 32 :: v_dual_mov_b32 v7, v180
.LBB13_11:
	s_delay_alu instid0(VALU_DEP_1)
	v_cmp_lt_i32_e32 vcc_lo, v185, v6
	s_cmp_lg_u64 s[44:45], 0
	s_cselect_b32 s2, -1, 0
	s_cmp_eq_u32 s14, 0
	v_cndmask_b32_e32 v4, v7, v185, vcc_lo
	v_cmp_lt_i32_e32 vcc_lo, v184, v6
	s_cselect_b32 s3, -1, 0
	s_delay_alu instid0(SALU_CYCLE_1) | instskip(NEXT) | instid1(VALU_DEP_2)
	s_and_b32 s2, s3, s2
	v_lshlrev_b32_e32 v4, 2, v4
	ds_bpermute_b32 v5, v4, v209
	s_waitcnt lgkmcnt(0)
	v_add_f32_e32 v5, v209, v5
	ds_bpermute_b32 v8, v4, v210
	ds_bpermute_b32 v9, v4, v211
	;; [unrolled: 1-line block ×3, first 2 shown]
	s_waitcnt lgkmcnt(1)
	v_dual_add_f32 v8, v210, v8 :: v_dual_add_f32 v9, v211, v9
	v_cndmask_b32_e32 v10, v7, v184, vcc_lo
	v_cmp_lt_i32_e32 vcc_lo, v183, v6
	s_delay_alu instid0(VALU_DEP_2)
	v_lshlrev_b32_e32 v10, 2, v10
	v_cndmask_b32_e32 v14, v7, v183, vcc_lo
	v_cmp_lt_i32_e32 vcc_lo, v182, v6
	ds_bpermute_b32 v13, v10, v9
	ds_bpermute_b32 v12, v10, v8
	s_waitcnt lgkmcnt(1)
	v_dual_add_f32 v9, v9, v13 :: v_dual_lshlrev_b32 v14, 2, v14
	s_waitcnt lgkmcnt(0)
	v_add_f32_e32 v8, v8, v12
	ds_bpermute_b32 v12, v14, v9
	s_waitcnt lgkmcnt(0)
	v_add_f32_e32 v9, v9, v12
	ds_bpermute_b32 v11, v10, v5
	s_waitcnt lgkmcnt(0)
	v_dual_add_f32 v5, v5, v11 :: v_dual_add_f32 v4, v208, v4
	ds_bpermute_b32 v11, v14, v8
	ds_bpermute_b32 v10, v10, v4
	s_waitcnt lgkmcnt(1)
	v_add_f32_e32 v8, v8, v11
	s_waitcnt lgkmcnt(0)
	v_add_f32_e32 v4, v4, v10
	ds_bpermute_b32 v10, v14, v5
	ds_bpermute_b32 v13, v14, v4
	s_waitcnt lgkmcnt(0)
	v_dual_add_f32 v5, v5, v10 :: v_dual_add_f32 v4, v4, v13
	v_cndmask_b32_e32 v14, v7, v182, vcc_lo
	v_cmp_lt_i32_e32 vcc_lo, v181, v6
	s_delay_alu instid0(VALU_DEP_2)
	v_lshlrev_b32_e32 v14, 2, v14
	v_cndmask_b32_e32 v6, v7, v181, vcc_lo
	s_and_b32 vcc_lo, exec_lo, s2
	ds_bpermute_b32 v10, v14, v5
	ds_bpermute_b32 v11, v14, v8
	;; [unrolled: 1-line block ×4, first 2 shown]
	v_lshlrev_b32_e32 v6, 2, v6
	s_waitcnt lgkmcnt(3)
	v_add_f32_e32 v5, v5, v10
	s_waitcnt lgkmcnt(1)
	v_dual_add_f32 v7, v8, v11 :: v_dual_add_f32 v8, v9, v12
	s_waitcnt lgkmcnt(0)
	v_add_f32_e32 v9, v4, v13
	ds_bpermute_b32 v4, v6, v5
	ds_bpermute_b32 v10, v6, v7
	;; [unrolled: 1-line block ×4, first 2 shown]
	s_waitcnt lgkmcnt(2)
	v_dual_add_f32 v4, v5, v4 :: v_dual_add_f32 v5, v7, v10
	s_waitcnt lgkmcnt(0)
	v_dual_add_f32 v6, v8, v11 :: v_dual_add_f32 v7, v9, v12
	s_cbranch_vccz .LBB13_14
; %bb.12:
	s_ashr_i32 s29, s28, 31
	v_dual_mov_b32 v8, 0 :: v_dual_max_f32 v13, v1, v1
	s_lshl_b64 s[2:3], s[28:29], 2
	s_delay_alu instid0(SALU_CYCLE_1)
	s_add_u32 s2, s44, s2
	s_addc_u32 s3, s45, s3
	global_load_b128 v[8:11], v8, s[2:3]
	v_max_f32_e32 v12, v0, v0
	s_waitcnt vmcnt(0)
	v_dual_max_f32 v14, v2, v2 :: v_dual_max_f32 v15, v8, v8
	v_dual_max_f32 v17, v9, v9 :: v_dual_max_f32 v16, v3, v3
	;; [unrolled: 1-line block ×3, first 2 shown]
	s_delay_alu instid0(VALU_DEP_2) | instskip(NEXT) | instid1(VALU_DEP_2)
	v_dual_max_f32 v13, v13, v17 :: v_dual_max_f32 v12, v12, v15
	v_dual_max_f32 v14, v14, v18 :: v_dual_max_f32 v15, v16, v19
	s_delay_alu instid0(VALU_DEP_2) | instskip(SKIP_1) | instid1(VALU_DEP_3)
	v_dual_sub_f32 v17, v1, v13 :: v_dual_sub_f32 v16, v0, v12
	v_dual_sub_f32 v9, v9, v13 :: v_dual_sub_f32 v8, v8, v12
	;; [unrolled: 1-line block ×3, first 2 shown]
	v_dual_sub_f32 v11, v11, v15 :: v_dual_mov_b32 v0, v12
	v_dual_mov_b32 v3, v15 :: v_dual_sub_f32 v10, v10, v14
	v_dual_mov_b32 v1, v13 :: v_dual_mov_b32 v2, v14
	v_mul_f32_e32 v13, 0x3fb8aa3b, v8
	v_dual_mul_f32 v12, 0x3fb8aa3b, v16 :: v_dual_mul_f32 v15, 0x3fb8aa3b, v9
	s_delay_alu instid0(VALU_DEP_4) | instskip(NEXT) | instid1(VALU_DEP_3)
	v_dual_mul_f32 v14, 0x3fb8aa3b, v17 :: v_dual_mul_f32 v21, 0x3fb8aa3b, v10
	v_fma_f32 v42, 0x3fb8aa3b, v8, -v13
	s_delay_alu instid0(VALU_DEP_3)
	v_fma_f32 v24, 0x3fb8aa3b, v16, -v12
	v_rndne_f32_e32 v25, v12
	v_rndne_f32_e32 v43, v13
	;; [unrolled: 1-line block ×3, first 2 shown]
	v_fma_f32 v46, 0x3fb8aa3b, v9, -v15
	v_fmac_f32_e32 v24, 0x32a5705f, v16
	v_sub_f32_e32 v12, v12, v25
	v_fma_f32 v50, 0x3fb8aa3b, v10, -v21
	v_sub_f32_e32 v15, v15, v47
	v_rndne_f32_e32 v51, v21
	v_dual_fmac_f32 v42, 0x32a5705f, v8 :: v_dual_sub_f32 v13, v13, v43
	v_add_f32_e32 v12, v12, v24
	v_dual_mul_f32 v20, 0x3fb8aa3b, v18 :: v_dual_mul_f32 v23, 0x3fb8aa3b, v11
	v_fma_f32 v44, 0x3fb8aa3b, v17, -v14
	v_rndne_f32_e32 v45, v14
	v_dual_fmac_f32 v50, 0x32a5705f, v10 :: v_dual_sub_f32 v21, v21, v51
	v_dual_mul_f32 v22, 0x3fb8aa3b, v19 :: v_dual_add_f32 v13, v13, v42
	v_exp_f32_e32 v12, v12
	v_rndne_f32_e32 v55, v23
	v_cvt_i32_f32_e32 v25, v25
	v_fmac_f32_e32 v44, 0x32a5705f, v17
	v_dual_fmac_f32 v46, 0x32a5705f, v9 :: v_dual_add_f32 v21, v21, v50
	v_sub_f32_e32 v14, v14, v45
	v_exp_f32_e32 v13, v13
	v_fma_f32 v48, 0x3fb8aa3b, v18, -v20
	s_delay_alu instid0(VALU_DEP_3)
	v_add_f32_e32 v15, v15, v46
	v_rndne_f32_e32 v49, v20
	v_fma_f32 v54, 0x3fb8aa3b, v11, -v23
	v_cvt_i32_f32_e32 v43, v43
	v_dual_sub_f32 v23, v23, v55 :: v_dual_add_f32 v14, v14, v44
	v_ldexp_f32 v12, v12, v25
	v_cmp_ngt_f32_e32 vcc_lo, 0xc2ce8ed0, v16
	v_fmac_f32_e32 v54, 0x32a5705f, v11
	v_sub_f32_e32 v20, v20, v49
	v_exp_f32_e32 v14, v14
	v_ldexp_f32 v13, v13, v43
	v_cndmask_b32_e32 v12, 0, v12, vcc_lo
	v_cmp_ngt_f32_e32 vcc_lo, 0xc2ce8ed0, v8
	v_fmac_f32_e32 v48, 0x32a5705f, v18
	v_cvt_i32_f32_e32 v45, v45
	v_add_f32_e32 v23, v23, v54
	v_exp_f32_e32 v15, v15
	s_delay_alu instid0(VALU_DEP_3)
	v_dual_cndmask_b32 v13, 0, v13 :: v_dual_add_f32 v20, v20, v48
	v_cvt_i32_f32_e32 v47, v47
	v_ldexp_f32 v14, v14, v45
	v_cmp_ngt_f32_e32 vcc_lo, 0xc2ce8ed0, v17
	v_cvt_i32_f32_e32 v49, v49
	v_exp_f32_e32 v20, v20
	v_exp_f32_e32 v21, v21
	;; [unrolled: 1-line block ×3, first 2 shown]
	v_ldexp_f32 v15, v15, v47
	v_cndmask_b32_e32 v14, 0, v14, vcc_lo
	v_cmp_ngt_f32_e32 vcc_lo, 0xc2ce8ed0, v9
	v_fma_f32 v52, 0x3fb8aa3b, v19, -v22
	v_rndne_f32_e32 v53, v22
	v_cvt_i32_f32_e32 v51, v51
	v_cvt_i32_f32_e32 v42, v55
	v_ldexp_f32 v20, v20, v49
	v_cndmask_b32_e32 v15, 0, v15, vcc_lo
	v_cmp_ngt_f32_e32 vcc_lo, 0xc2ce8ed0, v18
	v_ldexp_f32 v21, v21, v51
	v_ldexp_f32 v23, v23, v42
	v_sub_f32_e32 v22, v22, v53
	v_cvt_i32_f32_e32 v24, v53
	v_cndmask_b32_e32 v20, 0, v20, vcc_lo
	v_cmp_ngt_f32_e32 vcc_lo, 0xc2ce8ed0, v10
	v_dual_fmac_f32 v52, 0x32a5705f, v19 :: v_dual_cndmask_b32 v21, 0, v21
	s_delay_alu instid0(VALU_DEP_1) | instskip(SKIP_1) | instid1(VALU_DEP_2)
	v_add_f32_e32 v22, v22, v52
	v_cmp_ngt_f32_e32 vcc_lo, 0xc2ce8ed0, v19
	v_exp_f32_e32 v22, v22
	s_waitcnt_depctr 0xfff
	v_ldexp_f32 v22, v22, v24
	s_delay_alu instid0(VALU_DEP_1)
	v_cndmask_b32_e32 v22, 0, v22, vcc_lo
	v_cmp_ngt_f32_e32 vcc_lo, 0xc2ce8ed0, v11
	v_cndmask_b32_e32 v23, 0, v23, vcc_lo
	v_cmp_nlt_f32_e32 vcc_lo, 0x42b17218, v16
	v_cndmask_b32_e32 v12, 0x7f800000, v12, vcc_lo
	v_cmp_nlt_f32_e32 vcc_lo, 0x42b17218, v8
	;; [unrolled: 2-line block ×3, first 2 shown]
	s_delay_alu instid0(VALU_DEP_2) | instskip(SKIP_4) | instid1(VALU_DEP_3)
	v_dual_fmac_f32 v8, v4, v12 :: v_dual_cndmask_b32 v13, 0x7f800000, v14
	v_cmp_nlt_f32_e32 vcc_lo, 0x42b17218, v9
	v_cvt_f16_f32_e32 v4, v12
	v_cndmask_b32_e32 v9, 0x7f800000, v15, vcc_lo
	v_cmp_nlt_f32_e32 vcc_lo, 0x42b17218, v18
	v_pk_mul_f16 v38, v4, v38 op_sel_hi:[0,1]
	v_pk_mul_f16 v41, v4, v41 op_sel_hi:[0,1]
	;; [unrolled: 1-line block ×3, first 2 shown]
	v_dual_fmac_f32 v9, v5, v13 :: v_dual_cndmask_b32 v14, 0x7f800000, v20
	v_cmp_nlt_f32_e32 vcc_lo, 0x42b17218, v10
	v_cvt_f16_f32_e32 v5, v13
	v_pk_mul_f16 v40, v4, v40 op_sel_hi:[0,1]
	v_mov_b32_e32 v4, v8
	v_cndmask_b32_e32 v10, 0x7f800000, v21, vcc_lo
	v_cmp_nlt_f32_e32 vcc_lo, 0x42b17218, v19
	v_pk_mul_f16 v34, v5, v34 op_sel_hi:[0,1]
	v_pk_mul_f16 v37, v5, v37 op_sel_hi:[0,1]
	;; [unrolled: 1-line block ×3, first 2 shown]
	v_fmac_f32_e32 v10, v6, v14
	v_cndmask_b32_e32 v15, 0x7f800000, v22, vcc_lo
	v_cmp_nlt_f32_e32 vcc_lo, 0x42b17218, v11
	v_cvt_f16_f32_e32 v6, v14
	v_pk_mul_f16 v36, v5, v36 op_sel_hi:[0,1]
	v_mov_b32_e32 v5, v9
	v_cndmask_b32_e32 v11, 0x7f800000, v23, vcc_lo
	s_delay_alu instid0(VALU_DEP_4)
	v_pk_mul_f16 v30, v6, v30 op_sel_hi:[0,1]
	v_pk_mul_f16 v33, v6, v33 op_sel_hi:[0,1]
	;; [unrolled: 1-line block ×4, first 2 shown]
	v_fmac_f32_e32 v11, v7, v15
	v_cvt_f16_f32_e32 v7, v15
	v_mov_b32_e32 v6, v10
	s_delay_alu instid0(VALU_DEP_2)
	v_pk_mul_f16 v28, v7, v28 op_sel_hi:[0,1]
	v_pk_mul_f16 v29, v7, v29 op_sel_hi:[0,1]
	;; [unrolled: 1-line block ×4, first 2 shown]
	v_mov_b32_e32 v7, v11
	s_mov_b32 s2, exec_lo
	v_cmpx_gt_i32_e64 s26, v160
	s_cbranch_execnz .LBB13_15
.LBB13_13:
	s_nop 0
	s_sendmsg sendmsg(MSG_DEALLOC_VGPRS)
	s_endpgm
.LBB13_14:
	s_delay_alu instid0(VALU_DEP_1)
	v_dual_mov_b32 v11, v7 :: v_dual_mov_b32 v10, v6
	v_dual_mov_b32 v9, v5 :: v_dual_mov_b32 v8, v4
	s_mov_b32 s2, exec_lo
	v_cmpx_gt_i32_e64 s26, v160
	s_cbranch_execz .LBB13_13
.LBB13_15:
	s_load_b32 s1, s[0:1], 0xd4
	v_mov_b32_e32 v14, 1.0
	s_waitcnt lgkmcnt(0)
	s_cmp_lg_u32 s1, 1
	s_cselect_b32 s3, -1, 0
	s_cmp_eq_u32 s1, 1
	s_cselect_b32 s2, -1, 0
	s_and_b32 vcc_lo, exec_lo, s3
	s_cbranch_vccnz .LBB13_17
; %bb.16:
	v_div_scale_f32 v12, null, v4, v4, 1.0
	s_delay_alu instid0(VALU_DEP_1) | instskip(SKIP_2) | instid1(VALU_DEP_1)
	v_rcp_f32_e32 v13, v12
	s_waitcnt_depctr 0xfff
	v_fma_f32 v14, -v12, v13, 1.0
	v_fmac_f32_e32 v13, v14, v13
	v_div_scale_f32 v14, vcc_lo, 1.0, v4, 1.0
	s_delay_alu instid0(VALU_DEP_1) | instskip(NEXT) | instid1(VALU_DEP_1)
	v_mul_f32_e32 v15, v14, v13
	v_fma_f32 v16, -v12, v15, v14
	s_delay_alu instid0(VALU_DEP_1) | instskip(NEXT) | instid1(VALU_DEP_1)
	v_fmac_f32_e32 v15, v16, v13
	v_fma_f32 v12, -v12, v15, v14
	s_delay_alu instid0(VALU_DEP_1) | instskip(NEXT) | instid1(VALU_DEP_1)
	v_div_fmas_f32 v12, v12, v13, v15
	v_div_fixup_f32 v14, v12, v4, 1.0
.LBB13_17:
	v_mad_u64_u32 v[12:13], null, s33, s26, v[160:161]
	v_lshrrev_b32_e32 v4, 16, v41
	v_lshrrev_b32_e32 v18, 16, v38
	;; [unrolled: 1-line block ×4, first 2 shown]
	v_cvt_f32_f16_e32 v19, v38
	v_cvt_f32_f16_e32 v25, v39
	v_mad_u64_u32 v[15:16], null, v12, s27, s[28:29]
	v_cvt_f32_f16_e32 v16, v41
	v_mov_b32_e32 v24, 0
	v_cvt_f32_f16_e32 v4, v4
	v_cvt_f32_f16_e32 v20, v20
	v_cmp_eq_u32_e32 vcc_lo, 0, v161
	v_mul_f32_e32 v17, v14, v16
	v_mad_u64_u32 v[12:13], null, s1, v15, s[14:15]
	v_cvt_f32_f16_e32 v13, v40
	v_cvt_f32_f16_e32 v16, v18
	v_mul_f32_e32 v15, v14, v19
	v_mul_f32_e32 v19, v14, v25
	;; [unrolled: 1-line block ×4, first 2 shown]
	v_lshl_add_u32 v23, v12, 8, v179
	v_cvt_f32_f16_e32 v13, v22
	v_mul_f32_e32 v16, v14, v16
	v_mul_f32_e32 v22, v14, v20
	s_delay_alu instid0(VALU_DEP_4) | instskip(NEXT) | instid1(VALU_DEP_4)
	v_lshlrev_b64 v[38:39], 2, v[23:24]
	v_dual_mul_f32 v20, v14, v13 :: v_dual_add_nc_u32 v23, 0x80, v23
	s_delay_alu instid0(VALU_DEP_1) | instskip(NEXT) | instid1(VALU_DEP_3)
	v_lshlrev_b64 v[13:14], 2, v[23:24]
	v_add_co_u32 v23, s0, s48, v38
	s_delay_alu instid0(VALU_DEP_1) | instskip(NEXT) | instid1(VALU_DEP_3)
	v_add_co_ci_u32_e64 v24, s0, s49, v39, s0
	v_add_co_u32 v13, s0, s48, v13
	s_delay_alu instid0(VALU_DEP_1)
	v_add_co_ci_u32_e64 v14, s0, s49, v14, s0
	s_and_b32 s0, vcc_lo, s3
	s_clause 0x1
	global_store_b128 v[23:24], v[15:18], off
	global_store_b128 v[13:14], v[19:22], off
	s_and_saveexec_b32 s3, s0
	s_cbranch_execz .LBB13_19
; %bb.18:
	v_ashrrev_i32_e32 v13, 31, v12
	v_mov_b32_e32 v15, v0
	v_mov_b32_e32 v16, v8
	s_delay_alu instid0(VALU_DEP_3) | instskip(NEXT) | instid1(VALU_DEP_1)
	v_lshlrev_b64 v[13:14], 3, v[12:13]
	v_add_co_u32 v13, vcc_lo, s50, v13
	s_delay_alu instid0(VALU_DEP_2)
	v_add_co_ci_u32_e32 v14, vcc_lo, s51, v14, vcc_lo
	global_store_b64 v[13:14], v[15:16], off
.LBB13_19:
	s_or_b32 exec_lo, exec_lo, s3
	v_cndmask_b32_e64 v13, 0, 1, s2
	v_mov_b32_e32 v0, 1.0
	s_and_not1_b32 vcc_lo, exec_lo, s2
	s_cbranch_vccnz .LBB13_21
; %bb.20:
	v_div_scale_f32 v0, null, v5, v5, 1.0
	s_delay_alu instid0(VALU_DEP_1) | instskip(SKIP_2) | instid1(VALU_DEP_1)
	v_rcp_f32_e32 v4, v0
	s_waitcnt_depctr 0xfff
	v_fma_f32 v8, -v0, v4, 1.0
	v_fmac_f32_e32 v4, v8, v4
	v_div_scale_f32 v8, vcc_lo, 1.0, v5, 1.0
	s_delay_alu instid0(VALU_DEP_1) | instskip(NEXT) | instid1(VALU_DEP_1)
	v_mul_f32_e32 v14, v8, v4
	v_fma_f32 v15, -v0, v14, v8
	s_delay_alu instid0(VALU_DEP_1) | instskip(NEXT) | instid1(VALU_DEP_1)
	v_fmac_f32_e32 v14, v15, v4
	v_fma_f32 v0, -v0, v14, v8
	s_delay_alu instid0(VALU_DEP_1) | instskip(NEXT) | instid1(VALU_DEP_1)
	v_div_fmas_f32 v0, v0, v4, v14
	v_div_fixup_f32 v0, v0, v5, 1.0
.LBB13_21:
	v_lshrrev_b32_e32 v5, 16, v37
	v_dual_mov_b32 v19, 0 :: v_dual_add_nc_u32 v4, s1, v12
	v_lshrrev_b32_e32 v8, 16, v34
	v_cvt_f32_f16_e32 v12, v37
	s_delay_alu instid0(VALU_DEP_4) | instskip(NEXT) | instid1(VALU_DEP_4)
	v_cvt_f32_f16_e32 v5, v5
	v_lshl_add_u32 v18, v4, 8, v179
	v_cvt_f32_f16_e32 v14, v34
	v_cvt_f32_f16_e32 v8, v8
	v_mul_f32_e32 v16, v0, v12
	v_mul_f32_e32 v17, v0, v5
	v_lshlrev_b64 v[20:21], 2, v[18:19]
	s_delay_alu instid0(VALU_DEP_4) | instskip(SKIP_3) | instid1(VALU_DEP_4)
	v_dual_mul_f32 v15, v0, v8 :: v_dual_add_nc_u32 v18, 0x80, v18
	v_lshrrev_b32_e32 v5, 16, v36
	v_lshrrev_b32_e32 v8, 16, v35
	v_cvt_f32_f16_e32 v12, v36
	v_lshlrev_b64 v[24:25], 2, v[18:19]
	v_add_co_u32 v22, vcc_lo, s48, v20
	v_cvt_f32_f16_e32 v5, v5
	v_cvt_f32_f16_e32 v8, v8
	;; [unrolled: 1-line block ×3, first 2 shown]
	v_add_co_ci_u32_e32 v23, vcc_lo, s49, v21, vcc_lo
	v_add_co_u32 v24, vcc_lo, s48, v24
	v_mul_f32_e32 v14, v0, v14
	v_mul_f32_e32 v21, v0, v5
	;; [unrolled: 1-line block ×5, first 2 shown]
	v_add_co_ci_u32_e32 v25, vcc_lo, s49, v25, vcc_lo
	s_clause 0x1
	global_store_b128 v[22:23], v[14:17], off
	global_store_b128 v[24:25], v[18:21], off
	s_and_saveexec_b32 s2, s0
	s_cbranch_execz .LBB13_23
; %bb.22:
	v_ashrrev_i32_e32 v5, 31, v4
	v_mov_b32_e32 v8, v1
	s_delay_alu instid0(VALU_DEP_2) | instskip(NEXT) | instid1(VALU_DEP_1)
	v_lshlrev_b64 v[14:15], 3, v[4:5]
	v_add_co_u32 v14, vcc_lo, s50, v14
	s_delay_alu instid0(VALU_DEP_2)
	v_add_co_ci_u32_e32 v15, vcc_lo, s51, v15, vcc_lo
	global_store_b64 v[14:15], v[8:9], off
.LBB13_23:
	s_or_b32 exec_lo, exec_lo, s2
	v_cmp_ne_u32_e32 vcc_lo, 1, v13
	v_mov_b32_e32 v1, 1.0
	s_cbranch_vccnz .LBB13_25
; %bb.24:
	v_div_scale_f32 v0, null, v6, v6, 1.0
	s_delay_alu instid0(VALU_DEP_1) | instskip(SKIP_2) | instid1(VALU_DEP_1)
	v_rcp_f32_e32 v1, v0
	s_waitcnt_depctr 0xfff
	v_fma_f32 v5, -v0, v1, 1.0
	v_fmac_f32_e32 v1, v5, v1
	v_div_scale_f32 v5, vcc_lo, 1.0, v6, 1.0
	s_delay_alu instid0(VALU_DEP_1) | instskip(NEXT) | instid1(VALU_DEP_1)
	v_mul_f32_e32 v8, v5, v1
	v_fma_f32 v9, -v0, v8, v5
	s_delay_alu instid0(VALU_DEP_1) | instskip(NEXT) | instid1(VALU_DEP_1)
	v_fmac_f32_e32 v8, v9, v1
	v_fma_f32 v0, -v0, v8, v5
	s_delay_alu instid0(VALU_DEP_1) | instskip(NEXT) | instid1(VALU_DEP_1)
	v_div_fmas_f32 v0, v0, v1, v8
	v_div_fixup_f32 v1, v0, v6, 1.0
.LBB13_25:
	v_lshrrev_b32_e32 v6, 16, v33
	v_dual_mov_b32 v5, 0 :: v_dual_add_nc_u32 v0, s1, v4
	v_lshrrev_b32_e32 v8, 16, v30
	v_cvt_f32_f16_e32 v9, v33
	s_delay_alu instid0(VALU_DEP_4) | instskip(NEXT) | instid1(VALU_DEP_4)
	v_cvt_f32_f16_e32 v6, v6
	v_lshl_add_u32 v4, v0, 8, v179
	v_cvt_f32_f16_e32 v14, v30
	v_cvt_f32_f16_e32 v12, v8
	v_mul_f32_e32 v16, v1, v9
	v_mul_f32_e32 v17, v1, v6
	v_lshlrev_b64 v[8:9], 2, v[4:5]
	v_add_nc_u32_e32 v4, 0x80, v4
	v_mul_f32_e32 v15, v1, v12
	v_lshrrev_b32_e32 v6, 16, v32
	v_lshrrev_b32_e32 v12, 16, v31
	v_cvt_f32_f16_e32 v18, v32
	v_lshlrev_b64 v[4:5], 2, v[4:5]
	v_add_co_u32 v8, vcc_lo, s48, v8
	v_cvt_f32_f16_e32 v6, v6
	v_cvt_f32_f16_e32 v12, v12
	;; [unrolled: 1-line block ×3, first 2 shown]
	v_add_co_ci_u32_e32 v9, vcc_lo, s49, v9, vcc_lo
	v_add_co_u32 v4, vcc_lo, s48, v4
	v_mul_f32_e32 v14, v1, v14
	v_mul_f32_e32 v21, v1, v6
	;; [unrolled: 1-line block ×5, first 2 shown]
	v_add_co_ci_u32_e32 v5, vcc_lo, s49, v5, vcc_lo
	s_clause 0x1
	global_store_b128 v[8:9], v[14:17], off
	global_store_b128 v[4:5], v[18:21], off
	s_and_saveexec_b32 s2, s0
	s_cbranch_execz .LBB13_27
; %bb.26:
	v_ashrrev_i32_e32 v1, 31, v0
	v_mov_b32_e32 v9, v2
	s_delay_alu instid0(VALU_DEP_2) | instskip(NEXT) | instid1(VALU_DEP_1)
	v_lshlrev_b64 v[4:5], 3, v[0:1]
	v_add_co_u32 v4, vcc_lo, s50, v4
	s_delay_alu instid0(VALU_DEP_2)
	v_add_co_ci_u32_e32 v5, vcc_lo, s51, v5, vcc_lo
	global_store_b64 v[4:5], v[9:10], off
.LBB13_27:
	s_or_b32 exec_lo, exec_lo, s2
	v_cmp_ne_u32_e32 vcc_lo, 1, v13
	v_mov_b32_e32 v1, 1.0
	s_cbranch_vccnz .LBB13_29
; %bb.28:
	v_div_scale_f32 v1, null, v7, v7, 1.0
	s_delay_alu instid0(VALU_DEP_1) | instskip(SKIP_2) | instid1(VALU_DEP_1)
	v_rcp_f32_e32 v2, v1
	s_waitcnt_depctr 0xfff
	v_fma_f32 v4, -v1, v2, 1.0
	v_fmac_f32_e32 v2, v4, v2
	v_div_scale_f32 v4, vcc_lo, 1.0, v7, 1.0
	s_delay_alu instid0(VALU_DEP_1) | instskip(NEXT) | instid1(VALU_DEP_1)
	v_mul_f32_e32 v5, v4, v2
	v_fma_f32 v6, -v1, v5, v4
	s_delay_alu instid0(VALU_DEP_1) | instskip(NEXT) | instid1(VALU_DEP_1)
	v_fmac_f32_e32 v5, v6, v2
	v_fma_f32 v1, -v1, v5, v4
	s_delay_alu instid0(VALU_DEP_1) | instskip(NEXT) | instid1(VALU_DEP_1)
	v_div_fmas_f32 v1, v1, v2, v5
	v_div_fixup_f32 v1, v1, v7, 1.0
.LBB13_29:
	v_lshrrev_b32_e32 v2, 16, v29
	v_dual_mov_b32 v9, 0 :: v_dual_add_nc_u32 v0, s1, v0
	v_lshrrev_b32_e32 v4, 16, v28
	v_cvt_f32_f16_e32 v5, v29
	s_delay_alu instid0(VALU_DEP_4) | instskip(NEXT) | instid1(VALU_DEP_4)
	v_cvt_f32_f16_e32 v2, v2
	v_lshl_add_u32 v8, v0, 8, v179
	v_cvt_f32_f16_e32 v10, v28
	v_cvt_f32_f16_e32 v4, v4
	v_mul_f32_e32 v6, v1, v5
	v_mul_f32_e32 v7, v1, v2
	v_lshlrev_b64 v[12:13], 2, v[8:9]
	v_add_nc_u32_e32 v8, 0x80, v8
	v_mul_f32_e32 v5, v1, v4
	v_mul_f32_e32 v4, v1, v10
	v_lshrrev_b32_e32 v2, 16, v26
	v_lshrrev_b32_e32 v10, 16, v27
	v_lshlrev_b64 v[8:9], 2, v[8:9]
	v_add_co_u32 v16, vcc_lo, s48, v12
	s_delay_alu instid0(VALU_DEP_4)
	v_cvt_f32_f16_e32 v2, v2
	v_cvt_f32_f16_e32 v12, v26
	;; [unrolled: 1-line block ×4, first 2 shown]
	v_add_co_ci_u32_e32 v17, vcc_lo, s49, v13, vcc_lo
	v_mul_f32_e32 v15, v1, v2
	v_mul_f32_e32 v14, v1, v12
	;; [unrolled: 1-line block ×4, first 2 shown]
	v_add_co_u32 v1, vcc_lo, s48, v8
	v_add_co_ci_u32_e32 v2, vcc_lo, s49, v9, vcc_lo
	s_clause 0x1
	global_store_b128 v[16:17], v[4:7], off
	global_store_b128 v[1:2], v[12:15], off
	s_and_b32 exec_lo, exec_lo, s0
	s_cbranch_execz .LBB13_13
; %bb.30:
	v_ashrrev_i32_e32 v1, 31, v0
	v_mov_b32_e32 v10, v3
	s_delay_alu instid0(VALU_DEP_2) | instskip(NEXT) | instid1(VALU_DEP_1)
	v_lshlrev_b64 v[0:1], 3, v[0:1]
	v_add_co_u32 v0, vcc_lo, s50, v0
	s_delay_alu instid0(VALU_DEP_2)
	v_add_co_ci_u32_e32 v1, vcc_lo, s51, v1, vcc_lo
	global_store_b64 v[0:1], v[10:11], off
	s_nop 0
	s_sendmsg sendmsg(MSG_DEALLOC_VGPRS)
	s_endpgm
	.section	.rodata,"a",@progbits
	.p2align	6, 0x0
	.amdhsa_kernel _ZL15flash_attn_tileILi256ELi256ELi8ELi4ELb0EEvPKcS1_S1_S1_S1_PKiPfP15HIP_vector_typeIfLj2EEffffjfiS5_IjLj3EEiiiiiiiiiiiliiliiiiil
		.amdhsa_group_segment_fixed_size 37888
		.amdhsa_private_segment_fixed_size 0
		.amdhsa_kernarg_size 464
		.amdhsa_user_sgpr_count 13
		.amdhsa_user_sgpr_dispatch_ptr 0
		.amdhsa_user_sgpr_queue_ptr 0
		.amdhsa_user_sgpr_kernarg_segment_ptr 1
		.amdhsa_user_sgpr_dispatch_id 0
		.amdhsa_user_sgpr_private_segment_size 0
		.amdhsa_wavefront_size32 1
		.amdhsa_uses_dynamic_stack 0
		.amdhsa_enable_private_segment 0
		.amdhsa_system_sgpr_workgroup_id_x 1
		.amdhsa_system_sgpr_workgroup_id_y 1
		.amdhsa_system_sgpr_workgroup_id_z 1
		.amdhsa_system_sgpr_workgroup_info 0
		.amdhsa_system_vgpr_workitem_id 1
		.amdhsa_next_free_vgpr 232
		.amdhsa_next_free_sgpr 52
		.amdhsa_reserve_vcc 1
		.amdhsa_float_round_mode_32 0
		.amdhsa_float_round_mode_16_64 0
		.amdhsa_float_denorm_mode_32 3
		.amdhsa_float_denorm_mode_16_64 3
		.amdhsa_dx10_clamp 1
		.amdhsa_ieee_mode 1
		.amdhsa_fp16_overflow 0
		.amdhsa_workgroup_processor_mode 1
		.amdhsa_memory_ordered 1
		.amdhsa_forward_progress 0
		.amdhsa_shared_vgpr_count 0
		.amdhsa_exception_fp_ieee_invalid_op 0
		.amdhsa_exception_fp_denorm_src 0
		.amdhsa_exception_fp_ieee_div_zero 0
		.amdhsa_exception_fp_ieee_overflow 0
		.amdhsa_exception_fp_ieee_underflow 0
		.amdhsa_exception_fp_ieee_inexact 0
		.amdhsa_exception_int_div_zero 0
	.end_amdhsa_kernel
	.section	.text._ZL15flash_attn_tileILi256ELi256ELi8ELi4ELb0EEvPKcS1_S1_S1_S1_PKiPfP15HIP_vector_typeIfLj2EEffffjfiS5_IjLj3EEiiiiiiiiiiiliiliiiiil,"axG",@progbits,_ZL15flash_attn_tileILi256ELi256ELi8ELi4ELb0EEvPKcS1_S1_S1_S1_PKiPfP15HIP_vector_typeIfLj2EEffffjfiS5_IjLj3EEiiiiiiiiiiiliiliiiiil,comdat
.Lfunc_end13:
	.size	_ZL15flash_attn_tileILi256ELi256ELi8ELi4ELb0EEvPKcS1_S1_S1_S1_PKiPfP15HIP_vector_typeIfLj2EEffffjfiS5_IjLj3EEiiiiiiiiiiiliiliiiiil, .Lfunc_end13-_ZL15flash_attn_tileILi256ELi256ELi8ELi4ELb0EEvPKcS1_S1_S1_S1_PKiPfP15HIP_vector_typeIfLj2EEffffjfiS5_IjLj3EEiiiiiiiiiiiliiliiiiil
                                        ; -- End function
	.section	.AMDGPU.csdata,"",@progbits
; Kernel info:
; codeLenInByte = 40120
; NumSgprs: 54
; NumVgprs: 232
; ScratchSize: 0
; MemoryBound: 0
; FloatMode: 240
; IeeeMode: 1
; LDSByteSize: 37888 bytes/workgroup (compile time only)
; SGPRBlocks: 6
; VGPRBlocks: 28
; NumSGPRsForWavesPerEU: 54
; NumVGPRsForWavesPerEU: 232
; Occupancy: 6
; WaveLimiterHint : 1
; COMPUTE_PGM_RSRC2:SCRATCH_EN: 0
; COMPUTE_PGM_RSRC2:USER_SGPR: 13
; COMPUTE_PGM_RSRC2:TRAP_HANDLER: 0
; COMPUTE_PGM_RSRC2:TGID_X_EN: 1
; COMPUTE_PGM_RSRC2:TGID_Y_EN: 1
; COMPUTE_PGM_RSRC2:TGID_Z_EN: 1
; COMPUTE_PGM_RSRC2:TIDIG_COMP_CNT: 1
	.section	.text._ZL25flash_attn_mask_to_KV_maxILi8EEvPK7__half2Piiii,"axG",@progbits,_ZL25flash_attn_mask_to_KV_maxILi8EEvPK7__half2Piiii,comdat
	.globl	_ZL25flash_attn_mask_to_KV_maxILi8EEvPK7__half2Piiii ; -- Begin function _ZL25flash_attn_mask_to_KV_maxILi8EEvPK7__half2Piiii
	.p2align	8
	.type	_ZL25flash_attn_mask_to_KV_maxILi8EEvPK7__half2Piiii,@function
_ZL25flash_attn_mask_to_KV_maxILi8EEvPK7__half2Piiii: ; @_ZL25flash_attn_mask_to_KV_maxILi8EEvPK7__half2Piiii
; %bb.0:
	s_load_b128 s[4:7], s[0:1], 0x0
	s_mov_b32 s2, exec_lo
	v_cmpx_gt_u32_e32 32, v0
	s_cbranch_execz .LBB14_2
; %bb.1:
	v_dual_mov_b32 v2, 1 :: v_dual_lshlrev_b32 v1, 2, v0
	ds_store_b32 v1, v2
.LBB14_2:
	s_or_b32 exec_lo, exec_lo, s2
	s_clause 0x1
	s_load_b128 s[8:11], s[0:1], 0x10
	s_load_b32 s1, s[0:1], 0x20
	v_dual_mov_b32 v2, 0 :: v_dual_and_b32 v1, 31, v0
	v_lshrrev_b32_e32 v5, 3, v0
	s_waitcnt lgkmcnt(0)
	s_barrier
	s_delay_alu instid0(VALU_DEP_2) | instskip(SKIP_4) | instid1(SALU_CYCLE_1)
	v_lshlrev_b32_e32 v6, 2, v1
	buffer_gl0_inv
	s_mul_i32 s0, s14, s9
	s_mul_i32 s2, s15, s10
	s_lshl_b32 s0, s0, 3
	s_add_i32 s2, s2, s0
	v_cmp_eq_u32_e64 s0, 0, v1
	s_ashr_i32 s3, s2, 31
	s_delay_alu instid0(SALU_CYCLE_1) | instskip(NEXT) | instid1(SALU_CYCLE_1)
	s_lshl_b64 s[10:11], s[2:3], 2
	s_add_u32 s3, s4, s10
	s_addc_u32 s4, s5, s11
	s_lshl_b32 s5, s8, 8
	s_branch .LBB14_4
.LBB14_3:                               ;   in Loop: Header=BB14_4 Depth=1
	s_or_b32 exec_lo, exec_lo, s10
	s_waitcnt lgkmcnt(0)
	s_barrier
	buffer_gl0_inv
	ds_load_b32 v1, v6
	s_waitcnt lgkmcnt(0)
	s_barrier
	buffer_gl0_inv
	;;#ASMSTART
	;;#ASMEND
	v_cmp_ne_u32_e32 vcc_lo, 0, v1
	s_cmp_lg_u32 vcc_lo, exec_lo
	s_cselect_b32 s8, -1, 0
	s_delay_alu instid0(SALU_CYCLE_1)
	s_and_b32 vcc_lo, exec_lo, s8
	s_cbranch_vccnz .LBB14_36
.LBB14_4:                               ; =>This Inner Loop Header: Depth=1
	s_mov_b32 s2, s5
	s_addk_i32 s5, 0xff00
	s_delay_alu instid0(SALU_CYCLE_1)
	s_cmp_lt_i32 s5, 0
	s_cbranch_scc1 .LBB14_35
; %bb.5:                                ;   in Loop: Header=BB14_4 Depth=1
	s_lshr_b32 s8, s5, 1
	s_mov_b32 s10, 0
	v_add_nc_u32_e32 v1, s8, v0
	s_delay_alu instid0(VALU_DEP_1) | instskip(NEXT) | instid1(VALU_DEP_1)
	v_lshlrev_b64 v[3:4], 2, v[1:2]
	v_add_co_u32 v3, vcc_lo, s3, v3
	s_delay_alu instid0(VALU_DEP_2) | instskip(SKIP_4) | instid1(VALU_DEP_2)
	v_add_co_ci_u32_e32 v4, vcc_lo, s4, v4, vcc_lo
	global_load_b32 v3, v[3:4], off
	s_waitcnt vmcnt(0)
	v_lshrrev_b32_e32 v4, 16, v3
	v_cmp_class_f16_e64 s8, v3, 0x204
	v_and_b32_e32 v4, 0x7fff, v4
	s_delay_alu instid0(VALU_DEP_1) | instskip(NEXT) | instid1(VALU_DEP_3)
	v_cmp_eq_f16_e32 vcc_lo, 0x7c00, v4
	s_and_b32 s11, s8, vcc_lo
	s_delay_alu instid0(SALU_CYCLE_1)
	s_and_saveexec_b32 s8, s11
	s_cbranch_execz .LBB14_33
; %bb.6:                                ;   in Loop: Header=BB14_4 Depth=1
	v_add_nc_u32_e32 v3, s9, v1
	s_mov_b32 s11, 0
	s_delay_alu instid0(VALU_DEP_1) | instskip(NEXT) | instid1(VALU_DEP_1)
	v_ashrrev_i32_e32 v4, 31, v3
	v_lshlrev_b64 v[7:8], 2, v[3:4]
	s_delay_alu instid0(VALU_DEP_1) | instskip(NEXT) | instid1(VALU_DEP_2)
	v_add_co_u32 v7, vcc_lo, s3, v7
	v_add_co_ci_u32_e32 v8, vcc_lo, s4, v8, vcc_lo
	global_load_b32 v1, v[7:8], off
	s_waitcnt vmcnt(0)
	v_cmp_class_f16_e64 s12, v1, 0x204
	s_delay_alu instid0(VALU_DEP_1)
	s_and_saveexec_b32 s10, s12
	s_cbranch_execz .LBB14_32
; %bb.7:                                ;   in Loop: Header=BB14_4 Depth=1
	v_lshrrev_b32_e32 v1, 16, v1
	s_mov_b32 s12, 0
	s_delay_alu instid0(VALU_DEP_1) | instskip(NEXT) | instid1(VALU_DEP_1)
	v_cmp_class_f16_e64 s13, v1, 0x204
	s_and_saveexec_b32 s11, s13
	s_cbranch_execz .LBB14_31
; %bb.8:                                ;   in Loop: Header=BB14_4 Depth=1
	v_add_nc_u32_e32 v3, s9, v3
	s_mov_b32 s13, 0
	s_delay_alu instid0(VALU_DEP_1) | instskip(NEXT) | instid1(VALU_DEP_1)
	v_ashrrev_i32_e32 v4, 31, v3
	v_lshlrev_b64 v[7:8], 2, v[3:4]
	s_delay_alu instid0(VALU_DEP_1) | instskip(NEXT) | instid1(VALU_DEP_2)
	v_add_co_u32 v7, vcc_lo, s3, v7
	v_add_co_ci_u32_e32 v8, vcc_lo, s4, v8, vcc_lo
	global_load_b32 v1, v[7:8], off
	s_waitcnt vmcnt(0)
	v_cmp_class_f16_e64 s16, v1, 0x204
	s_delay_alu instid0(VALU_DEP_1)
	s_and_saveexec_b32 s12, s16
	s_cbranch_execz .LBB14_30
; %bb.9:                                ;   in Loop: Header=BB14_4 Depth=1
	v_lshrrev_b32_e32 v1, 16, v1
	s_mov_b32 s16, 0
	s_delay_alu instid0(VALU_DEP_1) | instskip(NEXT) | instid1(VALU_DEP_1)
	v_cmp_class_f16_e64 s17, v1, 0x204
	s_and_saveexec_b32 s13, s17
	s_cbranch_execz .LBB14_29
; %bb.10:                               ;   in Loop: Header=BB14_4 Depth=1
	v_add_nc_u32_e32 v3, s9, v3
	s_mov_b32 s17, 0
	s_delay_alu instid0(VALU_DEP_1) | instskip(NEXT) | instid1(VALU_DEP_1)
	v_ashrrev_i32_e32 v4, 31, v3
	v_lshlrev_b64 v[7:8], 2, v[3:4]
	s_delay_alu instid0(VALU_DEP_1) | instskip(NEXT) | instid1(VALU_DEP_2)
	v_add_co_u32 v7, vcc_lo, s3, v7
	v_add_co_ci_u32_e32 v8, vcc_lo, s4, v8, vcc_lo
	global_load_b32 v1, v[7:8], off
	s_waitcnt vmcnt(0)
	v_cmp_class_f16_e64 s18, v1, 0x204
	s_delay_alu instid0(VALU_DEP_1)
	s_and_saveexec_b32 s16, s18
	s_cbranch_execz .LBB14_28
; %bb.11:                               ;   in Loop: Header=BB14_4 Depth=1
	v_lshrrev_b32_e32 v1, 16, v1
	s_mov_b32 s18, 0
	s_delay_alu instid0(VALU_DEP_1) | instskip(NEXT) | instid1(VALU_DEP_1)
	v_cmp_class_f16_e64 s19, v1, 0x204
	s_and_saveexec_b32 s17, s19
	s_cbranch_execz .LBB14_27
; %bb.12:                               ;   in Loop: Header=BB14_4 Depth=1
	v_add_nc_u32_e32 v3, s9, v3
	s_mov_b32 s19, 0
	s_delay_alu instid0(VALU_DEP_1) | instskip(NEXT) | instid1(VALU_DEP_1)
	v_ashrrev_i32_e32 v4, 31, v3
	v_lshlrev_b64 v[7:8], 2, v[3:4]
	s_delay_alu instid0(VALU_DEP_1) | instskip(NEXT) | instid1(VALU_DEP_2)
	v_add_co_u32 v7, vcc_lo, s3, v7
	v_add_co_ci_u32_e32 v8, vcc_lo, s4, v8, vcc_lo
	global_load_b32 v1, v[7:8], off
	s_waitcnt vmcnt(0)
	v_cmp_class_f16_e64 s20, v1, 0x204
	s_delay_alu instid0(VALU_DEP_1)
	s_and_saveexec_b32 s18, s20
	s_cbranch_execz .LBB14_26
; %bb.13:                               ;   in Loop: Header=BB14_4 Depth=1
	;; [unrolled: 22-line block ×4, first 2 shown]
	v_lshrrev_b32_e32 v1, 16, v1
	s_mov_b32 s24, 0
	s_delay_alu instid0(VALU_DEP_1) | instskip(NEXT) | instid1(VALU_DEP_1)
	v_cmp_class_f16_e64 s25, v1, 0x204
	s_and_saveexec_b32 s23, s25
	s_cbranch_execz .LBB14_21
; %bb.18:                               ;   in Loop: Header=BB14_4 Depth=1
	v_add_nc_u32_e32 v3, s9, v3
	s_delay_alu instid0(VALU_DEP_1) | instskip(NEXT) | instid1(VALU_DEP_1)
	v_ashrrev_i32_e32 v4, 31, v3
	v_lshlrev_b64 v[3:4], 2, v[3:4]
	s_delay_alu instid0(VALU_DEP_1) | instskip(NEXT) | instid1(VALU_DEP_2)
	v_add_co_u32 v3, vcc_lo, s3, v3
	v_add_co_ci_u32_e32 v4, vcc_lo, s4, v4, vcc_lo
	global_load_b32 v1, v[3:4], off
	s_waitcnt vmcnt(0)
	v_cmp_class_f16_e64 s26, v1, 0x204
	s_delay_alu instid0(VALU_DEP_1)
	s_and_saveexec_b32 s25, s26
; %bb.19:                               ;   in Loop: Header=BB14_4 Depth=1
	v_lshrrev_b32_e32 v1, 16, v1
	s_delay_alu instid0(VALU_DEP_1) | instskip(NEXT) | instid1(VALU_DEP_1)
	v_cmp_class_f16_e64 s24, v1, 0x204
	s_and_b32 s24, s24, exec_lo
; %bb.20:                               ;   in Loop: Header=BB14_4 Depth=1
	s_or_b32 exec_lo, exec_lo, s25
	s_delay_alu instid0(SALU_CYCLE_1)
	s_and_b32 s24, s24, exec_lo
.LBB14_21:                              ;   in Loop: Header=BB14_4 Depth=1
	s_or_b32 exec_lo, exec_lo, s23
	s_delay_alu instid0(SALU_CYCLE_1)
	s_and_b32 s23, s24, exec_lo
.LBB14_22:                              ;   in Loop: Header=BB14_4 Depth=1
	s_or_b32 exec_lo, exec_lo, s22
	s_delay_alu instid0(SALU_CYCLE_1)
	s_and_b32 s22, s23, exec_lo
.LBB14_23:                              ;   in Loop: Header=BB14_4 Depth=1
	s_or_b32 exec_lo, exec_lo, s21
	s_delay_alu instid0(SALU_CYCLE_1)
	s_and_b32 s21, s22, exec_lo
.LBB14_24:                              ;   in Loop: Header=BB14_4 Depth=1
	s_or_b32 exec_lo, exec_lo, s20
	s_delay_alu instid0(SALU_CYCLE_1)
	s_and_b32 s20, s21, exec_lo
.LBB14_25:                              ;   in Loop: Header=BB14_4 Depth=1
	s_or_b32 exec_lo, exec_lo, s19
	s_delay_alu instid0(SALU_CYCLE_1)
	s_and_b32 s19, s20, exec_lo
.LBB14_26:                              ;   in Loop: Header=BB14_4 Depth=1
	s_or_b32 exec_lo, exec_lo, s18
	s_delay_alu instid0(SALU_CYCLE_1)
	s_and_b32 s18, s19, exec_lo
.LBB14_27:                              ;   in Loop: Header=BB14_4 Depth=1
	s_or_b32 exec_lo, exec_lo, s17
	s_delay_alu instid0(SALU_CYCLE_1)
	s_and_b32 s17, s18, exec_lo
.LBB14_28:                              ;   in Loop: Header=BB14_4 Depth=1
	s_or_b32 exec_lo, exec_lo, s16
	s_delay_alu instid0(SALU_CYCLE_1)
	s_and_b32 s16, s17, exec_lo
.LBB14_29:                              ;   in Loop: Header=BB14_4 Depth=1
	s_or_b32 exec_lo, exec_lo, s13
	s_delay_alu instid0(SALU_CYCLE_1)
	s_and_b32 s13, s16, exec_lo
.LBB14_30:                              ;   in Loop: Header=BB14_4 Depth=1
	s_or_b32 exec_lo, exec_lo, s12
	s_delay_alu instid0(SALU_CYCLE_1)
	s_and_b32 s12, s13, exec_lo
.LBB14_31:                              ;   in Loop: Header=BB14_4 Depth=1
	s_or_b32 exec_lo, exec_lo, s11
	s_delay_alu instid0(SALU_CYCLE_1)
	s_and_b32 s11, s12, exec_lo
.LBB14_32:                              ;   in Loop: Header=BB14_4 Depth=1
	s_or_b32 exec_lo, exec_lo, s10
	s_delay_alu instid0(SALU_CYCLE_1)
	s_and_b32 s10, s11, exec_lo
.LBB14_33:                              ;   in Loop: Header=BB14_4 Depth=1
	s_or_b32 exec_lo, exec_lo, s8
	v_cndmask_b32_e64 v1, 0, 1, s10
	;;#ASMSTART
	;;#ASMEND
	s_delay_alu instid0(VALU_DEP_1)
	v_cmp_ne_u32_e32 vcc_lo, 0, v1
	s_mov_b32 s8, exec_lo
	s_and_saveexec_b32 s10, s0
	s_cbranch_execz .LBB14_3
; %bb.34:                               ;   in Loop: Header=BB14_4 Depth=1
	s_cmp_eq_u32 vcc_lo, s8
	s_cselect_b32 s8, -1, 0
	s_delay_alu instid0(SALU_CYCLE_1)
	v_cndmask_b32_e64 v1, 0, 1, s8
	ds_store_b32 v5, v1
	s_branch .LBB14_3
.LBB14_35:                              ;   in Loop: Header=BB14_4 Depth=1
                                        ; implicit-def: $sgpr5
	s_cbranch_execz .LBB14_4
.LBB14_36:
	s_mov_b32 s0, exec_lo
	v_cmpx_eq_u32_e32 0, v0
	s_cbranch_execz .LBB14_38
; %bb.37:
	s_mul_i32 s0, s1, s15
	v_dual_mov_b32 v0, 0 :: v_dual_mov_b32 v1, s2
	s_add_i32 s0, s0, s14
	s_delay_alu instid0(SALU_CYCLE_1) | instskip(NEXT) | instid1(SALU_CYCLE_1)
	s_ashr_i32 s1, s0, 31
	s_lshl_b64 s[0:1], s[0:1], 2
	s_delay_alu instid0(SALU_CYCLE_1)
	s_add_u32 s0, s6, s0
	s_addc_u32 s1, s7, s1
	global_store_b32 v0, v1, s[0:1]
.LBB14_38:
	s_nop 0
	s_sendmsg sendmsg(MSG_DEALLOC_VGPRS)
	s_endpgm
	.section	.rodata,"a",@progbits
	.p2align	6, 0x0
	.amdhsa_kernel _ZL25flash_attn_mask_to_KV_maxILi8EEvPK7__half2Piiii
		.amdhsa_group_segment_fixed_size 128
		.amdhsa_private_segment_fixed_size 0
		.amdhsa_kernarg_size 288
		.amdhsa_user_sgpr_count 14
		.amdhsa_user_sgpr_dispatch_ptr 0
		.amdhsa_user_sgpr_queue_ptr 0
		.amdhsa_user_sgpr_kernarg_segment_ptr 1
		.amdhsa_user_sgpr_dispatch_id 0
		.amdhsa_user_sgpr_private_segment_size 0
		.amdhsa_wavefront_size32 1
		.amdhsa_uses_dynamic_stack 0
		.amdhsa_enable_private_segment 0
		.amdhsa_system_sgpr_workgroup_id_x 1
		.amdhsa_system_sgpr_workgroup_id_y 1
		.amdhsa_system_sgpr_workgroup_id_z 0
		.amdhsa_system_sgpr_workgroup_info 0
		.amdhsa_system_vgpr_workitem_id 0
		.amdhsa_next_free_vgpr 9
		.amdhsa_next_free_sgpr 27
		.amdhsa_reserve_vcc 1
		.amdhsa_float_round_mode_32 0
		.amdhsa_float_round_mode_16_64 0
		.amdhsa_float_denorm_mode_32 3
		.amdhsa_float_denorm_mode_16_64 3
		.amdhsa_dx10_clamp 1
		.amdhsa_ieee_mode 1
		.amdhsa_fp16_overflow 0
		.amdhsa_workgroup_processor_mode 1
		.amdhsa_memory_ordered 1
		.amdhsa_forward_progress 0
		.amdhsa_shared_vgpr_count 0
		.amdhsa_exception_fp_ieee_invalid_op 0
		.amdhsa_exception_fp_denorm_src 0
		.amdhsa_exception_fp_ieee_div_zero 0
		.amdhsa_exception_fp_ieee_overflow 0
		.amdhsa_exception_fp_ieee_underflow 0
		.amdhsa_exception_fp_ieee_inexact 0
		.amdhsa_exception_int_div_zero 0
	.end_amdhsa_kernel
	.section	.text._ZL25flash_attn_mask_to_KV_maxILi8EEvPK7__half2Piiii,"axG",@progbits,_ZL25flash_attn_mask_to_KV_maxILi8EEvPK7__half2Piiii,comdat
.Lfunc_end14:
	.size	_ZL25flash_attn_mask_to_KV_maxILi8EEvPK7__half2Piiii, .Lfunc_end14-_ZL25flash_attn_mask_to_KV_maxILi8EEvPK7__half2Piiii
                                        ; -- End function
	.section	.AMDGPU.csdata,"",@progbits
; Kernel info:
; codeLenInByte = 1376
; NumSgprs: 29
; NumVgprs: 9
; ScratchSize: 0
; MemoryBound: 0
; FloatMode: 240
; IeeeMode: 1
; LDSByteSize: 128 bytes/workgroup (compile time only)
; SGPRBlocks: 3
; VGPRBlocks: 1
; NumSGPRsForWavesPerEU: 29
; NumVGPRsForWavesPerEU: 9
; Occupancy: 16
; WaveLimiterHint : 0
; COMPUTE_PGM_RSRC2:SCRATCH_EN: 0
; COMPUTE_PGM_RSRC2:USER_SGPR: 14
; COMPUTE_PGM_RSRC2:TRAP_HANDLER: 0
; COMPUTE_PGM_RSRC2:TGID_X_EN: 1
; COMPUTE_PGM_RSRC2:TGID_Y_EN: 1
; COMPUTE_PGM_RSRC2:TGID_Z_EN: 0
; COMPUTE_PGM_RSRC2:TIDIG_COMP_CNT: 0
	.section	.text._ZL33flash_attn_stream_k_fixup_uniformILi256ELi8ELi4EEvPfPK15HIP_vector_typeIfLj2EEiiiiiiS1_IjLj3EES5_S5_,"axG",@progbits,_ZL33flash_attn_stream_k_fixup_uniformILi256ELi8ELi4EEvPfPK15HIP_vector_typeIfLj2EEiiiiiiS1_IjLj3EES5_S5_,comdat
	.globl	_ZL33flash_attn_stream_k_fixup_uniformILi256ELi8ELi4EEvPfPK15HIP_vector_typeIfLj2EEiiiiiiS1_IjLj3EES5_S5_ ; -- Begin function _ZL33flash_attn_stream_k_fixup_uniformILi256ELi8ELi4EEvPfPK15HIP_vector_typeIfLj2EEiiiiiiS1_IjLj3EES5_S5_
	.p2align	8
	.type	_ZL33flash_attn_stream_k_fixup_uniformILi256ELi8ELi4EEvPfPK15HIP_vector_typeIfLj2EEiiiiiiS1_IjLj3EES5_S5_,@function
_ZL33flash_attn_stream_k_fixup_uniformILi256ELi8ELi4EEvPfPK15HIP_vector_typeIfLj2EEiiiiiiS1_IjLj3EES5_S5_: ; @_ZL33flash_attn_stream_k_fixup_uniformILi256ELi8ELi4EEvPfPK15HIP_vector_typeIfLj2EEiiiiiiS1_IjLj3EES5_S5_
; %bb.0:
	s_clause 0x1
	s_load_b256 s[4:11], s[0:1], 0x1c
	s_load_b128 s[16:19], s[0:1], 0x3c
	s_waitcnt lgkmcnt(0)
	s_mul_hi_u32 s2, s7, s13
	s_delay_alu instid0(SALU_CYCLE_1) | instskip(NEXT) | instid1(SALU_CYCLE_1)
	s_add_i32 s2, s13, s2
	s_lshr_b32 s2, s2, s8
	s_delay_alu instid0(SALU_CYCLE_1) | instskip(SKIP_2) | instid1(SALU_CYCLE_1)
	s_mul_i32 s3, s2, s9
	s_load_b64 s[8:9], s[0:1], 0x10
	s_sub_i32 s7, s13, s3
	s_mul_hi_u32 s3, s7, s10
	s_delay_alu instid0(SALU_CYCLE_1) | instskip(NEXT) | instid1(SALU_CYCLE_1)
	s_add_i32 s3, s7, s3
	s_lshr_b32 s3, s3, s11
	s_delay_alu instid0(SALU_CYCLE_1) | instskip(NEXT) | instid1(SALU_CYCLE_1)
	s_mul_i32 s10, s3, s16
	s_sub_i32 s7, s7, s10
	s_delay_alu instid0(SALU_CYCLE_1) | instskip(NEXT) | instid1(SALU_CYCLE_1)
	s_mul_hi_u32 s10, s7, s17
	s_add_i32 s10, s7, s10
	s_delay_alu instid0(SALU_CYCLE_1) | instskip(NEXT) | instid1(SALU_CYCLE_1)
	s_lshr_b32 s10, s10, s18
	s_mul_i32 s11, s10, s19
	s_lshl_b32 s10, s10, 2
	s_sub_i32 s7, s7, s11
	s_delay_alu instid0(SALU_CYCLE_1) | instskip(NEXT) | instid1(SALU_CYCLE_1)
	s_lshl_b32 s11, s7, 3
	s_add_i32 s11, s11, s14
	s_waitcnt lgkmcnt(0)
	s_cmp_lt_i32 s11, s8
	s_cselect_b32 s11, -1, 0
	s_add_i32 s12, s10, s15
	s_delay_alu instid0(SALU_CYCLE_1) | instskip(SKIP_1) | instid1(SALU_CYCLE_1)
	s_cmp_lt_i32 s12, s5
	s_cselect_b32 s12, -1, 0
	s_and_b32 s11, s11, s12
	s_delay_alu instid0(SALU_CYCLE_1)
	s_and_not1_b32 vcc_lo, exec_lo, s11
	s_cbranch_vccnz .LBB15_6
; %bb.1:
	s_mul_i32 s2, s2, s8
	s_mul_i32 s5, s3, s5
	s_add_i32 s2, s2, s14
	s_mul_i32 s7, s9, s7
	s_mul_i32 s2, s2, s9
	s_lshl_b32 s7, s7, 11
	s_add_i32 s8, s2, s15
	s_load_b128 s[0:3], s[0:1], 0x0
	s_add_i32 s5, s8, s5
	s_lshl_b32 s9, s14, 2
	s_add_i32 s5, s5, s10
	s_delay_alu instid0(SALU_CYCLE_1) | instskip(NEXT) | instid1(SALU_CYCLE_1)
	s_lshl_b32 s5, s5, 8
	s_add_i32 s7, s7, s5
	s_mul_i32 s5, s13, s6
	v_or_b32_e32 v1, s7, v0
	s_add_i32 s10, s5, s6
	s_delay_alu instid0(VALU_DEP_1) | instskip(NEXT) | instid1(VALU_DEP_1)
	v_ashrrev_i32_e32 v2, 31, v1
	v_lshlrev_b64 v[1:2], 2, v[1:2]
	s_waitcnt lgkmcnt(0)
	s_delay_alu instid0(VALU_DEP_1) | instskip(NEXT) | instid1(VALU_DEP_2)
	v_add_co_u32 v1, vcc_lo, s0, v1
	v_add_co_ci_u32_e32 v2, vcc_lo, s1, v2, vcc_lo
	s_add_i32 s0, s9, s15
	s_lshl_b32 s1, s10, 5
	s_delay_alu instid0(SALU_CYCLE_1) | instskip(SKIP_2) | instid1(SALU_CYCLE_1)
	s_add_i32 s0, s0, s1
	global_load_b32 v5, v[1:2], off
	s_sub_i32 s0, s0, 32
	s_ashr_i32 s1, s0, 31
	s_delay_alu instid0(SALU_CYCLE_1) | instskip(NEXT) | instid1(SALU_CYCLE_1)
	s_lshl_b64 s[0:1], s[0:1], 3
	s_add_u32 s0, s2, s0
	s_addc_u32 s1, s3, s1
	s_add_i32 s7, s10, -2
	s_load_b32 s11, s[0:1], 0x4
	s_cmp_lt_i32 s7, s5
	s_cbranch_scc1 .LBB15_4
; %bb.2:
	s_lshl_b32 s16, s4, 7
	s_load_b32 s12, s[0:1], 0x0
	s_ashr_i32 s17, s16, 31
	s_delay_alu instid0(SALU_CYCLE_1) | instskip(NEXT) | instid1(SALU_CYCLE_1)
	s_lshl_b64 s[0:1], s[16:17], 2
	s_add_u32 s7, s2, s0
	s_addc_u32 s8, s3, s1
	s_add_i32 s13, s13, 1
	s_lshl_b32 s0, s14, 10
	s_lshl_b32 s1, s15, 8
	s_mul_i32 s6, s6, s13
	s_add_i32 s0, s1, s0
	s_lshl_b32 s1, s6, 13
	s_delay_alu instid0(SALU_CYCLE_1)
	s_add_i32 s0, s0, s1
	s_lshl_b32 s1, s6, 5
	v_or_b32_e32 v0, s0, v0
	s_lshl_b32 s0, s4, 5
	s_add_i32 s1, s15, s1
	s_waitcnt lgkmcnt(0)
	v_mov_b32_e32 v6, s11
	s_add_i32 s0, s1, s0
	v_dual_mov_b32 v0, s12 :: v_dual_add_nc_u32 v3, 0xffffc000, v0
	s_add_i32 s0, s0, s9
	s_add_i32 s4, s10, -1
	s_sub_i32 s0, s0, 64
.LBB15_3:                               ; =>This Inner Loop Header: Depth=1
	s_delay_alu instid0(VALU_DEP_1) | instskip(SKIP_1) | instid1(SALU_CYCLE_1)
	v_ashrrev_i32_e32 v4, 31, v3
	s_ashr_i32 s1, s0, 31
	s_lshl_b64 s[10:11], s[0:1], 3
	s_delay_alu instid0(SALU_CYCLE_1) | instskip(NEXT) | instid1(VALU_DEP_1)
	s_add_u32 s10, s2, s10
	v_lshlrev_b64 v[7:8], 2, v[3:4]
	s_addc_u32 s11, s3, s11
	s_add_i32 s4, s4, -1
	s_sub_i32 s0, s0, 32
	s_cmp_le_i32 s4, s5
	s_load_b64 s[10:11], s[10:11], 0x0
	v_add_co_u32 v7, vcc_lo, s7, v7
	v_add_co_ci_u32_e32 v8, vcc_lo, s8, v8, vcc_lo
	global_load_b32 v4, v[7:8], off
	v_max_f32_e32 v7, v0, v0
	s_waitcnt lgkmcnt(0)
	v_max_f32_e64 v8, s10, s10
	s_delay_alu instid0(VALU_DEP_1) | instskip(NEXT) | instid1(VALU_DEP_1)
	v_max_f32_e32 v7, v7, v8
	v_sub_f32_e32 v8, s10, v7
	s_delay_alu instid0(VALU_DEP_1) | instskip(NEXT) | instid1(VALU_DEP_1)
	v_dual_sub_f32 v0, v0, v7 :: v_dual_mul_f32 v9, 0x3fb8aa3b, v8
	v_fma_f32 v10, 0x3fb8aa3b, v8, -v9
	v_rndne_f32_e32 v11, v9
	s_delay_alu instid0(VALU_DEP_3) | instskip(NEXT) | instid1(VALU_DEP_2)
	v_mul_f32_e32 v12, 0x3fb8aa3b, v0
	v_dual_fmac_f32 v10, 0x32a5705f, v8 :: v_dual_sub_f32 v9, v9, v11
	v_cvt_i32_f32_e32 v11, v11
	s_delay_alu instid0(VALU_DEP_3) | instskip(SKIP_1) | instid1(VALU_DEP_4)
	v_fma_f32 v13, 0x3fb8aa3b, v0, -v12
	v_rndne_f32_e32 v14, v12
	v_add_f32_e32 v9, v9, v10
	v_cmp_ngt_f32_e32 vcc_lo, 0xc2ce8ed0, v8
	s_delay_alu instid0(VALU_DEP_3) | instskip(NEXT) | instid1(VALU_DEP_3)
	v_sub_f32_e32 v10, v12, v14
	v_exp_f32_e32 v9, v9
	s_waitcnt_depctr 0xfff
	v_ldexp_f32 v9, v9, v11
	v_cvt_i32_f32_e32 v11, v14
	s_delay_alu instid0(VALU_DEP_2) | instskip(SKIP_1) | instid1(VALU_DEP_2)
	v_cndmask_b32_e32 v9, 0, v9, vcc_lo
	v_cmp_nlt_f32_e32 vcc_lo, 0x42b17218, v8
	v_cndmask_b32_e32 v9, 0x7f800000, v9, vcc_lo
	v_cmp_ngt_f32_e32 vcc_lo, 0xc2ce8ed0, v0
	v_fmac_f32_e32 v13, 0x32a5705f, v0
	s_delay_alu instid0(VALU_DEP_1) | instskip(NEXT) | instid1(VALU_DEP_1)
	v_add_f32_e32 v10, v10, v13
	v_exp_f32_e32 v10, v10
	s_waitcnt_depctr 0xfff
	v_ldexp_f32 v10, v10, v11
	s_delay_alu instid0(VALU_DEP_1)
	v_dual_mov_b32 v11, v6 :: v_dual_cndmask_b32 v10, 0, v10
	v_cmp_le_f32_e32 vcc_lo, 0xc1a00000, v8
	s_waitcnt vmcnt(1)
	v_dual_cndmask_b32 v8, 0, v9 :: v_dual_mov_b32 v9, v5
	v_cmp_nlt_f32_e32 vcc_lo, 0x42b17218, v0
	v_cndmask_b32_e32 v5, 0x7f800000, v10, vcc_lo
	s_delay_alu instid0(VALU_DEP_3) | instskip(SKIP_2) | instid1(VALU_DEP_3)
	v_mul_f32_e32 v10, s11, v8
	v_cmp_le_f32_e32 vcc_lo, 0xc1a00000, v0
	v_mov_b32_e32 v0, v7
	v_mov_b32_e32 v6, v10
	s_waitcnt vmcnt(0)
	v_dual_cndmask_b32 v12, 0, v5 :: v_dual_mul_f32 v5, v4, v8
	s_delay_alu instid0(VALU_DEP_1) | instskip(NEXT) | instid1(VALU_DEP_2)
	v_dual_fmac_f32 v6, v11, v12 :: v_dual_add_nc_u32 v3, 0xffffe000, v3
	v_fmac_f32_e32 v5, v9, v12
	s_cbranch_scc0 .LBB15_3
	s_branch .LBB15_5
.LBB15_4:
	s_waitcnt lgkmcnt(0)
	v_mov_b32_e32 v6, s11
.LBB15_5:
	s_waitcnt vmcnt(0)
	s_delay_alu instid0(VALU_DEP_1) | instskip(NEXT) | instid1(VALU_DEP_1)
	v_div_scale_f32 v0, null, v6, v6, v5
	v_rcp_f32_e32 v3, v0
	s_waitcnt_depctr 0xfff
	v_fma_f32 v4, -v0, v3, 1.0
	s_delay_alu instid0(VALU_DEP_1) | instskip(SKIP_1) | instid1(VALU_DEP_1)
	v_fmac_f32_e32 v3, v4, v3
	v_div_scale_f32 v4, vcc_lo, v5, v6, v5
	v_mul_f32_e32 v7, v4, v3
	s_delay_alu instid0(VALU_DEP_1) | instskip(NEXT) | instid1(VALU_DEP_1)
	v_fma_f32 v8, -v0, v7, v4
	v_fmac_f32_e32 v7, v8, v3
	s_delay_alu instid0(VALU_DEP_1) | instskip(NEXT) | instid1(VALU_DEP_1)
	v_fma_f32 v0, -v0, v7, v4
	v_div_fmas_f32 v0, v0, v3, v7
	s_delay_alu instid0(VALU_DEP_1)
	v_div_fixup_f32 v0, v0, v6, v5
	global_store_b32 v[1:2], v0, off
.LBB15_6:
	s_nop 0
	s_sendmsg sendmsg(MSG_DEALLOC_VGPRS)
	s_endpgm
	.section	.rodata,"a",@progbits
	.p2align	6, 0x0
	.amdhsa_kernel _ZL33flash_attn_stream_k_fixup_uniformILi256ELi8ELi4EEvPfPK15HIP_vector_typeIfLj2EEiiiiiiS1_IjLj3EES5_S5_
		.amdhsa_group_segment_fixed_size 0
		.amdhsa_private_segment_fixed_size 0
		.amdhsa_kernarg_size 76
		.amdhsa_user_sgpr_count 13
		.amdhsa_user_sgpr_dispatch_ptr 0
		.amdhsa_user_sgpr_queue_ptr 0
		.amdhsa_user_sgpr_kernarg_segment_ptr 1
		.amdhsa_user_sgpr_dispatch_id 0
		.amdhsa_user_sgpr_private_segment_size 0
		.amdhsa_wavefront_size32 1
		.amdhsa_uses_dynamic_stack 0
		.amdhsa_enable_private_segment 0
		.amdhsa_system_sgpr_workgroup_id_x 1
		.amdhsa_system_sgpr_workgroup_id_y 1
		.amdhsa_system_sgpr_workgroup_id_z 1
		.amdhsa_system_sgpr_workgroup_info 0
		.amdhsa_system_vgpr_workitem_id 0
		.amdhsa_next_free_vgpr 15
		.amdhsa_next_free_sgpr 20
		.amdhsa_reserve_vcc 1
		.amdhsa_float_round_mode_32 0
		.amdhsa_float_round_mode_16_64 0
		.amdhsa_float_denorm_mode_32 3
		.amdhsa_float_denorm_mode_16_64 3
		.amdhsa_dx10_clamp 1
		.amdhsa_ieee_mode 1
		.amdhsa_fp16_overflow 0
		.amdhsa_workgroup_processor_mode 1
		.amdhsa_memory_ordered 1
		.amdhsa_forward_progress 0
		.amdhsa_shared_vgpr_count 0
		.amdhsa_exception_fp_ieee_invalid_op 0
		.amdhsa_exception_fp_denorm_src 0
		.amdhsa_exception_fp_ieee_div_zero 0
		.amdhsa_exception_fp_ieee_overflow 0
		.amdhsa_exception_fp_ieee_underflow 0
		.amdhsa_exception_fp_ieee_inexact 0
		.amdhsa_exception_int_div_zero 0
	.end_amdhsa_kernel
	.section	.text._ZL33flash_attn_stream_k_fixup_uniformILi256ELi8ELi4EEvPfPK15HIP_vector_typeIfLj2EEiiiiiiS1_IjLj3EES5_S5_,"axG",@progbits,_ZL33flash_attn_stream_k_fixup_uniformILi256ELi8ELi4EEvPfPK15HIP_vector_typeIfLj2EEiiiiiiS1_IjLj3EES5_S5_,comdat
.Lfunc_end15:
	.size	_ZL33flash_attn_stream_k_fixup_uniformILi256ELi8ELi4EEvPfPK15HIP_vector_typeIfLj2EEiiiiiiS1_IjLj3EES5_S5_, .Lfunc_end15-_ZL33flash_attn_stream_k_fixup_uniformILi256ELi8ELi4EEvPfPK15HIP_vector_typeIfLj2EEiiiiiiS1_IjLj3EES5_S5_
                                        ; -- End function
	.section	.AMDGPU.csdata,"",@progbits
; Kernel info:
; codeLenInByte = 996
; NumSgprs: 22
; NumVgprs: 15
; ScratchSize: 0
; MemoryBound: 0
; FloatMode: 240
; IeeeMode: 1
; LDSByteSize: 0 bytes/workgroup (compile time only)
; SGPRBlocks: 2
; VGPRBlocks: 1
; NumSGPRsForWavesPerEU: 22
; NumVGPRsForWavesPerEU: 15
; Occupancy: 16
; WaveLimiterHint : 0
; COMPUTE_PGM_RSRC2:SCRATCH_EN: 0
; COMPUTE_PGM_RSRC2:USER_SGPR: 13
; COMPUTE_PGM_RSRC2:TRAP_HANDLER: 0
; COMPUTE_PGM_RSRC2:TGID_X_EN: 1
; COMPUTE_PGM_RSRC2:TGID_Y_EN: 1
; COMPUTE_PGM_RSRC2:TGID_Z_EN: 1
; COMPUTE_PGM_RSRC2:TIDIG_COMP_CNT: 0
	.section	.text._ZL33flash_attn_stream_k_fixup_generalILi256ELi8ELi4EEvPfPK15HIP_vector_typeIfLj2EEiiiiS1_IjLj3EES5_S5_S5_,"axG",@progbits,_ZL33flash_attn_stream_k_fixup_generalILi256ELi8ELi4EEvPfPK15HIP_vector_typeIfLj2EEiiiiS1_IjLj3EES5_S5_S5_,comdat
	.globl	_ZL33flash_attn_stream_k_fixup_generalILi256ELi8ELi4EEvPfPK15HIP_vector_typeIfLj2EEiiiiS1_IjLj3EES5_S5_S5_ ; -- Begin function _ZL33flash_attn_stream_k_fixup_generalILi256ELi8ELi4EEvPfPK15HIP_vector_typeIfLj2EEiiiiS1_IjLj3EES5_S5_S5_
	.p2align	8
	.type	_ZL33flash_attn_stream_k_fixup_generalILi256ELi8ELi4EEvPfPK15HIP_vector_typeIfLj2EEiiiiS1_IjLj3EES5_S5_S5_,@function
_ZL33flash_attn_stream_k_fixup_generalILi256ELi8ELi4EEvPfPK15HIP_vector_typeIfLj2EEiiiiS1_IjLj3EES5_S5_S5_: ; @_ZL33flash_attn_stream_k_fixup_generalILi256ELi8ELi4EEvPfPK15HIP_vector_typeIfLj2EEiiiiS1_IjLj3EES5_S5_S5_
; %bb.0:
	s_clause 0x1
	s_load_b128 s[4:7], s[0:1], 0x10
	s_load_b32 s20, s[0:1], 0x50
	s_mov_b32 s2, 0
	s_waitcnt lgkmcnt(0)
	s_mul_hi_i32 s3, s7, s13
	s_mul_i32 s12, s7, s13
	s_cmp_lg_u64 s[2:3], 0
	s_cbranch_scc0 .LBB16_21
; %bb.1:
	v_cvt_f32_ubyte0_e32 v1, 0
	v_cvt_f32_u32_e32 v2, s20
	s_sub_u32 s10, 0, s20
	s_subb_u32 s11, 0, 0
	s_delay_alu instid0(VALU_DEP_1) | instskip(NEXT) | instid1(VALU_DEP_1)
	v_fmamk_f32 v1, v1, 0x4f800000, v2
	v_rcp_f32_e32 v1, v1
	s_waitcnt_depctr 0xfff
	v_mul_f32_e32 v1, 0x5f7ffffc, v1
	s_delay_alu instid0(VALU_DEP_1) | instskip(NEXT) | instid1(VALU_DEP_1)
	v_mul_f32_e32 v2, 0x2f800000, v1
	v_trunc_f32_e32 v2, v2
	s_delay_alu instid0(VALU_DEP_1) | instskip(SKIP_1) | instid1(VALU_DEP_2)
	v_fmamk_f32 v1, v2, 0xcf800000, v1
	v_cvt_u32_f32_e32 v2, v2
	v_cvt_u32_f32_e32 v1, v1
	s_delay_alu instid0(VALU_DEP_2) | instskip(NEXT) | instid1(VALU_DEP_2)
	v_readfirstlane_b32 s8, v2
	v_readfirstlane_b32 s9, v1
	s_delay_alu instid0(VALU_DEP_2) | instskip(NEXT) | instid1(VALU_DEP_1)
	s_mul_i32 s16, s10, s8
	s_mul_hi_u32 s18, s10, s9
	s_mul_i32 s17, s11, s9
	s_add_i32 s16, s18, s16
	s_mul_i32 s19, s10, s9
	s_add_i32 s16, s16, s17
	s_mul_hi_u32 s18, s9, s19
	s_mul_hi_u32 s21, s8, s19
	s_mul_i32 s17, s8, s19
	s_mul_hi_u32 s19, s9, s16
	s_mul_i32 s9, s9, s16
	s_mul_hi_u32 s22, s8, s16
	s_add_u32 s9, s18, s9
	s_addc_u32 s18, 0, s19
	s_add_u32 s9, s9, s17
	s_mul_i32 s16, s8, s16
	s_addc_u32 s9, s18, s21
	s_addc_u32 s17, s22, 0
	s_add_u32 s9, s9, s16
	s_addc_u32 s16, 0, s17
	v_add_co_u32 v1, s9, v1, s9
	s_delay_alu instid0(VALU_DEP_1) | instskip(SKIP_1) | instid1(VALU_DEP_1)
	s_cmp_lg_u32 s9, 0
	s_addc_u32 s8, s8, s16
	v_readfirstlane_b32 s9, v1
	s_mul_i32 s16, s10, s8
	s_delay_alu instid0(VALU_DEP_1)
	s_mul_hi_u32 s17, s10, s9
	s_mul_i32 s11, s11, s9
	s_add_i32 s16, s17, s16
	s_mul_i32 s10, s10, s9
	s_add_i32 s16, s16, s11
	s_mul_hi_u32 s17, s8, s10
	s_mul_i32 s18, s8, s10
	s_mul_hi_u32 s10, s9, s10
	s_mul_hi_u32 s19, s9, s16
	s_mul_i32 s9, s9, s16
	s_mul_hi_u32 s11, s8, s16
	s_add_u32 s9, s10, s9
	s_addc_u32 s10, 0, s19
	s_add_u32 s9, s9, s18
	s_mul_i32 s16, s8, s16
	s_addc_u32 s9, s10, s17
	s_addc_u32 s10, s11, 0
	s_add_u32 s9, s9, s16
	s_addc_u32 s10, 0, s10
	v_add_co_u32 v1, s9, v1, s9
	s_delay_alu instid0(VALU_DEP_1) | instskip(SKIP_2) | instid1(SALU_CYCLE_1)
	s_cmp_lg_u32 s9, 0
	s_addc_u32 s16, s8, s10
	s_ashr_i32 s8, s3, 31
	s_add_u32 s10, s12, s8
	s_addc_u32 s11, s3, s8
	v_readfirstlane_b32 s3, v1
	s_mov_b32 s9, s8
	s_delay_alu instid0(SALU_CYCLE_1) | instskip(NEXT) | instid1(SALU_CYCLE_1)
	s_xor_b64 s[10:11], s[10:11], s[8:9]
	s_mul_i32 s18, s10, s16
	s_delay_alu instid0(VALU_DEP_1)
	s_mul_hi_u32 s19, s10, s3
	s_mul_hi_u32 s17, s10, s16
	;; [unrolled: 1-line block ×3, first 2 shown]
	s_mul_i32 s3, s11, s3
	s_add_u32 s18, s19, s18
	s_addc_u32 s17, 0, s17
	s_mul_hi_u32 s21, s11, s16
	s_add_u32 s3, s18, s3
	s_mul_i32 s16, s11, s16
	s_addc_u32 s3, s17, s22
	s_addc_u32 s17, s21, 0
	s_add_u32 s3, s3, s16
	s_addc_u32 s16, 0, s17
	s_mul_i32 s18, s20, s3
	s_add_u32 s17, s3, 1
	v_sub_co_u32 v1, s10, s10, s18
	s_mul_hi_u32 s18, s20, s3
	s_addc_u32 s19, s16, 0
	s_mul_i32 s21, s20, s16
	s_delay_alu instid0(VALU_DEP_1)
	v_sub_co_u32 v2, s22, v1, s20
	s_add_u32 s23, s3, 2
	s_addc_u32 s24, s16, 0
	s_add_i32 s18, s18, s21
	s_cmp_lg_u32 s10, 0
	v_readfirstlane_b32 s10, v2
	s_subb_u32 s11, s11, s18
	s_cmp_lg_u32 s22, 0
	s_subb_u32 s18, s11, 0
	s_delay_alu instid0(VALU_DEP_1) | instskip(SKIP_4) | instid1(SALU_CYCLE_1)
	s_cmp_ge_u32 s10, s20
	s_cselect_b32 s10, -1, 0
	s_cmp_eq_u32 s18, 0
	v_readfirstlane_b32 s18, v1
	s_cselect_b32 s10, s10, -1
	s_cmp_lg_u32 s10, 0
	s_cselect_b32 s10, s23, s17
	s_cselect_b32 s17, s24, s19
	s_cmp_ge_u32 s18, s20
	s_cselect_b32 s18, -1, 0
	s_cmp_eq_u32 s11, 0
	s_cselect_b32 s11, s18, -1
	s_delay_alu instid0(SALU_CYCLE_1) | instskip(SKIP_2) | instid1(SALU_CYCLE_1)
	s_cmp_lg_u32 s11, 0
	s_cselect_b32 s11, s17, s16
	s_cselect_b32 s10, s10, s3
	s_xor_b64 s[10:11], s[10:11], s[8:9]
	s_delay_alu instid0(SALU_CYCLE_1)
	s_sub_u32 s16, s10, s8
	s_load_b128 s[8:11], s[0:1], 0x44
	s_and_not1_b32 vcc_lo, exec_lo, s2
	s_cbranch_vccnz .LBB16_3
.LBB16_2:
	v_cvt_f32_u32_e32 v1, s20
	s_sub_i32 s3, 0, s20
	s_delay_alu instid0(VALU_DEP_1) | instskip(SKIP_2) | instid1(VALU_DEP_1)
	v_rcp_iflag_f32_e32 v1, v1
	s_waitcnt_depctr 0xfff
	v_mul_f32_e32 v1, 0x4f7ffffe, v1
	v_cvt_u32_f32_e32 v1, v1
	s_delay_alu instid0(VALU_DEP_1) | instskip(NEXT) | instid1(VALU_DEP_1)
	v_readfirstlane_b32 s2, v1
	s_mul_i32 s3, s3, s2
	s_delay_alu instid0(SALU_CYCLE_1) | instskip(NEXT) | instid1(SALU_CYCLE_1)
	s_mul_hi_u32 s3, s2, s3
	s_add_i32 s2, s2, s3
	s_delay_alu instid0(SALU_CYCLE_1) | instskip(NEXT) | instid1(SALU_CYCLE_1)
	s_mul_hi_u32 s2, s12, s2
	s_mul_i32 s3, s2, s20
	s_waitcnt lgkmcnt(0)
	s_add_i32 s11, s2, 1
	s_sub_i32 s3, s12, s3
	s_delay_alu instid0(SALU_CYCLE_1)
	s_sub_i32 s12, s3, s20
	s_cmp_ge_u32 s3, s20
	s_cselect_b32 s2, s11, s2
	s_cselect_b32 s3, s12, s3
	s_add_i32 s11, s2, 1
	s_cmp_ge_u32 s3, s20
	s_cselect_b32 s16, s11, s2
.LBB16_3:
	s_waitcnt lgkmcnt(0)
	s_add_i32 s11, s13, 1
	s_mov_b32 s2, 0
	s_mul_hi_i32 s3, s7, s11
	s_mul_i32 s11, s7, s11
	s_cmp_lg_u64 s[2:3], 0
	s_cbranch_scc0 .LBB16_22
; %bb.4:
	v_cvt_f32_ubyte0_e32 v1, 0
	v_cvt_f32_u32_e32 v2, s20
	s_sub_u32 s18, 0, s20
	s_subb_u32 s19, 0, 0
	s_delay_alu instid0(VALU_DEP_1) | instskip(NEXT) | instid1(VALU_DEP_1)
	v_fmamk_f32 v1, v1, 0x4f800000, v2
	v_rcp_f32_e32 v1, v1
	s_waitcnt_depctr 0xfff
	v_mul_f32_e32 v1, 0x5f7ffffc, v1
	s_delay_alu instid0(VALU_DEP_1) | instskip(NEXT) | instid1(VALU_DEP_1)
	v_mul_f32_e32 v2, 0x2f800000, v1
	v_trunc_f32_e32 v2, v2
	s_delay_alu instid0(VALU_DEP_1) | instskip(SKIP_1) | instid1(VALU_DEP_2)
	v_fmamk_f32 v1, v2, 0xcf800000, v1
	v_cvt_u32_f32_e32 v2, v2
	v_cvt_u32_f32_e32 v1, v1
	s_delay_alu instid0(VALU_DEP_2) | instskip(NEXT) | instid1(VALU_DEP_2)
	v_readfirstlane_b32 s12, v2
	v_readfirstlane_b32 s17, v1
	s_delay_alu instid0(VALU_DEP_2) | instskip(NEXT) | instid1(VALU_DEP_1)
	s_mul_i32 s21, s18, s12
	s_mul_hi_u32 s23, s18, s17
	s_mul_i32 s22, s19, s17
	s_add_i32 s21, s23, s21
	s_mul_i32 s24, s18, s17
	s_add_i32 s21, s21, s22
	s_mul_hi_u32 s23, s17, s24
	s_mul_hi_u32 s25, s12, s24
	s_mul_i32 s22, s12, s24
	s_mul_hi_u32 s24, s17, s21
	s_mul_i32 s17, s17, s21
	s_mul_hi_u32 s26, s12, s21
	s_add_u32 s17, s23, s17
	s_addc_u32 s23, 0, s24
	s_add_u32 s17, s17, s22
	s_mul_i32 s21, s12, s21
	s_addc_u32 s17, s23, s25
	s_addc_u32 s22, s26, 0
	s_add_u32 s17, s17, s21
	s_addc_u32 s21, 0, s22
	v_add_co_u32 v1, s17, v1, s17
	s_delay_alu instid0(VALU_DEP_1) | instskip(SKIP_1) | instid1(VALU_DEP_1)
	s_cmp_lg_u32 s17, 0
	s_addc_u32 s12, s12, s21
	v_readfirstlane_b32 s17, v1
	s_mul_i32 s21, s18, s12
	s_delay_alu instid0(VALU_DEP_1)
	s_mul_hi_u32 s22, s18, s17
	s_mul_i32 s19, s19, s17
	s_add_i32 s21, s22, s21
	s_mul_i32 s18, s18, s17
	s_add_i32 s21, s21, s19
	s_mul_hi_u32 s22, s12, s18
	s_mul_i32 s23, s12, s18
	s_mul_hi_u32 s18, s17, s18
	s_mul_hi_u32 s24, s17, s21
	s_mul_i32 s17, s17, s21
	s_mul_hi_u32 s19, s12, s21
	s_add_u32 s17, s18, s17
	s_addc_u32 s18, 0, s24
	s_add_u32 s17, s17, s23
	s_mul_i32 s21, s12, s21
	s_addc_u32 s17, s18, s22
	s_addc_u32 s18, s19, 0
	s_add_u32 s17, s17, s21
	s_addc_u32 s18, 0, s18
	v_add_co_u32 v1, s17, v1, s17
	s_delay_alu instid0(VALU_DEP_1) | instskip(SKIP_2) | instid1(SALU_CYCLE_1)
	s_cmp_lg_u32 s17, 0
	s_addc_u32 s12, s12, s18
	s_ashr_i32 s18, s3, 31
	s_add_u32 s22, s11, s18
	s_addc_u32 s23, s3, s18
	v_readfirstlane_b32 s3, v1
	s_mov_b32 s19, s18
	s_delay_alu instid0(SALU_CYCLE_1) | instskip(NEXT) | instid1(SALU_CYCLE_1)
	s_xor_b64 s[22:23], s[22:23], s[18:19]
	s_mul_i32 s21, s22, s12
	s_delay_alu instid0(VALU_DEP_1)
	s_mul_hi_u32 s24, s22, s3
	s_mul_hi_u32 s17, s22, s12
	;; [unrolled: 1-line block ×3, first 2 shown]
	s_mul_i32 s3, s23, s3
	s_add_u32 s21, s24, s21
	s_addc_u32 s17, 0, s17
	s_mul_hi_u32 s25, s23, s12
	s_add_u32 s3, s21, s3
	s_mul_i32 s12, s23, s12
	s_addc_u32 s3, s17, s26
	s_addc_u32 s17, s25, 0
	s_add_u32 s3, s3, s12
	s_addc_u32 s12, 0, s17
	s_mul_i32 s21, s20, s3
	s_add_u32 s17, s3, 1
	v_sub_co_u32 v1, s21, s22, s21
	s_mul_hi_u32 s22, s20, s3
	s_addc_u32 s24, s12, 0
	s_mul_i32 s25, s20, s12
	s_delay_alu instid0(VALU_DEP_1)
	v_sub_co_u32 v2, s26, v1, s20
	s_add_u32 s27, s3, 2
	s_addc_u32 s28, s12, 0
	s_add_i32 s22, s22, s25
	s_cmp_lg_u32 s21, 0
	v_readfirstlane_b32 s21, v2
	s_subb_u32 s22, s23, s22
	s_cmp_lg_u32 s26, 0
	s_subb_u32 s23, s22, 0
	s_delay_alu instid0(VALU_DEP_1) | instskip(SKIP_4) | instid1(SALU_CYCLE_1)
	s_cmp_ge_u32 s21, s20
	s_cselect_b32 s21, -1, 0
	s_cmp_eq_u32 s23, 0
	v_readfirstlane_b32 s23, v1
	s_cselect_b32 s21, s21, -1
	s_cmp_lg_u32 s21, 0
	s_cselect_b32 s17, s27, s17
	s_cselect_b32 s21, s28, s24
	s_cmp_ge_u32 s23, s20
	s_cselect_b32 s23, -1, 0
	s_cmp_eq_u32 s22, 0
	s_cselect_b32 s22, s23, -1
	s_delay_alu instid0(SALU_CYCLE_1) | instskip(SKIP_2) | instid1(SALU_CYCLE_1)
	s_cmp_lg_u32 s22, 0
	s_cselect_b32 s23, s21, s12
	s_cselect_b32 s22, s17, s3
	s_xor_b64 s[22:23], s[22:23], s[18:19]
	s_delay_alu instid0(SALU_CYCLE_1)
	s_sub_u32 s18, s22, s18
	s_and_not1_b32 vcc_lo, exec_lo, s2
	s_cbranch_vccnz .LBB16_6
.LBB16_5:
	v_cvt_f32_u32_e32 v1, s20
	s_sub_i32 s3, 0, s20
	s_delay_alu instid0(VALU_DEP_1) | instskip(SKIP_2) | instid1(VALU_DEP_1)
	v_rcp_iflag_f32_e32 v1, v1
	s_waitcnt_depctr 0xfff
	v_mul_f32_e32 v1, 0x4f7ffffe, v1
	v_cvt_u32_f32_e32 v1, v1
	s_delay_alu instid0(VALU_DEP_1) | instskip(NEXT) | instid1(VALU_DEP_1)
	v_readfirstlane_b32 s2, v1
	s_mul_i32 s3, s3, s2
	s_delay_alu instid0(SALU_CYCLE_1) | instskip(NEXT) | instid1(SALU_CYCLE_1)
	s_mul_hi_u32 s3, s2, s3
	s_add_i32 s2, s2, s3
	s_delay_alu instid0(SALU_CYCLE_1) | instskip(NEXT) | instid1(SALU_CYCLE_1)
	s_mul_hi_u32 s2, s11, s2
	s_mul_i32 s3, s2, s20
	s_delay_alu instid0(SALU_CYCLE_1)
	s_sub_i32 s3, s11, s3
	s_add_i32 s11, s2, 1
	s_sub_i32 s12, s3, s20
	s_cmp_ge_u32 s3, s20
	s_cselect_b32 s2, s11, s2
	s_cselect_b32 s3, s12, s3
	s_add_i32 s11, s2, 1
	s_cmp_ge_u32 s3, s20
	s_cselect_b32 s18, s11, s2
.LBB16_6:
	s_delay_alu instid0(SALU_CYCLE_1) | instskip(SKIP_3) | instid1(SALU_CYCLE_1)
	s_cmp_eq_u32 s16, s18
	s_mul_hi_u32 s2, s16, s8
	s_cselect_b32 s3, -1, 0
	s_add_i32 s2, s2, s16
	s_lshr_b32 s11, s2, s9
	s_delay_alu instid0(SALU_CYCLE_1) | instskip(NEXT) | instid1(SALU_CYCLE_1)
	s_mul_i32 s2, s11, s10
	s_cmp_eq_u32 s2, s16
	s_mul_hi_u32 s2, s18, s8
	s_cselect_b32 s12, -1, 0
	s_add_i32 s2, s2, s18
	s_delay_alu instid0(SALU_CYCLE_1) | instskip(NEXT) | instid1(SALU_CYCLE_1)
	s_lshr_b32 s2, s2, s9
	s_cmp_eq_u32 s11, s2
	s_mul_i32 s2, s2, s10
	s_cselect_b32 s17, -1, 0
	s_cmp_lg_u32 s2, s18
	s_cselect_b32 s2, -1, 0
	s_or_b32 s3, s3, s12
	s_and_b32 s2, s17, s2
	s_delay_alu instid0(SALU_CYCLE_1) | instskip(NEXT) | instid1(SALU_CYCLE_1)
	s_or_b32 s2, s3, s2
	s_and_b32 vcc_lo, exec_lo, s2
	s_cbranch_vccnz .LBB16_24
; %bb.7:
	s_load_b256 s[24:31], s[0:1], 0x20
	s_waitcnt lgkmcnt(0)
	s_mul_hi_u32 s2, s16, s24
	s_delay_alu instid0(SALU_CYCLE_1) | instskip(NEXT) | instid1(SALU_CYCLE_1)
	s_add_i32 s2, s2, s16
	s_lshr_b32 s17, s2, s25
	s_load_b32 s2, s[0:1], 0x40
	s_mul_i32 s3, s17, s26
	s_delay_alu instid0(SALU_CYCLE_1) | instskip(NEXT) | instid1(SALU_CYCLE_1)
	s_sub_i32 s3, s16, s3
	s_mul_hi_u32 s12, s3, s27
	s_delay_alu instid0(SALU_CYCLE_1) | instskip(NEXT) | instid1(SALU_CYCLE_1)
	s_add_i32 s12, s3, s12
	s_lshr_b32 s21, s12, s28
	s_delay_alu instid0(SALU_CYCLE_1) | instskip(NEXT) | instid1(SALU_CYCLE_1)
	s_mul_i32 s12, s21, s29
	s_sub_i32 s3, s3, s12
	s_delay_alu instid0(SALU_CYCLE_1) | instskip(NEXT) | instid1(SALU_CYCLE_1)
	s_mul_hi_u32 s12, s3, s30
	s_add_i32 s12, s3, s12
	s_delay_alu instid0(SALU_CYCLE_1)
	s_lshr_b32 s12, s12, s31
	s_waitcnt lgkmcnt(0)
	s_mul_i32 s2, s12, s2
	s_lshl_b32 s23, s12, 2
	s_sub_i32 s2, s3, s2
	s_mov_b32 s12, 0
	s_mul_hi_u32 s3, s2, s8
	s_delay_alu instid0(SALU_CYCLE_1) | instskip(NEXT) | instid1(SALU_CYCLE_1)
	s_add_i32 s2, s2, s3
	s_lshr_b32 s22, s2, s9
	s_delay_alu instid0(SALU_CYCLE_1) | instskip(NEXT) | instid1(SALU_CYCLE_1)
	s_lshl_b32 s2, s22, 3
	s_add_i32 s2, s2, s14
	s_delay_alu instid0(SALU_CYCLE_1) | instskip(SKIP_2) | instid1(SALU_CYCLE_1)
	s_cmp_lt_i32 s2, s4
	s_cselect_b32 s2, -1, 0
	s_add_i32 s3, s23, s15
	s_cmp_lt_i32 s3, s6
	s_cselect_b32 s3, -1, 0
	s_delay_alu instid0(SALU_CYCLE_1) | instskip(NEXT) | instid1(SALU_CYCLE_1)
	s_and_b32 s2, s2, s3
	s_and_not1_b32 vcc_lo, exec_lo, s2
	s_cbranch_vccnz .LBB16_24
; %bb.8:
	s_load_b128 s[0:3], s[0:1], 0x0
	s_lshl_b32 s18, s20, 7
	s_mov_b32 s19, s12
	s_lshl_b32 s24, s14, 2
	s_lshl_b64 s[18:19], s[18:19], 2
	s_mul_i32 s4, s17, s4
	s_add_i32 s17, s24, s15
	s_mul_i32 s21, s21, s6
	v_cvt_f32_ubyte0_e32 v4, 0
	v_cvt_f32_u32_e32 v5, s20
	s_waitcnt lgkmcnt(0)
	s_add_u32 s18, s2, s18
	s_addc_u32 s19, s3, s19
	s_add_i32 s4, s4, s14
	s_delay_alu instid0(SALU_CYCLE_1) | instskip(SKIP_4) | instid1(SALU_CYCLE_1)
	s_mul_i32 s4, s4, s5
	s_mul_i32 s5, s5, s22
	s_add_i32 s4, s4, s15
	s_lshl_b32 s5, s5, 11
	s_add_i32 s4, s4, s21
	s_add_i32 s4, s4, s23
	s_delay_alu instid0(SALU_CYCLE_1) | instskip(NEXT) | instid1(SALU_CYCLE_1)
	s_lshl_b32 s4, s4, 8
	s_add_i32 s5, s5, s4
	s_delay_alu instid0(SALU_CYCLE_1) | instskip(SKIP_1) | instid1(VALU_DEP_2)
	v_or_b32_e32 v1, s5, v0
	v_lshl_or_b32 v0, s17, 8, v0
	v_ashrrev_i32_e32 v2, 31, v1
	s_delay_alu instid0(VALU_DEP_1) | instskip(NEXT) | instid1(VALU_DEP_1)
	v_lshlrev_b64 v[1:2], 2, v[1:2]
	v_add_co_u32 v1, vcc_lo, s0, v1
	s_delay_alu instid0(VALU_DEP_2) | instskip(SKIP_1) | instid1(SALU_CYCLE_1)
	v_add_co_ci_u32_e32 v2, vcc_lo, s1, v2, vcc_lo
	s_lshl_b32 s0, s13, 5
	s_add_i32 s0, s17, s0
	global_load_b32 v3, v[1:2], off
	s_ashr_i32 s1, s0, 31
	s_delay_alu instid0(SALU_CYCLE_1) | instskip(NEXT) | instid1(SALU_CYCLE_1)
	s_lshl_b64 s[0:1], s[0:1], 3
	s_add_u32 s0, s2, s0
	s_addc_u32 s1, s3, s1
	s_add_i32 s14, s13, -1
	s_load_b64 s[0:1], s[0:1], 0x0
	v_fmac_f32_e32 v5, 0x4f800000, v4
	s_sub_i32 s6, 0, s20
	s_waitcnt lgkmcnt(0)
	v_mov_b32_e32 v8, s0
	s_delay_alu instid0(VALU_DEP_2) | instskip(SKIP_2) | instid1(VALU_DEP_2)
	v_rcp_f32_e32 v4, v5
	v_cvt_f32_u32_e32 v5, s20
	v_mov_b32_e32 v7, s1
	v_rcp_iflag_f32_e32 v5, v5
	s_waitcnt_depctr 0xfff
	v_mul_f32_e32 v4, 0x5f7ffffc, v4
	s_delay_alu instid0(VALU_DEP_1) | instskip(SKIP_1) | instid1(VALU_DEP_2)
	v_mul_f32_e32 v6, 0x2f800000, v4
	v_mul_f32_e32 v9, 0x4f7ffffe, v5
	v_trunc_f32_e32 v6, v6
	s_delay_alu instid0(VALU_DEP_1) | instskip(SKIP_1) | instid1(VALU_DEP_4)
	v_fmac_f32_e32 v4, 0xcf800000, v6
	v_cvt_u32_f32_e32 v5, v6
	v_cvt_u32_f32_e32 v6, v9
	s_delay_alu instid0(VALU_DEP_3)
	v_cvt_u32_f32_e32 v4, v4
.LBB16_9:                               ; =>This Inner Loop Header: Depth=1
	s_mul_hi_i32 s13, s14, s7
	s_mul_i32 s4, s14, s7
	s_cmp_lg_u64 s[12:13], 0
	s_mov_b32 s5, -1
                                        ; implicit-def: $sgpr0_sgpr1
	s_cbranch_scc0 .LBB16_11
; %bb.10:                               ;   in Loop: Header=BB16_9 Depth=1
	v_readfirstlane_b32 s0, v4
	v_readfirstlane_b32 s1, v5
	s_sub_u32 s5, 0, s20
	s_subb_u32 s15, 0, 0
	s_delay_alu instid0(VALU_DEP_2) | instskip(NEXT) | instid1(VALU_DEP_1)
	s_mul_hi_u32 s21, s5, s0
	s_mul_i32 s22, s5, s1
	s_mul_i32 s23, s15, s0
	s_add_i32 s21, s21, s22
	s_mul_i32 s22, s5, s0
	s_add_i32 s21, s21, s23
	s_mul_hi_u32 s23, s0, s22
	s_mul_i32 s24, s0, s21
	s_mul_hi_u32 s0, s0, s21
	s_add_u32 s23, s23, s24
	s_mul_i32 s25, s1, s22
	s_addc_u32 s0, 0, s0
	s_mul_hi_u32 s22, s1, s22
	s_mul_hi_u32 s24, s1, s21
	s_add_u32 s23, s23, s25
	s_addc_u32 s0, s0, s22
	s_mul_i32 s21, s1, s21
	s_addc_u32 s22, s24, 0
	s_add_u32 s0, s0, s21
	s_addc_u32 s21, 0, s22
	v_add_co_u32 v9, s0, v4, s0
	s_delay_alu instid0(VALU_DEP_1) | instskip(SKIP_1) | instid1(VALU_DEP_1)
	s_cmp_lg_u32 s0, 0
	s_addc_u32 s1, s1, s21
	v_readfirstlane_b32 s0, v9
	s_mul_i32 s21, s5, s1
	s_delay_alu instid0(VALU_DEP_1)
	s_mul_hi_u32 s22, s5, s0
	s_mul_i32 s15, s15, s0
	s_add_i32 s21, s22, s21
	s_mul_i32 s5, s5, s0
	s_add_i32 s21, s21, s15
	s_mul_hi_u32 s15, s1, s5
	s_mul_i32 s23, s1, s5
	s_mul_i32 s24, s0, s21
	s_mul_hi_u32 s5, s0, s5
	s_mul_hi_u32 s0, s0, s21
	s_add_u32 s5, s5, s24
	s_addc_u32 s0, 0, s0
	s_mul_hi_u32 s22, s1, s21
	s_add_u32 s5, s5, s23
	s_addc_u32 s0, s0, s15
	s_mul_i32 s5, s1, s21
	s_addc_u32 s15, s22, 0
	s_add_u32 s0, s0, s5
	s_addc_u32 s5, 0, s15
	v_add_co_u32 v9, s0, v9, s0
	s_delay_alu instid0(VALU_DEP_1) | instskip(SKIP_2) | instid1(SALU_CYCLE_1)
	s_cmp_lg_u32 s0, 0
	s_addc_u32 s5, s1, s5
	s_ashr_i32 s0, s13, 31
	s_add_u32 s22, s4, s0
	s_addc_u32 s23, s13, s0
	v_readfirstlane_b32 s13, v9
	s_mov_b32 s1, s0
	s_delay_alu instid0(SALU_CYCLE_1) | instskip(NEXT) | instid1(SALU_CYCLE_1)
	s_xor_b64 s[22:23], s[22:23], s[0:1]
	s_mul_i32 s15, s22, s5
	s_delay_alu instid0(VALU_DEP_1)
	s_mul_hi_u32 s21, s22, s13
	s_mul_hi_u32 s24, s22, s5
	s_add_u32 s15, s21, s15
	s_mul_i32 s25, s23, s13
	s_addc_u32 s21, 0, s24
	s_mul_hi_u32 s13, s23, s13
	s_mul_hi_u32 s24, s23, s5
	s_add_u32 s15, s15, s25
	s_addc_u32 s13, s21, s13
	s_mul_i32 s5, s23, s5
	s_addc_u32 s15, s24, 0
	s_add_u32 s5, s13, s5
	s_addc_u32 s13, 0, s15
	s_mul_i32 s21, s20, s5
	s_add_u32 s15, s5, 1
	v_sub_co_u32 v9, s21, s22, s21
	s_addc_u32 s22, s13, 0
	s_mul_i32 s25, s20, s13
	s_mul_hi_u32 s27, s20, s5
	s_delay_alu instid0(VALU_DEP_1)
	v_sub_co_u32 v10, s26, v9, s20
	s_add_u32 s24, s5, 2
	s_addc_u32 s28, s13, 0
	s_add_i32 s27, s27, s25
	s_cmp_lg_u32 s21, 0
	v_readfirstlane_b32 s21, v10
	s_subb_u32 s23, s23, s27
	s_cmp_lg_u32 s26, 0
	s_subb_u32 s25, s23, 0
	s_delay_alu instid0(VALU_DEP_1) | instskip(SKIP_4) | instid1(SALU_CYCLE_1)
	s_cmp_ge_u32 s21, s20
	s_cselect_b32 s21, -1, 0
	s_cmp_eq_u32 s25, 0
	v_readfirstlane_b32 s25, v9
	s_cselect_b32 s21, s21, -1
	s_cmp_lg_u32 s21, 0
	s_cselect_b32 s15, s24, s15
	s_cselect_b32 s21, s28, s22
	s_cmp_ge_u32 s25, s20
	s_cselect_b32 s22, -1, 0
	s_cmp_eq_u32 s23, 0
	s_cselect_b32 s22, s22, -1
	s_delay_alu instid0(SALU_CYCLE_1) | instskip(SKIP_4) | instid1(SALU_CYCLE_1)
	s_cmp_lg_u32 s22, 0
	s_cselect_b32 s23, s21, s13
	s_cselect_b32 s22, s15, s5
	s_mov_b32 s5, 0
	s_xor_b64 s[22:23], s[22:23], s[0:1]
	s_sub_u32 s0, s22, s0
.LBB16_11:                              ;   in Loop: Header=BB16_9 Depth=1
	s_and_not1_b32 vcc_lo, exec_lo, s5
	s_cbranch_vccnz .LBB16_13
; %bb.12:                               ;   in Loop: Header=BB16_9 Depth=1
	v_readfirstlane_b32 s0, v6
	s_delay_alu instid0(VALU_DEP_1) | instskip(NEXT) | instid1(SALU_CYCLE_1)
	s_mul_i32 s1, s6, s0
	s_mul_hi_u32 s1, s0, s1
	s_delay_alu instid0(SALU_CYCLE_1) | instskip(NEXT) | instid1(SALU_CYCLE_1)
	s_add_i32 s0, s0, s1
	s_mul_hi_u32 s0, s4, s0
	s_delay_alu instid0(SALU_CYCLE_1) | instskip(NEXT) | instid1(SALU_CYCLE_1)
	s_mul_i32 s1, s0, s20
	s_sub_i32 s1, s4, s1
	s_add_i32 s4, s0, 1
	s_sub_i32 s5, s1, s20
	s_cmp_ge_u32 s1, s20
	s_cselect_b32 s0, s4, s0
	s_cselect_b32 s1, s5, s1
	s_add_i32 s4, s0, 1
	s_cmp_ge_u32 s1, s20
	s_cselect_b32 s0, s4, s0
.LBB16_13:                              ;   in Loop: Header=BB16_9 Depth=1
	s_delay_alu instid0(SALU_CYCLE_1)
	s_cmp_lg_u32 s16, s0
	s_cbranch_scc0 .LBB16_17
; %bb.14:                               ;   in Loop: Header=BB16_9 Depth=1
	s_add_i32 s1, s14, s20
	s_mov_b32 s5, s12
	s_lshl_b32 s1, s1, 5
	s_mov_b32 s15, s16
	s_add_i32 s4, s1, s17
	s_mul_hi_u32 s1, s0, s8
	s_lshl_b64 s[4:5], s[4:5], 3
	s_delay_alu instid0(SALU_CYCLE_1) | instskip(SKIP_2) | instid1(SALU_CYCLE_1)
	s_add_u32 s4, s2, s4
	s_addc_u32 s5, s3, s5
	s_add_i32 s1, s1, s0
	s_lshr_b32 s1, s1, s9
	s_delay_alu instid0(SALU_CYCLE_1) | instskip(NEXT) | instid1(SALU_CYCLE_1)
	s_mul_i32 s13, s1, s10
	s_cmp_eq_u32 s13, s0
	s_cselect_b32 s13, -1, 0
	s_cmp_lt_u32 s1, s11
	s_cselect_b32 s1, -1, 0
	s_delay_alu instid0(SALU_CYCLE_1)
	s_or_b32 s1, s1, s13
	s_mov_b32 s13, -1
	s_and_b32 vcc_lo, exec_lo, s1
	s_mov_b32 s1, s14
	s_cbranch_vccnz .LBB16_16
; %bb.15:                               ;   in Loop: Header=BB16_9 Depth=1
	s_add_i32 s1, s14, -1
	s_mov_b32 s13, 0
	s_mov_b32 s15, s0
.LBB16_16:                              ;   in Loop: Header=BB16_9 Depth=1
	v_lshl_add_u32 v9, s14, 13, v0
	s_load_b64 s[4:5], s[4:5], 0x0
	s_delay_alu instid0(VALU_DEP_1) | instskip(NEXT) | instid1(VALU_DEP_1)
	v_ashrrev_i32_e32 v10, 31, v9
	v_lshlrev_b64 v[9:10], 2, v[9:10]
	s_delay_alu instid0(VALU_DEP_1) | instskip(NEXT) | instid1(VALU_DEP_2)
	v_add_co_u32 v9, vcc_lo, s18, v9
	v_add_co_ci_u32_e32 v10, vcc_lo, s19, v10, vcc_lo
	s_waitcnt lgkmcnt(0)
	v_max_f32_e64 v11, s4, s4
	global_load_b32 v10, v[9:10], off
	v_max_f32_e32 v9, v8, v8
	s_delay_alu instid0(VALU_DEP_1) | instskip(NEXT) | instid1(VALU_DEP_1)
	v_max_f32_e32 v9, v9, v11
	v_sub_f32_e32 v12, v8, v9
	s_delay_alu instid0(VALU_DEP_1) | instskip(NEXT) | instid1(VALU_DEP_1)
	v_dual_mul_f32 v14, 0x3fb8aa3b, v12 :: v_dual_sub_f32 v11, s4, v9
	v_rndne_f32_e32 v18, v14
	s_delay_alu instid0(VALU_DEP_2) | instskip(SKIP_2) | instid1(VALU_DEP_4)
	v_mul_f32_e32 v13, 0x3fb8aa3b, v11
	v_fma_f32 v17, 0x3fb8aa3b, v12, -v14
	v_cmp_ngt_f32_e32 vcc_lo, 0xc2ce8ed0, v11
	v_sub_f32_e32 v14, v14, v18
	s_delay_alu instid0(VALU_DEP_4) | instskip(SKIP_2) | instid1(VALU_DEP_3)
	v_fma_f32 v15, 0x3fb8aa3b, v11, -v13
	v_rndne_f32_e32 v16, v13
	v_fmac_f32_e32 v17, 0x32a5705f, v12
	v_fmac_f32_e32 v15, 0x32a5705f, v11
	s_delay_alu instid0(VALU_DEP_2) | instskip(NEXT) | instid1(VALU_DEP_1)
	v_dual_sub_f32 v13, v13, v16 :: v_dual_add_f32 v14, v14, v17
	v_add_f32_e32 v13, v13, v15
	s_delay_alu instid0(VALU_DEP_2) | instskip(SKIP_2) | instid1(VALU_DEP_3)
	v_exp_f32_e32 v14, v14
	v_cvt_i32_f32_e32 v15, v16
	v_cvt_i32_f32_e32 v16, v18
	v_exp_f32_e32 v13, v13
	s_waitcnt_depctr 0xfff
	v_ldexp_f32 v14, v14, v16
	v_ldexp_f32 v13, v13, v15
	s_delay_alu instid0(VALU_DEP_1) | instskip(SKIP_1) | instid1(VALU_DEP_4)
	v_cndmask_b32_e32 v13, 0, v13, vcc_lo
	v_cmp_ngt_f32_e32 vcc_lo, 0xc2ce8ed0, v12
	v_cndmask_b32_e32 v14, 0, v14, vcc_lo
	v_cmp_nlt_f32_e32 vcc_lo, 0x42b17218, v11
	s_delay_alu instid0(VALU_DEP_4) | instskip(SKIP_1) | instid1(VALU_DEP_4)
	v_cndmask_b32_e32 v13, 0x7f800000, v13, vcc_lo
	v_cmp_nlt_f32_e32 vcc_lo, 0x42b17218, v12
	v_cndmask_b32_e32 v14, 0x7f800000, v14, vcc_lo
	v_cmp_le_f32_e32 vcc_lo, 0xc1a00000, v11
	s_delay_alu instid0(VALU_DEP_4) | instskip(SKIP_1) | instid1(VALU_DEP_4)
	v_cndmask_b32_e32 v11, 0, v13, vcc_lo
	v_cmp_le_f32_e32 vcc_lo, 0xc1a00000, v12
	v_cndmask_b32_e32 v12, 0, v14, vcc_lo
	s_waitcnt vmcnt(0)
	s_delay_alu instid0(VALU_DEP_3) | instskip(NEXT) | instid1(VALU_DEP_1)
	v_mul_f32_e32 v10, v10, v11
	v_dual_mul_f32 v11, s5, v11 :: v_dual_fmac_f32 v10, v3, v12
	s_delay_alu instid0(VALU_DEP_1)
	v_fmac_f32_e32 v11, v7, v12
	s_cbranch_execz .LBB16_18
	s_branch .LBB16_19
.LBB16_17:                              ;   in Loop: Header=BB16_9 Depth=1
                                        ; implicit-def: $sgpr13
                                        ; implicit-def: $vgpr10
                                        ; implicit-def: $vgpr9
                                        ; implicit-def: $vgpr11
                                        ; implicit-def: $sgpr1
                                        ; implicit-def: $sgpr15
.LBB16_18:                              ;   in Loop: Header=BB16_9 Depth=1
	v_mov_b32_e32 v11, v7
	s_waitcnt vmcnt(0)
	v_dual_mov_b32 v9, v8 :: v_dual_mov_b32 v10, v3
	s_add_i32 s1, s14, -1
	s_mov_b32 s13, 0
	s_mov_b32 s15, s16
.LBB16_19:                              ;   in Loop: Header=BB16_9 Depth=1
	s_and_not1_b32 vcc_lo, exec_lo, s13
	s_cbranch_vccz .LBB16_23
; %bb.20:                               ;   in Loop: Header=BB16_9 Depth=1
	v_dual_mov_b32 v7, v11 :: v_dual_mov_b32 v8, v9
	s_waitcnt vmcnt(0)
	v_mov_b32_e32 v3, v10
	s_mov_b32 s16, s15
	s_mov_b32 s14, s1
	s_branch .LBB16_9
.LBB16_21:
                                        ; implicit-def: $sgpr16_sgpr17
	s_load_b128 s[8:11], s[0:1], 0x44
	s_branch .LBB16_2
.LBB16_22:
                                        ; implicit-def: $sgpr18_sgpr19
	s_branch .LBB16_5
.LBB16_23:
	v_div_scale_f32 v0, null, v11, v11, v10
	s_waitcnt vmcnt(0)
	s_delay_alu instid0(VALU_DEP_1) | instskip(SKIP_2) | instid1(VALU_DEP_1)
	v_rcp_f32_e32 v3, v0
	s_waitcnt_depctr 0xfff
	v_fma_f32 v4, -v0, v3, 1.0
	v_fmac_f32_e32 v3, v4, v3
	v_div_scale_f32 v4, vcc_lo, v10, v11, v10
	s_delay_alu instid0(VALU_DEP_1) | instskip(NEXT) | instid1(VALU_DEP_1)
	v_mul_f32_e32 v5, v4, v3
	v_fma_f32 v6, -v0, v5, v4
	s_delay_alu instid0(VALU_DEP_1) | instskip(NEXT) | instid1(VALU_DEP_1)
	v_fmac_f32_e32 v5, v6, v3
	v_fma_f32 v0, -v0, v5, v4
	s_delay_alu instid0(VALU_DEP_1) | instskip(NEXT) | instid1(VALU_DEP_1)
	v_div_fmas_f32 v0, v0, v3, v5
	v_div_fixup_f32 v0, v0, v11, v10
	global_store_b32 v[1:2], v0, off
.LBB16_24:
	s_nop 0
	s_sendmsg sendmsg(MSG_DEALLOC_VGPRS)
	s_endpgm
	.section	.rodata,"a",@progbits
	.p2align	6, 0x0
	.amdhsa_kernel _ZL33flash_attn_stream_k_fixup_generalILi256ELi8ELi4EEvPfPK15HIP_vector_typeIfLj2EEiiiiS1_IjLj3EES5_S5_S5_
		.amdhsa_group_segment_fixed_size 0
		.amdhsa_private_segment_fixed_size 0
		.amdhsa_kernarg_size 336
		.amdhsa_user_sgpr_count 13
		.amdhsa_user_sgpr_dispatch_ptr 0
		.amdhsa_user_sgpr_queue_ptr 0
		.amdhsa_user_sgpr_kernarg_segment_ptr 1
		.amdhsa_user_sgpr_dispatch_id 0
		.amdhsa_user_sgpr_private_segment_size 0
		.amdhsa_wavefront_size32 1
		.amdhsa_uses_dynamic_stack 0
		.amdhsa_enable_private_segment 0
		.amdhsa_system_sgpr_workgroup_id_x 1
		.amdhsa_system_sgpr_workgroup_id_y 1
		.amdhsa_system_sgpr_workgroup_id_z 1
		.amdhsa_system_sgpr_workgroup_info 0
		.amdhsa_system_vgpr_workitem_id 0
		.amdhsa_next_free_vgpr 19
		.amdhsa_next_free_sgpr 32
		.amdhsa_reserve_vcc 1
		.amdhsa_float_round_mode_32 0
		.amdhsa_float_round_mode_16_64 0
		.amdhsa_float_denorm_mode_32 3
		.amdhsa_float_denorm_mode_16_64 3
		.amdhsa_dx10_clamp 1
		.amdhsa_ieee_mode 1
		.amdhsa_fp16_overflow 0
		.amdhsa_workgroup_processor_mode 1
		.amdhsa_memory_ordered 1
		.amdhsa_forward_progress 0
		.amdhsa_shared_vgpr_count 0
		.amdhsa_exception_fp_ieee_invalid_op 0
		.amdhsa_exception_fp_denorm_src 0
		.amdhsa_exception_fp_ieee_div_zero 0
		.amdhsa_exception_fp_ieee_overflow 0
		.amdhsa_exception_fp_ieee_underflow 0
		.amdhsa_exception_fp_ieee_inexact 0
		.amdhsa_exception_int_div_zero 0
	.end_amdhsa_kernel
	.section	.text._ZL33flash_attn_stream_k_fixup_generalILi256ELi8ELi4EEvPfPK15HIP_vector_typeIfLj2EEiiiiS1_IjLj3EES5_S5_S5_,"axG",@progbits,_ZL33flash_attn_stream_k_fixup_generalILi256ELi8ELi4EEvPfPK15HIP_vector_typeIfLj2EEiiiiS1_IjLj3EES5_S5_S5_,comdat
.Lfunc_end16:
	.size	_ZL33flash_attn_stream_k_fixup_generalILi256ELi8ELi4EEvPfPK15HIP_vector_typeIfLj2EEiiiiS1_IjLj3EES5_S5_S5_, .Lfunc_end16-_ZL33flash_attn_stream_k_fixup_generalILi256ELi8ELi4EEvPfPK15HIP_vector_typeIfLj2EEiiiiS1_IjLj3EES5_S5_S5_
                                        ; -- End function
	.section	.AMDGPU.csdata,"",@progbits
; Kernel info:
; codeLenInByte = 3224
; NumSgprs: 34
; NumVgprs: 19
; ScratchSize: 0
; MemoryBound: 0
; FloatMode: 240
; IeeeMode: 1
; LDSByteSize: 0 bytes/workgroup (compile time only)
; SGPRBlocks: 4
; VGPRBlocks: 2
; NumSGPRsForWavesPerEU: 34
; NumVGPRsForWavesPerEU: 19
; Occupancy: 16
; WaveLimiterHint : 0
; COMPUTE_PGM_RSRC2:SCRATCH_EN: 0
; COMPUTE_PGM_RSRC2:USER_SGPR: 13
; COMPUTE_PGM_RSRC2:TRAP_HANDLER: 0
; COMPUTE_PGM_RSRC2:TGID_X_EN: 1
; COMPUTE_PGM_RSRC2:TGID_Y_EN: 1
; COMPUTE_PGM_RSRC2:TGID_Z_EN: 1
; COMPUTE_PGM_RSRC2:TIDIG_COMP_CNT: 0
	.section	.text._ZL15flash_attn_tileILi256ELi256ELi4ELi4ELb0EEvPKcS1_S1_S1_S1_PKiPfP15HIP_vector_typeIfLj2EEffffjfiS5_IjLj3EEiiiiiiiiiiiliiliiiiil,"axG",@progbits,_ZL15flash_attn_tileILi256ELi256ELi4ELi4ELb0EEvPKcS1_S1_S1_S1_PKiPfP15HIP_vector_typeIfLj2EEffffjfiS5_IjLj3EEiiiiiiiiiiiliiliiiiil,comdat
	.globl	_ZL15flash_attn_tileILi256ELi256ELi4ELi4ELb0EEvPKcS1_S1_S1_S1_PKiPfP15HIP_vector_typeIfLj2EEffffjfiS5_IjLj3EEiiiiiiiiiiiliiliiiiil ; -- Begin function _ZL15flash_attn_tileILi256ELi256ELi4ELi4ELb0EEvPKcS1_S1_S1_S1_PKiPfP15HIP_vector_typeIfLj2EEffffjfiS5_IjLj3EEiiiiiiiiiiiliiliiiiil
	.p2align	8
	.type	_ZL15flash_attn_tileILi256ELi256ELi4ELi4ELb0EEvPKcS1_S1_S1_S1_PKiPfP15HIP_vector_typeIfLj2EEffffjfiS5_IjLj3EEiiiiiiiiiiiliiliiiiil,@function
_ZL15flash_attn_tileILi256ELi256ELi4ELi4ELb0EEvPKcS1_S1_S1_S1_PKiPfP15HIP_vector_typeIfLj2EEffffjfiS5_IjLj3EEiiiiiiiiiiiliiliiiiil: ; @_ZL15flash_attn_tileILi256ELi256ELi4ELi4ELb0EEvPKcS1_S1_S1_S1_PKiPfP15HIP_vector_typeIfLj2EEffffjfiS5_IjLj3EEiiiiiiiiiiiliiliiiiil
; %bb.0:
	s_clause 0x1
	s_load_b128 s[8:11], s[0:1], 0x5c
	s_load_b64 s[34:35], s[0:1], 0x80
	s_mov_b64 s[36:37], 0
	s_waitcnt lgkmcnt(0)
	s_ashr_i32 s2, s11, 31
	s_delay_alu instid0(SALU_CYCLE_1) | instskip(NEXT) | instid1(SALU_CYCLE_1)
	s_lshr_b32 s2, s2, 30
	s_add_i32 s2, s11, s2
	s_delay_alu instid0(SALU_CYCLE_1) | instskip(NEXT) | instid1(SALU_CYCLE_1)
	s_ashr_i32 s2, s2, 2
	v_cvt_f32_u32_e32 v1, s2
	s_sub_i32 s4, 0, s2
	s_delay_alu instid0(VALU_DEP_1) | instskip(SKIP_2) | instid1(VALU_DEP_1)
	v_rcp_iflag_f32_e32 v1, v1
	s_waitcnt_depctr 0xfff
	v_mul_f32_e32 v1, 0x4f7ffffe, v1
	v_cvt_u32_f32_e32 v1, v1
	s_delay_alu instid0(VALU_DEP_1) | instskip(NEXT) | instid1(VALU_DEP_1)
	v_readfirstlane_b32 s3, v1
	s_mul_i32 s4, s4, s3
	s_delay_alu instid0(SALU_CYCLE_1) | instskip(NEXT) | instid1(SALU_CYCLE_1)
	s_mul_hi_u32 s4, s3, s4
	s_add_i32 s3, s3, s4
	s_delay_alu instid0(SALU_CYCLE_1) | instskip(NEXT) | instid1(SALU_CYCLE_1)
	s_mul_hi_u32 s3, s15, s3
	s_mul_i32 s4, s3, s2
	s_add_i32 s5, s3, 1
	s_sub_i32 s4, s15, s4
	s_delay_alu instid0(SALU_CYCLE_1)
	s_sub_i32 s6, s4, s2
	s_cmp_ge_u32 s4, s2
	s_cselect_b32 s3, s5, s3
	s_cselect_b32 s4, s6, s4
	s_add_i32 s5, s3, 1
	s_cmp_ge_u32 s4, s2
	s_cselect_b32 s33, s5, s3
	s_abs_i32 s2, s35
	s_abs_i32 s7, s11
	v_cvt_f32_u32_e32 v1, s2
	s_sub_i32 s4, 0, s2
	s_lshl_b32 s5, s15, 2
	s_mul_i32 s6, s33, s11
	s_delay_alu instid0(VALU_DEP_1) | instskip(SKIP_3) | instid1(VALU_DEP_1)
	v_rcp_iflag_f32_e32 v1, v1
	s_sub_i32 s15, s5, s6
	s_waitcnt_depctr 0xfff
	v_mul_f32_e32 v1, 0x4f7ffffe, v1
	v_cvt_u32_f32_e32 v1, v1
	s_delay_alu instid0(VALU_DEP_1) | instskip(NEXT) | instid1(VALU_DEP_1)
	v_readfirstlane_b32 s3, v1
	s_mul_i32 s4, s4, s3
	s_delay_alu instid0(SALU_CYCLE_1) | instskip(NEXT) | instid1(SALU_CYCLE_1)
	s_mul_hi_u32 s4, s3, s4
	s_add_i32 s3, s3, s4
	s_xor_b32 s4, s11, s35
	s_mul_hi_u32 s3, s7, s3
	s_ashr_i32 s4, s4, 31
	s_mul_i32 s5, s3, s2
	s_add_i32 s6, s3, 1
	s_sub_i32 s5, s7, s5
	s_delay_alu instid0(SALU_CYCLE_1)
	s_sub_i32 s7, s5, s2
	s_cmp_ge_u32 s5, s2
	s_cselect_b32 s3, s6, s3
	s_cselect_b32 s5, s7, s5
	s_add_i32 s6, s3, 1
	s_cmp_ge_u32 s5, s2
	s_cselect_b32 s2, s6, s3
	s_delay_alu instid0(SALU_CYCLE_1) | instskip(NEXT) | instid1(SALU_CYCLE_1)
	s_xor_b32 s2, s2, s4
	s_sub_i32 s35, s2, s4
	s_clause 0x1
	s_load_b512 s[16:31], s[0:1], 0x0
	s_load_b64 s[2:3], s[0:1], 0xb8
	s_abs_i32 s12, s35
	s_delay_alu instid0(SALU_CYCLE_1) | instskip(NEXT) | instid1(VALU_DEP_1)
	v_cvt_f32_u32_e32 v1, s12
	v_rcp_iflag_f32_e32 v1, v1
	s_waitcnt_depctr 0xfff
	v_mul_f32_e32 v1, 0x4f7ffffe, v1
	s_waitcnt lgkmcnt(0)
	s_cmp_eq_u64 s[22:23], 0
	s_delay_alu instid0(VALU_DEP_1) | instskip(NEXT) | instid1(VALU_DEP_1)
	v_cvt_u32_f32_e32 v1, v1
	v_readfirstlane_b32 s38, v1
	s_cbranch_scc1 .LBB17_2
; %bb.1:
	s_abs_i32 s2, s2
	s_abs_i32 s6, s33
	v_cvt_f32_u32_e32 v1, s2
	s_sub_i32 s5, 0, s2
	s_delay_alu instid0(VALU_DEP_1) | instskip(SKIP_2) | instid1(VALU_DEP_1)
	v_rcp_iflag_f32_e32 v1, v1
	s_waitcnt_depctr 0xfff
	v_mul_f32_e32 v1, 0x4f7ffffe, v1
	v_cvt_u32_f32_e32 v1, v1
	s_delay_alu instid0(VALU_DEP_1) | instskip(NEXT) | instid1(VALU_DEP_1)
	v_readfirstlane_b32 s4, v1
	s_mul_i32 s5, s5, s4
	s_delay_alu instid0(SALU_CYCLE_1) | instskip(NEXT) | instid1(SALU_CYCLE_1)
	s_mul_hi_u32 s5, s4, s5
	s_add_i32 s7, s4, s5
	s_load_b64 s[4:5], s[0:1], 0xc8
	s_mul_hi_u32 s7, s6, s7
	s_delay_alu instid0(SALU_CYCLE_1) | instskip(NEXT) | instid1(SALU_CYCLE_1)
	s_mul_i32 s7, s7, s2
	s_sub_i32 s6, s6, s7
	s_ashr_i32 s7, s33, 31
	s_sub_i32 s36, s6, s2
	s_cmp_ge_u32 s6, s2
	s_cselect_b32 s6, s36, s6
	s_delay_alu instid0(SALU_CYCLE_1) | instskip(SKIP_2) | instid1(SALU_CYCLE_1)
	s_sub_i32 s36, s6, s2
	s_cmp_ge_u32 s6, s2
	s_cselect_b32 s2, s36, s6
	s_xor_b32 s2, s2, s7
	s_delay_alu instid0(SALU_CYCLE_1)
	s_sub_i32 s2, s2, s7
	s_waitcnt lgkmcnt(0)
	s_mul_i32 s5, s2, s5
	s_mul_hi_u32 s6, s2, s4
	s_ashr_i32 s7, s2, 31
	s_add_i32 s5, s6, s5
	s_mul_i32 s7, s7, s4
	s_mul_i32 s2, s2, s4
	s_add_i32 s5, s5, s7
	s_add_u32 s36, s22, s2
	s_addc_u32 s37, s23, s5
.LBB17_2:
	v_bfe_u32 v1, v0, 10, 10
	s_load_b128 s[4:7], s[0:1], 0x70
	v_and_b32_e32 v17, 0x3ff, v0
	s_delay_alu instid0(VALU_DEP_2) | instskip(SKIP_2) | instid1(VALU_DEP_4)
	v_lshrrev_b32_e32 v2, 1, v1
	v_lshlrev_b32_e32 v5, 1, v1
	v_lshlrev_b32_e32 v22, 8, v1
	;; [unrolled: 1-line block ×3, first 2 shown]
	s_delay_alu instid0(VALU_DEP_4) | instskip(NEXT) | instid1(VALU_DEP_4)
	v_lshl_add_u32 v16, s13, 2, v2
	v_or_b32_e32 v15, 1, v5
	v_and_b32_e32 v38, 2, v5
	s_delay_alu instid0(VALU_DEP_3) | instskip(NEXT) | instid1(VALU_DEP_3)
	v_mul_hi_u32 v2, s8, v16
	v_and_b32_e32 v12, 3, v15
	v_lshlrev_b32_e32 v15, 7, v15
	s_waitcnt lgkmcnt(0)
	s_mul_i32 s2, s33, s6
	s_mul_i32 s6, s15, s5
	s_delay_alu instid0(VALU_DEP_3)
	v_add_nc_u32_e32 v2, v16, v2
	s_ashr_i32 s7, s2, 31
	s_add_u32 s2, s16, s2
	s_addc_u32 s7, s17, s7
	s_ashr_i32 s8, s6, 31
	v_lshrrev_b32_e32 v2, s9, v2
	s_add_u32 s2, s2, s6
	s_addc_u32 s6, s7, s8
	s_ashr_i32 s7, s4, 31
	s_delay_alu instid0(VALU_DEP_1)
	v_mul_lo_u32 v2, v2, s10
	v_alignbit_b32 v6, s7, s4, 2
	s_ashr_i32 s4, s5, 31
	s_lshr_b32 s7, s7, 2
	v_alignbit_b32 v10, s4, s5, 2
	s_lshr_b32 s8, s4, 2
	s_mov_b32 s5, 0
	v_mul_lo_u32 v11, s8, v38
	v_sub_nc_u32_e32 v2, v16, v2
	v_mad_u64_u32 v[8:9], null, v10, v38, 0
	s_cmp_eq_u64 s[26:27], 0
	s_delay_alu instid0(VALU_DEP_2) | instskip(NEXT) | instid1(VALU_DEP_2)
	v_mad_u64_u32 v[3:4], null, v6, v2, 0
	v_or_b32_e32 v9, v9, v11
	s_delay_alu instid0(VALU_DEP_2) | instskip(SKIP_1) | instid1(VALU_DEP_3)
	v_mad_u64_u32 v[5:6], null, s7, v2, v[4:5]
	v_mad_u64_u32 v[6:7], null, v10, v12, 0
	v_lshlrev_b64 v[8:9], 2, v[8:9]
	s_delay_alu instid0(VALU_DEP_2) | instskip(NEXT) | instid1(VALU_DEP_1)
	v_dual_mov_b32 v4, v5 :: v_dual_mov_b32 v5, v7
	v_lshlrev_b64 v[3:4], 2, v[3:4]
	s_delay_alu instid0(VALU_DEP_2) | instskip(NEXT) | instid1(VALU_DEP_2)
	v_mad_u64_u32 v[10:11], null, s8, v12, v[5:6]
	v_add_co_u32 v3, vcc_lo, s2, v3
	s_delay_alu instid0(VALU_DEP_3) | instskip(NEXT) | instid1(VALU_DEP_3)
	v_add_co_ci_u32_e32 v4, vcc_lo, s6, v4, vcc_lo
	v_mov_b32_e32 v7, v10
	s_delay_alu instid0(VALU_DEP_3) | instskip(NEXT) | instid1(VALU_DEP_3)
	v_add_co_u32 v0, vcc_lo, v3, v0
	v_add_co_ci_u32_e32 v5, vcc_lo, 0, v4, vcc_lo
	s_delay_alu instid0(VALU_DEP_3) | instskip(NEXT) | instid1(VALU_DEP_3)
	v_lshlrev_b64 v[3:4], 2, v[6:7]
	v_add_co_u32 v7, vcc_lo, v0, v8
	s_delay_alu instid0(VALU_DEP_3) | instskip(SKIP_1) | instid1(VALU_DEP_3)
	v_add_co_ci_u32_e32 v8, vcc_lo, v5, v9, vcc_lo
	s_load_b32 s2, s[0:1], 0x40
	v_add_co_u32 v18, vcc_lo, v0, v3
	s_delay_alu instid0(VALU_DEP_4)
	v_add_co_ci_u32_e32 v19, vcc_lo, v5, v4, vcc_lo
	s_clause 0x3
	global_load_b128 v[3:6], v[7:8], off
	global_load_b128 v[7:10], v[7:8], off offset:512
	global_load_b128 v[11:14], v[18:19], off
	global_load_b128 v[18:21], v[18:19], off offset:512
	v_lshlrev_b32_e32 v0, 1, v17
	s_delay_alu instid0(VALU_DEP_1) | instskip(SKIP_1) | instid1(VALU_DEP_2)
	v_add_lshl_u32 v22, v22, v0, 2
	v_add_lshl_u32 v15, v15, v0, 2
	v_add_nc_u32_e32 v30, 0x4000, v22
	s_delay_alu instid0(VALU_DEP_2)
	v_add_nc_u32_e32 v15, 0x4000, v15
	s_waitcnt vmcnt(3) lgkmcnt(0)
	v_fma_mixlo_f16 v22, v3, s2, 0
	v_fma_mixlo_f16 v23, v5, s2, 0
	s_waitcnt vmcnt(2)
	v_fma_mixlo_f16 v24, v7, s2, 0
	v_fma_mixlo_f16 v25, v9, s2, 0
	s_waitcnt vmcnt(1)
	;; [unrolled: 3-line block ×3, first 2 shown]
	v_fma_mixlo_f16 v28, v18, s2, 0
	v_fma_mixlo_f16 v29, v20, s2, 0
	v_fma_mixhi_f16 v23, v6, s2, 0
	v_fma_mixhi_f16 v22, v4, s2, 0
	;; [unrolled: 1-line block ×8, first 2 shown]
	ds_store_2addr_b64 v30, v[22:23], v[24:25] offset0:64 offset1:96
	ds_store_2addr_b64 v15, v[26:27], v[28:29] offset0:64 offset1:96
	s_waitcnt lgkmcnt(0)
	s_barrier
	buffer_gl0_inv
	s_cbranch_scc1 .LBB17_4
; %bb.3:
	s_load_b32 s2, s[0:1], 0xd0
	s_waitcnt lgkmcnt(0)
	s_mul_i32 s2, s2, s33
	s_delay_alu instid0(SALU_CYCLE_1) | instskip(NEXT) | instid1(SALU_CYCLE_1)
	s_add_i32 s4, s2, s13
	s_lshl_b64 s[4:5], s[4:5], 2
	s_delay_alu instid0(SALU_CYCLE_1)
	s_add_u32 s4, s26, s4
	s_addc_u32 s5, s27, s5
	s_load_b32 s34, s[4:5], 0x0
.LBB17_4:
	v_lshlrev_b32_e32 v37, 2, v17
	v_mbcnt_lo_u32_b32 v39, -1, 0
	s_lshl_b32 s9, s14, 5
	s_waitcnt lgkmcnt(0)
	s_cmp_lt_i32 s9, s34
	s_cbranch_scc1 .LBB17_6
; %bb.5:
	v_mbcnt_lo_u32_b32 v3, -1, 0
	v_mov_b32_e32 v40, 32
	s_mov_b32 s2, 0
	s_mov_b32 s4, 0xfeffffff
	s_delay_alu instid0(VALU_DEP_2)
	v_xor_b32_e32 v45, 16, v3
	v_xor_b32_e32 v44, 8, v3
	;; [unrolled: 1-line block ×5, first 2 shown]
	s_branch .LBB17_7
.LBB17_6:
	s_mov_b32 s2, -1
                                        ; implicit-def: $sgpr4
                                        ; implicit-def: $vgpr3
                                        ; implicit-def: $vgpr40
                                        ; implicit-def: $vgpr45
                                        ; implicit-def: $vgpr44
                                        ; implicit-def: $vgpr43
                                        ; implicit-def: $vgpr42
                                        ; implicit-def: $vgpr41
.LBB17_7:
	s_delay_alu instid0(SALU_CYCLE_1) | instskip(SKIP_2) | instid1(VALU_DEP_3)
	v_cndmask_b32_e64 v4, 0, 1, s2
	v_dual_mov_b32 v19, s4 :: v_dual_mov_b32 v72, s2
	v_dual_mov_b32 v69, s2 :: v_dual_mov_b32 v18, s4
	v_cmp_ne_u32_e32 vcc_lo, 1, v4
	v_dual_mov_b32 v46, s2 :: v_dual_mov_b32 v75, s2
	v_dual_mov_b32 v70, s2 :: v_dual_mov_b32 v61, s2
	;; [unrolled: 1-line block ×4, first 2 shown]
	s_cbranch_vccnz .LBB17_11
; %bb.8:
	s_clause 0x1
	s_load_b128 s[4:7], s[0:1], 0x98
	s_load_b64 s[22:23], s[0:1], 0x8c
	s_sub_i32 s2, 0, s12
	s_abs_i32 s8, s15
	s_mul_i32 s2, s2, s38
	s_ashr_i32 s13, s15, 31
	s_mul_hi_u32 s2, s38, s2
	s_ashr_i32 s35, s35, 31
	s_add_i32 s38, s38, s2
	s_ashr_i32 s2, s3, 1
	s_mul_hi_u32 s3, s8, s38
	s_ashr_i32 s38, s33, 31
	s_load_b64 s[26:27], s[0:1], 0xa8
	s_mul_i32 s39, s3, s12
	v_lshlrev_b32_e32 v47, 2, v37
	v_lshl_add_u32 v53, v1, 10, 0x4200
	v_lshl_add_u32 v54, v1, 7, 0x6200
	v_mad_u64_u32 v[20:21], null, v2, s2, v[17:18]
	v_mov_b32_e32 v18, 0xfeffffff
	s_waitcnt lgkmcnt(0)
	s_ashr_i32 s16, s6, 2
	s_mul_i32 s5, s33, s5
	s_mul_hi_u32 s6, s33, s4
	s_ashr_i32 s17, s22, 2
	s_mul_i32 s22, s38, s4
	s_add_i32 s5, s6, s5
	s_mul_i32 s4, s33, s4
	s_add_i32 s5, s5, s22
	s_add_u32 s4, s18, s4
	s_addc_u32 s5, s19, s5
	s_sub_i32 s8, s8, s39
	s_xor_b32 s6, s13, s35
	s_add_i32 s13, s3, 1
	s_sub_i32 s18, s8, s12
	s_cmp_ge_u32 s8, s12
	s_mul_i32 s38, s38, s26
	s_cselect_b32 s3, s13, s3
	s_cselect_b32 s8, s18, s8
	s_add_i32 s13, s3, 1
	s_cmp_ge_u32 s8, s12
	s_mul_i32 s8, s33, s27
	s_cselect_b32 s3, s13, s3
	s_mul_hi_u32 s12, s33, s26
	s_xor_b32 s3, s3, s6
	v_mul_lo_u32 v3, s17, v1
	s_sub_i32 s3, s3, s6
	v_mul_lo_u32 v7, s16, v1
	s_mul_i32 s13, s3, s23
	s_mul_i32 s6, s33, s26
	s_ashr_i32 s19, s13, 31
	s_add_u32 s18, s4, s13
	s_addc_u32 s19, s5, s19
	s_add_i32 s4, s12, s8
	s_mul_i32 s3, s3, s7
	s_add_i32 s4, s4, s38
	s_add_u32 s5, s20, s6
	s_addc_u32 s4, s21, s4
	s_ashr_i32 s6, s3, 31
	s_add_u32 s20, s5, s3
	s_addc_u32 s21, s4, s6
	s_lshl_b32 s3, s17, 3
	s_lshl_b32 s4, s16, 3
	v_dual_mov_b32 v46, 0 :: v_dual_add_nc_u32 v5, s3, v3
	v_dual_mov_b32 v70, 0 :: v_dual_add_nc_u32 v13, s4, v7
	v_mad_u32_u24 v48, 0x210, v1, v47
	s_delay_alu instid0(VALU_DEP_3) | instskip(SKIP_1) | instid1(VALU_DEP_4)
	v_dual_mov_b32 v40, 32 :: v_dual_add_nc_u32 v9, s3, v5
	v_lshl_add_u32 v55, v1, 9, v47
	v_dual_mov_b32 v72, 0 :: v_dual_add_nc_u32 v1, s4, v13
	s_delay_alu instid0(VALU_DEP_3) | instskip(SKIP_1) | instid1(VALU_DEP_3)
	v_dual_mov_b32 v76, 0 :: v_dual_add_nc_u32 v11, s3, v9
	v_ashrrev_i32_e32 v4, 31, v3
	v_add_nc_u32_e32 v35, s4, v1
	v_ashrrev_i32_e32 v6, 31, v5
	v_ashrrev_i32_e32 v10, 31, v9
	;; [unrolled: 1-line block ×7, first 2 shown]
	v_dual_mov_b32 v75, 0 :: v_dual_lshlrev_b32 v60, 2, v0
	v_lshlrev_b64 v[21:22], 2, v[3:4]
	v_lshlrev_b64 v[23:24], 2, v[5:6]
	;; [unrolled: 1-line block ×8, first 2 shown]
	v_mul_u32_u24_e32 v49, 0x210, v17
	v_dual_mov_b32 v71, 0 :: v_dual_add_nc_u32 v50, 0x1080, v48
	v_dual_mov_b32 v74, 0 :: v_dual_add_nc_u32 v51, 0x2100, v48
	;; [unrolled: 1-line block ×3, first 2 shown]
	v_lshl_add_u32 v56, v0, 1, v54
	v_add_nc_u32_e32 v57, 0x1000, v55
	v_dual_mov_b32 v61, 0 :: v_dual_add_nc_u32 v58, 0x2000, v55
	v_add_nc_u32_e32 v59, 0x3000, v55
	v_xor_b32_e32 v45, 16, v39
	v_xor_b32_e32 v44, 8, v39
	;; [unrolled: 1-line block ×5, first 2 shown]
	v_dual_mov_b32 v69, 0 :: v_dual_add_nc_u32 v62, 0x800, v60
	v_add_nc_u32_e32 v63, 0x1000, v60
	v_add_nc_u32_e32 v64, 0x1800, v60
	v_add_nc_u32_e32 v65, 0x2000, v60
	v_add_nc_u32_e32 v66, 0x2800, v60
	v_add_nc_u32_e32 v67, 0x3000, v60
	v_add_nc_u32_e32 v68, 0x3800, v60
	v_mov_b32_e32 v19, 0xfeffffff
	s_add_u32 s12, s0, 0xd0
	s_addc_u32 s13, s1, 0
.LBB17_9:                               ; =>This Inner Loop Header: Depth=1
	s_mul_hi_i32 s3, s9, s17
	s_mul_i32 s2, s9, s17
	v_mov_b32_e32 v77, 0
	s_lshl_b64 s[2:3], s[2:3], 2
	v_dual_mov_b32 v78, 0 :: v_dual_add_nc_u32 v79, s9, v20
	s_add_u32 s4, s18, s2
	s_addc_u32 s5, s19, s3
	v_add_co_u32 v0, vcc_lo, s4, v23
	v_add_co_u32 v1, s2, s4, v25
	v_add_co_u32 v2, s3, s4, v27
	;; [unrolled: 1-line block ×3, first 2 shown]
	s_delay_alu instid0(VALU_DEP_1)
	v_add_co_ci_u32_e64 v5, s4, s5, v22, s4
	v_add_co_ci_u32_e32 v6, vcc_lo, s5, v24, vcc_lo
	v_add_co_ci_u32_e64 v7, vcc_lo, s5, v26, s2
	v_add_co_ci_u32_e64 v10, vcc_lo, s5, v28, s3
	v_add_co_u32 v4, vcc_lo, v0, v47
	v_add_co_u32 v0, s4, v3, v47
	v_add_co_u32 v8, s2, v1, v47
	v_add_co_ci_u32_e64 v1, s4, 0, v5, s4
	v_add_co_u32 v12, s3, v2, v47
	v_add_co_ci_u32_e32 v5, vcc_lo, 0, v6, vcc_lo
	v_add_co_ci_u32_e64 v9, vcc_lo, 0, v7, s2
	v_add_co_ci_u32_e64 v13, vcc_lo, 0, v10, s3
	s_clause 0x3
	global_load_b128 v[0:3], v[0:1], off
	global_load_b128 v[4:7], v[4:5], off
	;; [unrolled: 1-line block ×4, first 2 shown]
	v_ashrrev_i32_e32 v80, 31, v79
	v_cmp_gt_i32_e64 s2, 32, v44
	v_cmp_gt_i32_e64 s3, 32, v43
	;; [unrolled: 1-line block ×3, first 2 shown]
	s_mul_hi_i32 s7, s9, s16
	v_lshlrev_b64 v[79:80], 1, v[79:80]
	s_mul_i32 s6, s9, s16
	v_cmp_gt_i32_e64 s5, 32, v41
	v_dual_mov_b32 v81, v18 :: v_dual_mov_b32 v82, v72
	s_waitcnt vmcnt(3)
	ds_store_b128 v48, v[0:3]
	s_waitcnt vmcnt(2)
	ds_store_b128 v50, v[4:7]
	s_waitcnt vmcnt(1)
	ds_store_b128 v51, v[8:11]
	s_waitcnt vmcnt(0)
	ds_store_b128 v52, v[12:15]
	s_waitcnt lgkmcnt(0)
	s_barrier
	buffer_gl0_inv
	ds_load_b128 v[0:3], v49
	ds_load_b128 v[4:7], v53
	ds_load_b128 v[8:11], v53 offset:512
	s_waitcnt lgkmcnt(1)
	;;#ASMSTART
	v_dot2_f32_f16 v77, v0, v4, v77
	;;#ASMEND
	;;#ASMSTART
	v_dot2_f32_f16 v77, v1, v5, v77
	;;#ASMEND
	;;#ASMSTART
	v_dot2_f32_f16 v77, v2, v6, v77
	;;#ASMEND
	;;#ASMSTART
	v_dot2_f32_f16 v77, v3, v7, v77
	;;#ASMEND
	s_waitcnt lgkmcnt(0)
	;;#ASMSTART
	v_dot2_f32_f16 v78, v0, v8, v78
	;;#ASMEND
	;;#ASMSTART
	v_dot2_f32_f16 v78, v1, v9, v78
	;;#ASMEND
	;;#ASMSTART
	v_dot2_f32_f16 v78, v2, v10, v78
	;;#ASMEND
	;;#ASMSTART
	v_dot2_f32_f16 v78, v3, v11, v78
	;;#ASMEND
	ds_load_b128 v[0:3], v49 offset:16
	ds_load_b128 v[4:7], v53 offset:16
	ds_load_b128 v[8:11], v53 offset:528
	s_waitcnt lgkmcnt(1)
	;;#ASMSTART
	v_dot2_f32_f16 v77, v0, v4, v77
	;;#ASMEND
	;;#ASMSTART
	v_dot2_f32_f16 v77, v1, v5, v77
	;;#ASMEND
	;;#ASMSTART
	v_dot2_f32_f16 v77, v2, v6, v77
	;;#ASMEND
	;;#ASMSTART
	v_dot2_f32_f16 v77, v3, v7, v77
	;;#ASMEND
	s_waitcnt lgkmcnt(0)
	;;#ASMSTART
	v_dot2_f32_f16 v78, v0, v8, v78
	;;#ASMEND
	;;#ASMSTART
	v_dot2_f32_f16 v78, v1, v9, v78
	;;#ASMEND
	;;#ASMSTART
	v_dot2_f32_f16 v78, v2, v10, v78
	;;#ASMEND
	;;#ASMSTART
	v_dot2_f32_f16 v78, v3, v11, v78
	;;#ASMEND
	ds_load_b128 v[0:3], v49 offset:32
	ds_load_b128 v[4:7], v53 offset:32
	;; [unrolled: 29-line block ×31, first 2 shown]
	ds_load_b128 v[8:11], v53 offset:1008
	v_add_co_u32 v79, vcc_lo, s36, v79
	s_waitcnt lgkmcnt(1)
	;;#ASMSTART
	v_dot2_f32_f16 v77, v0, v4, v77
	;;#ASMEND
	v_add_co_ci_u32_e32 v80, vcc_lo, s37, v80, vcc_lo
	;;#ASMSTART
	v_dot2_f32_f16 v77, v1, v5, v77
	;;#ASMEND
	;;#ASMSTART
	v_dot2_f32_f16 v77, v2, v6, v77
	;;#ASMEND
	;; [unrolled: 3-line block ×3, first 2 shown]
	s_waitcnt lgkmcnt(0)
	;;#ASMSTART
	v_dot2_f32_f16 v78, v0, v8, v78
	;;#ASMEND
	;;#ASMSTART
	v_dot2_f32_f16 v78, v1, v9, v78
	;;#ASMEND
	;; [unrolled: 3-line block ×4, first 2 shown]
	flat_load_u16 v79, v[79:80]
	v_cmp_gt_i32_e32 vcc_lo, 32, v45
	v_cndmask_b32_e64 v1, v39, v44, s2
	v_cndmask_b32_e64 v2, v39, v43, s3
	s_lshl_b64 s[2:3], s[6:7], 2
	v_cndmask_b32_e64 v3, v39, v42, s4
	v_cndmask_b32_e32 v0, v39, v45, vcc_lo
	s_add_u32 s4, s20, s2
	v_cndmask_b32_e64 v4, v39, v41, s5
	s_addc_u32 s5, s21, s3
	v_lshlrev_b32_e32 v85, 2, v3
	v_add_co_u32 v5, vcc_lo, s4, v31
	v_add_co_u32 v6, s2, s4, v33
	v_add_co_u32 v7, s3, s4, v35
	;; [unrolled: 1-line block ×3, first 2 shown]
	s_waitcnt vmcnt(0) lgkmcnt(0)
	s_barrier
	buffer_gl0_inv
	v_dual_mov_b32 v80, v19 :: v_dual_max_f32 v19, v81, v81
	s_delay_alu instid0(VALU_DEP_1) | instskip(SKIP_3) | instid1(VALU_DEP_3)
	v_max_f32_e32 v18, v80, v80
	v_cvt_f32_f16_e32 v79, v79
	v_lshlrev_b32_e32 v83, 2, v1
	v_add_co_ci_u32_e64 v1, s4, s5, v30, s4
	v_dual_add_f32 v77, v77, v79 :: v_dual_lshlrev_b32 v72, 2, v0
	v_lshlrev_b32_e32 v84, 2, v2
	v_add_co_ci_u32_e32 v2, vcc_lo, s5, v32, vcc_lo
	v_add_co_ci_u32_e64 v3, vcc_lo, s5, v34, s2
	v_add_co_ci_u32_e64 v10, vcc_lo, s5, v36, s3
	v_add_co_u32 v0, s4, v9, v47
	v_dual_add_f32 v78, v78, v79 :: v_dual_add_f32 v79, 0x40051340, v77
	v_lshlrev_b32_e32 v86, 2, v4
	v_add_co_u32 v4, vcc_lo, v5, v47
	s_delay_alu instid0(VALU_DEP_3)
	v_add_f32_e32 v87, 0x40051340, v78
	v_add_co_u32 v8, s2, v6, v47
	v_add_co_ci_u32_e64 v1, s4, 0, v1, s4
	v_add_co_u32 v12, s3, v7, v47
	v_add_co_ci_u32_e32 v5, vcc_lo, 0, v2, vcc_lo
	v_add_co_ci_u32_e64 v9, vcc_lo, 0, v3, s2
	v_add_co_ci_u32_e64 v13, vcc_lo, 0, v10, s3
	s_clause 0x3
	global_load_b128 v[0:3], v[0:1], off
	global_load_b128 v[4:7], v[4:5], off
	;; [unrolled: 1-line block ×4, first 2 shown]
	v_max_f32_e32 v19, v19, v79
	v_max_f32_e32 v18, v18, v87
	ds_bpermute_b32 v79, v72, v19
	ds_bpermute_b32 v72, v72, v18
	s_waitcnt lgkmcnt(0)
	v_dual_max_f32 v72, v72, v72 :: v_dual_max_f32 v79, v79, v79
	s_delay_alu instid0(VALU_DEP_1) | instskip(SKIP_4) | instid1(VALU_DEP_1)
	v_dual_max_f32 v18, v18, v72 :: v_dual_max_f32 v19, v19, v79
	ds_bpermute_b32 v79, v83, v18
	ds_bpermute_b32 v72, v83, v19
	s_waitcnt lgkmcnt(0)
	v_max_f32_e32 v72, v72, v72
	v_max_f32_e32 v19, v19, v72
	ds_bpermute_b32 v72, v84, v19
	s_waitcnt lgkmcnt(0)
	v_dual_max_f32 v79, v79, v79 :: v_dual_max_f32 v72, v72, v72
	s_delay_alu instid0(VALU_DEP_1) | instskip(SKIP_4) | instid1(VALU_DEP_1)
	v_dual_max_f32 v18, v18, v79 :: v_dual_max_f32 v19, v19, v72
	ds_bpermute_b32 v79, v84, v18
	ds_bpermute_b32 v72, v85, v19
	s_waitcnt lgkmcnt(0)
	v_dual_max_f32 v79, v79, v79 :: v_dual_max_f32 v72, v72, v72
	v_dual_max_f32 v18, v18, v79 :: v_dual_max_f32 v19, v19, v72
	ds_bpermute_b32 v79, v85, v18
	s_waitcnt lgkmcnt(0)
	v_max_f32_e32 v79, v79, v79
	s_delay_alu instid0(VALU_DEP_1) | instskip(SKIP_3) | instid1(VALU_DEP_1)
	v_max_f32_e32 v72, v18, v79
	ds_bpermute_b32 v18, v86, v19
	s_waitcnt lgkmcnt(0)
	v_max_f32_e32 v18, v18, v18
	v_max_f32_e32 v18, v19, v18
	s_delay_alu instid0(VALU_DEP_1) | instskip(SKIP_4) | instid1(VALU_DEP_3)
	v_sub_f32_e32 v77, v77, v18
	ds_bpermute_b32 v79, v86, v72
	v_mul_f32_e32 v83, 0x3fb8aa3b, v77
	v_cmp_ngt_f32_e64 s2, 0xc2ce8ed0, v77
	v_cmp_nlt_f32_e64 s6, 0x42b17218, v77
	v_fma_f32 v89, 0x3fb8aa3b, v77, -v83
	v_rndne_f32_e32 v90, v83
	s_waitcnt lgkmcnt(0)
	v_max_f32_e32 v79, v79, v79
	s_delay_alu instid0(VALU_DEP_1) | instskip(NEXT) | instid1(VALU_DEP_1)
	v_dual_max_f32 v19, v72, v79 :: v_dual_sub_f32 v72, v81, v18
	v_sub_f32_e32 v78, v78, v19
	s_delay_alu instid0(VALU_DEP_2) | instskip(SKIP_2) | instid1(VALU_DEP_3)
	v_dual_sub_f32 v79, v80, v19 :: v_dual_mul_f32 v80, 0x3fb8aa3b, v72
	v_cmp_ngt_f32_e64 s4, 0xc2ce8ed0, v72
	v_cmp_nlt_f32_e64 s8, 0x42b17218, v72
	v_dual_mul_f32 v81, 0x3fb8aa3b, v78 :: v_dual_mul_f32 v84, 0x3fb8aa3b, v79
	s_delay_alu instid0(VALU_DEP_4) | instskip(SKIP_2) | instid1(VALU_DEP_4)
	v_fma_f32 v85, 0x3fb8aa3b, v72, -v80
	v_rndne_f32_e32 v86, v80
	v_cmp_ngt_f32_e32 vcc_lo, 0xc2ce8ed0, v78
	v_fma_f32 v87, 0x3fb8aa3b, v78, -v81
	v_rndne_f32_e32 v88, v81
	v_cmp_nlt_f32_e64 s5, 0x42b17218, v78
	v_dual_fmac_f32 v85, 0x32a5705f, v72 :: v_dual_sub_f32 v72, v80, v86
	s_delay_alu instid0(VALU_DEP_3) | instskip(SKIP_1) | instid1(VALU_DEP_3)
	v_dual_fmac_f32 v87, 0x32a5705f, v78 :: v_dual_sub_f32 v78, v81, v88
	v_fmac_f32_e32 v89, 0x32a5705f, v77
	v_dual_sub_f32 v77, v83, v90 :: v_dual_add_f32 v72, v72, v85
	v_cvt_i32_f32_e32 v80, v86
	s_delay_alu instid0(VALU_DEP_4) | instskip(SKIP_1) | instid1(VALU_DEP_4)
	v_add_f32_e32 v78, v78, v87
	v_cvt_i32_f32_e32 v81, v88
	v_add_f32_e32 v77, v77, v89
	v_exp_f32_e32 v72, v72
	v_cvt_i32_f32_e32 v83, v90
	v_exp_f32_e32 v78, v78
	v_fma_f32 v91, 0x3fb8aa3b, v79, -v84
	v_exp_f32_e32 v77, v77
	v_rndne_f32_e32 v92, v84
	v_cmp_ngt_f32_e64 s3, 0xc2ce8ed0, v79
	v_cmp_nlt_f32_e64 s7, 0x42b17218, v79
	s_delay_alu instid0(TRANS32_DEP_3) | instskip(NEXT) | instid1(TRANS32_DEP_2)
	v_ldexp_f32 v72, v72, v80
	v_ldexp_f32 v78, v78, v81
	v_fmac_f32_e32 v91, 0x32a5705f, v79
	s_delay_alu instid0(TRANS32_DEP_1) | instskip(NEXT) | instid1(VALU_DEP_4)
	v_ldexp_f32 v77, v77, v83
	v_cndmask_b32_e64 v72, 0, v72, s4
	s_delay_alu instid0(VALU_DEP_4) | instskip(NEXT) | instid1(VALU_DEP_3)
	v_cndmask_b32_e32 v78, 0, v78, vcc_lo
	v_cndmask_b32_e64 v77, 0, v77, s2
	s_delay_alu instid0(VALU_DEP_3) | instskip(NEXT) | instid1(VALU_DEP_3)
	v_cndmask_b32_e64 v72, 0x7f800000, v72, s8
	v_cndmask_b32_e64 v78, 0x7f800000, v78, s5
	v_sub_f32_e32 v79, v84, v92
	s_delay_alu instid0(VALU_DEP_4) | instskip(NEXT) | instid1(VALU_DEP_4)
	v_cndmask_b32_e64 v77, 0x7f800000, v77, s6
	v_cvt_f16_f32_e64 v129, v72
	v_cvt_i32_f32_e32 v84, v92
	v_cvt_f16_f32_e32 v80, v78
	s_delay_alu instid0(VALU_DEP_4) | instskip(SKIP_4) | instid1(VALU_DEP_4)
	v_fma_f32 v46, v46, v72, v77
	v_dual_mov_b32 v72, v78 :: v_dual_add_f32 v79, v79, v91
	v_cvt_f16_f32_e32 v77, v77
	v_pk_mul_f16 v131, v129, v75 op_sel_hi:[0,1]
	v_pk_mul_f16 v132, v129, v76 op_sel_hi:[0,1]
	v_exp_f32_e32 v79, v79
	s_delay_alu instid0(VALU_DEP_3)
	v_pack_b32_f16 v75, v77, v80
	ds_store_b32 v56, v75
	s_waitcnt vmcnt(3)
	ds_store_b128 v55, v[0:3]
	s_waitcnt vmcnt(2)
	ds_store_b128 v57, v[4:7]
	;; [unrolled: 2-line block ×4, first 2 shown]
	v_ldexp_f32 v79, v79, v84
	s_waitcnt lgkmcnt(0)
	s_barrier
	buffer_gl0_inv
	v_cndmask_b32_e64 v79, 0, v79, s3
	s_delay_alu instid0(VALU_DEP_1) | instskip(NEXT) | instid1(VALU_DEP_1)
	v_cndmask_b32_e64 v79, 0x7f800000, v79, s7
	v_cvt_f16_f32_e64 v130, v79
	v_fmac_f32_e32 v72, v82, v79
	s_delay_alu instid0(VALU_DEP_2)
	v_pk_mul_f16 v133, v130, v74 op_sel_hi:[0,1]
	v_pk_mul_f16 v134, v130, v73 op_sel_hi:[0,1]
	;; [unrolled: 1-line block ×3, first 2 shown]
	ds_load_2addr_b64 v[0:3], v60 offset1:32
	ds_load_b128 v[4:7], v54
	ds_load_b128 v[8:11], v54 offset:16
	ds_load_b128 v[12:15], v54 offset:32
	;; [unrolled: 1-line block ×3, first 2 shown]
	ds_load_2addr_b64 v[77:80], v60 offset0:64 offset1:96
	ds_load_2addr_b64 v[81:84], v60 offset0:128 offset1:160
	ds_load_2addr_b64 v[85:88], v60 offset0:192 offset1:224
	ds_load_2addr_b64 v[89:92], v62 offset1:32
	ds_load_2addr_b64 v[93:96], v62 offset0:64 offset1:96
	ds_load_2addr_b64 v[97:100], v62 offset0:128 offset1:160
	ds_load_2addr_b64 v[101:104], v62 offset0:192 offset1:224
	ds_load_2addr_b64 v[105:108], v63 offset1:32
	ds_load_2addr_b64 v[109:112], v63 offset0:64 offset1:96
	ds_load_2addr_b64 v[113:116], v63 offset0:128 offset1:160
	ds_load_2addr_b64 v[117:120], v63 offset0:192 offset1:224
	ds_load_2addr_b64 v[121:124], v64 offset1:32
	ds_load_2addr_b64 v[125:128], v64 offset0:64 offset1:96
	s_waitcnt lgkmcnt(16)
	v_pk_mul_f16 v135, v0, v4 op_sel_hi:[1,0]
	v_pk_mul_f16 v0, v0, v4 op_sel:[0,1]
	v_pk_fma_f16 v133, v1, v4, v133 op_sel:[0,1,0]
	v_pk_fma_f16 v136, v2, v4, v131 op_sel_hi:[1,0,1]
	v_pk_fma_f16 v134, v2, v4, v134 op_sel:[0,1,0]
	v_pk_fma_f16 v137, v3, v4, v132 op_sel_hi:[1,0,1]
	v_pk_fma_f16 v71, v3, v4, v71 op_sel:[0,1,0]
	v_pk_mul_f16 v4, v1, v4 op_sel_hi:[1,0]
	v_pk_fma_f16 v61, v130, v61, v0 op_sel_hi:[0,1,1]
	v_pk_fma_f16 v69, v129, v69, v135 op_sel_hi:[0,1,1]
	s_waitcnt lgkmcnt(12)
	v_pk_fma_f16 v134, v79, v5, v134 op_sel:[0,1,0]
	v_pk_fma_f16 v135, v80, v5, v137 op_sel_hi:[1,0,1]
	v_pk_fma_f16 v4, v129, v70, v4 op_sel_hi:[0,1,1]
	v_pk_fma_f16 v70, v78, v5, v133 op_sel:[0,1,0]
	v_pk_fma_f16 v133, v79, v5, v136 op_sel_hi:[1,0,1]
	v_pk_fma_f16 v71, v80, v5, v71 op_sel:[0,1,0]
	v_pk_fma_f16 v69, v77, v5, v69 op_sel_hi:[1,0,1]
	v_pk_fma_f16 v61, v77, v5, v61 op_sel:[0,1,0]
	v_pk_fma_f16 v4, v78, v5, v4 op_sel_hi:[1,0,1]
	s_waitcnt lgkmcnt(11)
	v_pk_fma_f16 v5, v82, v6, v70 op_sel:[0,1,0]
	v_pk_fma_f16 v70, v83, v6, v133 op_sel_hi:[1,0,1]
	v_pk_fma_f16 v133, v83, v6, v134 op_sel:[0,1,0]
	v_pk_fma_f16 v134, v84, v6, v135 op_sel_hi:[1,0,1]
	v_pk_fma_f16 v71, v84, v6, v71 op_sel:[0,1,0]
	v_pk_fma_f16 v69, v81, v6, v69 op_sel_hi:[1,0,1]
	v_pk_fma_f16 v61, v81, v6, v61 op_sel:[0,1,0]
	v_pk_fma_f16 v4, v82, v6, v4 op_sel_hi:[1,0,1]
	s_waitcnt lgkmcnt(10)
	v_pk_fma_f16 v135, v86, v7, v5 op_sel:[0,1,0]
	;; [unrolled: 9-line block ×8, first 2 shown]
	v_pk_fma_f16 v70, v111, v13, v70 op_sel_hi:[1,0,1]
	v_pk_fma_f16 v133, v111, v13, v133 op_sel:[0,1,0]
	v_pk_fma_f16 v134, v112, v13, v134 op_sel_hi:[1,0,1]
	v_pk_fma_f16 v71, v112, v13, v71 op_sel:[0,1,0]
	;; [unrolled: 2-line block ×3, first 2 shown]
	v_pk_fma_f16 v12, v110, v13, v12 op_sel_hi:[1,0,1]
	ds_load_2addr_b64 v[0:3], v64 offset0:128 offset1:160
	s_waitcnt lgkmcnt(4)
	v_pk_fma_f16 v13, v114, v14, v135 op_sel:[0,1,0]
	v_pk_fma_f16 v70, v115, v14, v70 op_sel_hi:[1,0,1]
	v_pk_fma_f16 v133, v115, v14, v133 op_sel:[0,1,0]
	v_pk_fma_f16 v134, v116, v14, v134 op_sel_hi:[1,0,1]
	;; [unrolled: 2-line block ×4, first 2 shown]
	ds_load_2addr_b64 v[129:132], v64 offset0:192 offset1:224
	s_waitcnt lgkmcnt(4)
	v_pk_fma_f16 v135, v118, v15, v13 op_sel:[0,1,0]
	v_pk_fma_f16 v70, v119, v15, v70 op_sel_hi:[1,0,1]
	v_pk_fma_f16 v133, v119, v15, v133 op_sel:[0,1,0]
	v_pk_fma_f16 v134, v120, v15, v134 op_sel_hi:[1,0,1]
	;; [unrolled: 2-line block ×4, first 2 shown]
	ds_load_2addr_b64 v[77:80], v65 offset1:32
	ds_load_2addr_b64 v[81:84], v65 offset0:64 offset1:96
	ds_load_2addr_b64 v[4:7], v65 offset0:128 offset1:160
	;; [unrolled: 1-line block ×3, first 2 shown]
	ds_load_b128 v[93:96], v54 offset:64
	ds_load_b128 v[97:100], v54 offset:80
	s_waitcnt lgkmcnt(9)
	v_pk_fma_f16 v135, v122, v73, v135 op_sel:[0,1,0]
	v_pk_fma_f16 v70, v123, v73, v70 op_sel_hi:[1,0,1]
	v_pk_fma_f16 v133, v123, v73, v133 op_sel:[0,1,0]
	v_pk_fma_f16 v134, v124, v73, v134 op_sel_hi:[1,0,1]
	v_pk_fma_f16 v71, v124, v73, v71 op_sel:[0,1,0]
	v_pk_fma_f16 v69, v121, v73, v69 op_sel_hi:[1,0,1]
	v_pk_fma_f16 v61, v121, v73, v61 op_sel:[0,1,0]
	v_pk_fma_f16 v73, v122, v73, v136 op_sel_hi:[1,0,1]
	s_waitcnt lgkmcnt(8)
	v_pk_fma_f16 v135, v126, v74, v135 op_sel:[0,1,0]
	v_pk_fma_f16 v70, v127, v74, v70 op_sel_hi:[1,0,1]
	v_pk_fma_f16 v133, v127, v74, v133 op_sel:[0,1,0]
	v_pk_fma_f16 v134, v128, v74, v134 op_sel_hi:[1,0,1]
	v_pk_fma_f16 v71, v128, v74, v71 op_sel:[0,1,0]
	v_pk_fma_f16 v69, v125, v74, v69 op_sel_hi:[1,0,1]
	v_pk_fma_f16 v61, v125, v74, v61 op_sel:[0,1,0]
	v_pk_fma_f16 v73, v126, v74, v73 op_sel_hi:[1,0,1]
	;; [unrolled: 9-line block ×4, first 2 shown]
	ds_load_2addr_b64 v[89:92], v66 offset1:32
	s_waitcnt lgkmcnt(2)
	v_pk_fma_f16 v135, v78, v93, v135 op_sel:[0,1,0]
	v_pk_fma_f16 v70, v79, v93, v70 op_sel_hi:[1,0,1]
	v_pk_fma_f16 v133, v79, v93, v133 op_sel:[0,1,0]
	v_pk_fma_f16 v134, v80, v93, v134 op_sel_hi:[1,0,1]
	;; [unrolled: 2-line block ×8, first 2 shown]
	ds_load_2addr_b64 v[8:11], v66 offset0:64 offset1:96
	ds_load_2addr_b64 v[101:104], v66 offset0:128 offset1:160
	v_pk_fma_f16 v82, v5, v95, v135 op_sel:[0,1,0]
	v_pk_fma_f16 v70, v6, v95, v70 op_sel_hi:[1,0,1]
	v_pk_fma_f16 v6, v6, v95, v83 op_sel:[0,1,0]
	v_pk_fma_f16 v83, v7, v95, v133 op_sel_hi:[1,0,1]
	;; [unrolled: 2-line block ×4, first 2 shown]
	ds_load_2addr_b64 v[105:108], v66 offset0:192 offset1:224
	v_pk_fma_f16 v61, v86, v96, v82 op_sel:[0,1,0]
	v_pk_fma_f16 v70, v87, v96, v70 op_sel_hi:[1,0,1]
	v_pk_fma_f16 v6, v87, v96, v6 op_sel:[0,1,0]
	v_pk_fma_f16 v71, v88, v96, v83 op_sel_hi:[1,0,1]
	;; [unrolled: 2-line block ×4, first 2 shown]
	ds_load_2addr_b64 v[109:112], v67 offset1:32
	ds_load_2addr_b64 v[113:116], v67 offset0:64 offset1:96
	ds_load_2addr_b64 v[12:15], v67 offset0:128 offset1:160
	;; [unrolled: 1-line block ×3, first 2 shown]
	ds_load_b128 v[125:128], v54 offset:96
	ds_load_b128 v[0:3], v54 offset:112
	s_waitcnt lgkmcnt(9)
	v_pk_fma_f16 v61, v90, v97, v61 op_sel:[0,1,0]
	v_pk_fma_f16 v70, v91, v97, v70 op_sel_hi:[1,0,1]
	v_pk_fma_f16 v6, v91, v97, v6 op_sel:[0,1,0]
	v_pk_fma_f16 v71, v92, v97, v71 op_sel_hi:[1,0,1]
	v_pk_fma_f16 v7, v92, v97, v7 op_sel:[0,1,0]
	v_pk_fma_f16 v69, v89, v97, v69 op_sel_hi:[1,0,1]
	v_pk_fma_f16 v4, v89, v97, v4 op_sel:[0,1,0]
	v_pk_fma_f16 v5, v90, v97, v5 op_sel_hi:[1,0,1]
	s_waitcnt lgkmcnt(8)
	v_pk_fma_f16 v61, v9, v98, v61 op_sel:[0,1,0]
	v_pk_fma_f16 v70, v10, v98, v70 op_sel_hi:[1,0,1]
	v_pk_fma_f16 v6, v10, v98, v6 op_sel:[0,1,0]
	v_pk_fma_f16 v10, v11, v98, v71 op_sel_hi:[1,0,1]
	v_pk_fma_f16 v7, v11, v98, v7 op_sel:[0,1,0]
	v_pk_fma_f16 v11, v8, v98, v69 op_sel_hi:[1,0,1]
	v_pk_fma_f16 v4, v8, v98, v4 op_sel:[0,1,0]
	v_pk_fma_f16 v5, v9, v98, v5 op_sel_hi:[1,0,1]
	;; [unrolled: 9-line block ×4, first 2 shown]
	ds_load_2addr_b64 v[121:124], v68 offset1:32
	s_waitcnt lgkmcnt(2)
	v_pk_fma_f16 v8, v110, v125, v8 op_sel:[0,1,0]
	v_pk_fma_f16 v9, v111, v125, v9 op_sel_hi:[1,0,1]
	v_pk_fma_f16 v6, v111, v125, v6 op_sel:[0,1,0]
	v_pk_fma_f16 v10, v112, v125, v10 op_sel_hi:[1,0,1]
	;; [unrolled: 2-line block ×8, first 2 shown]
	ds_load_2addr_b64 v[73:76], v68 offset0:64 offset1:96
	ds_load_2addr_b64 v[129:132], v68 offset0:128 offset1:160
	v_pk_fma_f16 v8, v13, v127, v8 op_sel:[0,1,0]
	v_pk_fma_f16 v9, v14, v127, v9 op_sel_hi:[1,0,1]
	v_pk_fma_f16 v6, v14, v127, v6 op_sel:[0,1,0]
	v_pk_fma_f16 v10, v15, v127, v10 op_sel_hi:[1,0,1]
	;; [unrolled: 2-line block ×4, first 2 shown]
	ds_load_2addr_b64 v[77:80], v68 offset0:192 offset1:224
	s_waitcnt lgkmcnt(0)
	s_barrier
	buffer_gl0_inv
	s_load_b32 s2, s[12:13], 0x4
	v_pk_fma_f16 v8, v118, v128, v8 op_sel:[0,1,0]
	v_pk_fma_f16 v9, v119, v128, v9 op_sel_hi:[1,0,1]
	v_pk_fma_f16 v6, v119, v128, v6 op_sel:[0,1,0]
	v_pk_fma_f16 v10, v120, v128, v10 op_sel_hi:[1,0,1]
	v_pk_fma_f16 v7, v120, v128, v7 op_sel:[0,1,0]
	v_pk_fma_f16 v11, v117, v128, v11 op_sel_hi:[1,0,1]
	v_pk_fma_f16 v4, v117, v128, v4 op_sel:[0,1,0]
	v_pk_fma_f16 v5, v118, v128, v5 op_sel_hi:[1,0,1]
	v_pk_fma_f16 v8, v122, v0, v8 op_sel:[0,1,0]
	v_pk_fma_f16 v9, v123, v0, v9 op_sel_hi:[1,0,1]
	v_pk_fma_f16 v6, v123, v0, v6 op_sel:[0,1,0]
	v_pk_fma_f16 v10, v124, v0, v10 op_sel_hi:[1,0,1]
	v_pk_fma_f16 v7, v124, v0, v7 op_sel:[0,1,0]
	v_pk_fma_f16 v11, v121, v0, v11 op_sel_hi:[1,0,1]
	v_pk_fma_f16 v4, v121, v0, v4 op_sel:[0,1,0]
	v_pk_fma_f16 v0, v122, v0, v5 op_sel_hi:[1,0,1]
	v_pk_fma_f16 v5, v74, v1, v8 op_sel:[0,1,0]
	v_pk_fma_f16 v8, v75, v1, v9 op_sel_hi:[1,0,1]
	v_pk_fma_f16 v6, v75, v1, v6 op_sel:[0,1,0]
	v_pk_fma_f16 v9, v76, v1, v10 op_sel_hi:[1,0,1]
	v_pk_fma_f16 v7, v76, v1, v7 op_sel:[0,1,0]
	v_pk_fma_f16 v10, v73, v1, v11 op_sel_hi:[1,0,1]
	v_pk_fma_f16 v4, v73, v1, v4 op_sel:[0,1,0]
	v_pk_fma_f16 v0, v74, v1, v0 op_sel_hi:[1,0,1]
	v_pk_fma_f16 v1, v130, v2, v5 op_sel:[0,1,0]
	v_pk_fma_f16 v5, v131, v2, v8 op_sel_hi:[1,0,1]
	v_pk_fma_f16 v6, v131, v2, v6 op_sel:[0,1,0]
	v_pk_fma_f16 v8, v132, v2, v9 op_sel_hi:[1,0,1]
	v_pk_fma_f16 v7, v132, v2, v7 op_sel:[0,1,0]
	v_pk_fma_f16 v9, v129, v2, v10 op_sel_hi:[1,0,1]
	v_pk_fma_f16 v4, v129, v2, v4 op_sel:[0,1,0]
	v_pk_fma_f16 v0, v130, v2, v0 op_sel_hi:[1,0,1]
	s_waitcnt lgkmcnt(0)
	s_lshl_b32 s2, s2, 5
	v_pk_fma_f16 v74, v78, v3, v1 op_sel:[0,1,0]
	v_pk_fma_f16 v75, v79, v3, v5 op_sel_hi:[1,0,1]
	v_pk_fma_f16 v73, v79, v3, v6 op_sel:[0,1,0]
	v_pk_fma_f16 v76, v80, v3, v8 op_sel_hi:[1,0,1]
	;; [unrolled: 2-line block ×4, first 2 shown]
	s_add_i32 s9, s2, s9
	s_delay_alu instid0(SALU_CYCLE_1)
	s_cmp_ge_i32 s9, s34
	s_cbranch_scc0 .LBB17_9
; %bb.10:
	v_mov_b32_e32 v3, v39
.LBB17_11:
	v_cmp_lt_i32_e32 vcc_lo, v45, v40
	s_cmp_lg_u64 s[24:25], 0
	s_cselect_b32 s2, -1, 0
	s_cmp_eq_u32 s14, 0
	v_cndmask_b32_e32 v0, v3, v45, vcc_lo
	v_cmp_lt_i32_e32 vcc_lo, v44, v40
	s_cselect_b32 s3, -1, 0
	s_delay_alu instid0(SALU_CYCLE_1) | instskip(NEXT) | instid1(VALU_DEP_2)
	s_and_b32 s2, s3, s2
	v_lshlrev_b32_e32 v0, 2, v0
	v_cndmask_b32_e32 v2, v3, v44, vcc_lo
	v_cmp_lt_i32_e32 vcc_lo, v43, v40
	ds_bpermute_b32 v1, v0, v46
	v_cndmask_b32_e32 v5, v3, v43, vcc_lo
	v_cmp_lt_i32_e32 vcc_lo, v42, v40
	s_delay_alu instid0(VALU_DEP_2)
	v_lshlrev_b32_e32 v5, 2, v5
	s_waitcnt lgkmcnt(0)
	v_dual_add_f32 v1, v46, v1 :: v_dual_lshlrev_b32 v2, 2, v2
	ds_bpermute_b32 v0, v0, v72
	ds_bpermute_b32 v4, v2, v1
	s_waitcnt lgkmcnt(1)
	v_add_f32_e32 v0, v72, v0
	s_waitcnt lgkmcnt(0)
	v_add_f32_e32 v1, v1, v4
	ds_bpermute_b32 v2, v2, v0
	s_waitcnt lgkmcnt(0)
	v_add_f32_e32 v0, v0, v2
	ds_bpermute_b32 v2, v5, v1
	ds_bpermute_b32 v4, v5, v0
	v_cndmask_b32_e32 v5, v3, v42, vcc_lo
	v_cmp_lt_i32_e32 vcc_lo, v41, v40
	s_delay_alu instid0(VALU_DEP_2)
	v_lshlrev_b32_e32 v5, 2, v5
	v_cndmask_b32_e32 v3, v3, v41, vcc_lo
	s_and_b32 vcc_lo, exec_lo, s2
	s_waitcnt lgkmcnt(0)
	v_add_f32_e32 v0, v0, v4
	ds_bpermute_b32 v4, v5, v0
	v_add_f32_e32 v1, v1, v2
	ds_bpermute_b32 v2, v5, v1
	s_waitcnt lgkmcnt(0)
	v_dual_add_f32 v1, v1, v2 :: v_dual_add_f32 v2, v0, v4
	v_lshlrev_b32_e32 v3, 2, v3
	ds_bpermute_b32 v0, v3, v1
	s_waitcnt lgkmcnt(0)
	v_add_f32_e32 v0, v1, v0
	ds_bpermute_b32 v3, v3, v2
	s_waitcnt lgkmcnt(0)
	v_add_f32_e32 v1, v2, v3
	s_cbranch_vccz .LBB17_14
; %bb.12:
	v_add_nc_u32_e32 v2, s15, v38
	v_max_f32_e32 v4, v18, v18
	v_max_f32_e32 v6, v19, v19
	s_delay_alu instid0(VALU_DEP_3) | instskip(NEXT) | instid1(VALU_DEP_1)
	v_ashrrev_i32_e32 v3, 31, v2
	v_lshlrev_b64 v[2:3], 2, v[2:3]
	s_delay_alu instid0(VALU_DEP_1) | instskip(NEXT) | instid1(VALU_DEP_2)
	v_add_co_u32 v2, vcc_lo, s24, v2
	v_add_co_ci_u32_e32 v3, vcc_lo, s25, v3, vcc_lo
	global_load_b64 v[2:3], v[2:3], off
	s_waitcnt vmcnt(0)
	v_max_f32_e32 v5, v2, v2
	s_delay_alu instid0(VALU_DEP_1) | instskip(NEXT) | instid1(VALU_DEP_1)
	v_dual_max_f32 v7, v3, v3 :: v_dual_max_f32 v4, v4, v5
	v_max_f32_e32 v5, v6, v7
	s_delay_alu instid0(VALU_DEP_1) | instskip(SKIP_1) | instid1(VALU_DEP_2)
	v_dual_sub_f32 v6, v18, v4 :: v_dual_sub_f32 v3, v3, v5
	v_dual_sub_f32 v2, v2, v4 :: v_dual_sub_f32 v7, v19, v5
	v_cmp_ngt_f32_e32 vcc_lo, 0xc2ce8ed0, v6
	s_delay_alu instid0(VALU_DEP_3) | instskip(NEXT) | instid1(VALU_DEP_3)
	v_mul_f32_e32 v11, 0x3fb8aa3b, v3
	v_dual_mul_f32 v9, 0x3fb8aa3b, v2 :: v_dual_mul_f32 v10, 0x3fb8aa3b, v7
	s_delay_alu instid0(VALU_DEP_2) | instskip(NEXT) | instid1(VALU_DEP_2)
	v_fma_f32 v20, 0x3fb8aa3b, v3, -v11
	v_rndne_f32_e32 v15, v9
	v_mul_f32_e32 v8, 0x3fb8aa3b, v6
	v_fma_f32 v14, 0x3fb8aa3b, v2, -v9
	v_rndne_f32_e32 v21, v11
	v_fmac_f32_e32 v20, 0x32a5705f, v3
	v_sub_f32_e32 v9, v9, v15
	v_fma_f32 v12, 0x3fb8aa3b, v6, -v8
	v_rndne_f32_e32 v13, v8
	v_dual_sub_f32 v11, v11, v21 :: v_dual_fmac_f32 v14, 0x32a5705f, v2
	v_fma_f32 v18, 0x3fb8aa3b, v7, -v10
	s_delay_alu instid0(VALU_DEP_4) | instskip(SKIP_1) | instid1(VALU_DEP_4)
	v_fmac_f32_e32 v12, 0x32a5705f, v6
	v_rndne_f32_e32 v19, v10
	v_dual_add_f32 v11, v11, v20 :: v_dual_sub_f32 v8, v8, v13
	s_delay_alu instid0(VALU_DEP_2) | instskip(NEXT) | instid1(VALU_DEP_2)
	v_dual_add_f32 v9, v9, v14 :: v_dual_sub_f32 v10, v10, v19
	v_exp_f32_e32 v11, v11
	s_delay_alu instid0(VALU_DEP_2) | instskip(NEXT) | instid1(VALU_DEP_2)
	v_add_f32_e32 v8, v8, v12
	v_exp_f32_e32 v9, v9
	v_cvt_i32_f32_e32 v12, v13
	v_cvt_i32_f32_e32 v13, v15
	;; [unrolled: 1-line block ×3, first 2 shown]
	v_exp_f32_e32 v8, v8
	v_cvt_i32_f32_e32 v15, v21
	s_waitcnt_depctr 0xfff
	v_ldexp_f32 v9, v9, v13
	v_ldexp_f32 v11, v11, v15
	;; [unrolled: 1-line block ×3, first 2 shown]
	s_delay_alu instid0(VALU_DEP_1) | instskip(SKIP_2) | instid1(VALU_DEP_1)
	v_cndmask_b32_e32 v8, 0, v8, vcc_lo
	v_cmp_ngt_f32_e32 vcc_lo, 0xc2ce8ed0, v2
	v_dual_fmac_f32 v18, 0x32a5705f, v7 :: v_dual_cndmask_b32 v9, 0, v9
	v_add_f32_e32 v10, v10, v18
	v_cmp_ngt_f32_e32 vcc_lo, 0xc2ce8ed0, v7
	v_dual_mov_b32 v19, v5 :: v_dual_mov_b32 v18, v4
	s_delay_alu instid0(VALU_DEP_3) | instskip(SKIP_2) | instid1(VALU_DEP_1)
	v_exp_f32_e32 v10, v10
	s_waitcnt_depctr 0xfff
	v_ldexp_f32 v10, v10, v14
	v_cndmask_b32_e32 v10, 0, v10, vcc_lo
	v_cmp_ngt_f32_e32 vcc_lo, 0xc2ce8ed0, v3
	v_cndmask_b32_e32 v11, 0, v11, vcc_lo
	v_cmp_nlt_f32_e32 vcc_lo, 0x42b17218, v6
	v_cndmask_b32_e32 v6, 0x7f800000, v8, vcc_lo
	v_cmp_nlt_f32_e32 vcc_lo, 0x42b17218, v2
	s_delay_alu instid0(VALU_DEP_2) | instskip(SKIP_2) | instid1(VALU_DEP_3)
	v_cvt_f16_f32_e32 v8, v6
	v_cndmask_b32_e32 v2, 0x7f800000, v9, vcc_lo
	v_cmp_nlt_f32_e32 vcc_lo, 0x42b17218, v7
	v_pk_mul_f16 v69, v8, v69 op_sel_hi:[0,1]
	s_delay_alu instid0(VALU_DEP_3)
	v_fmac_f32_e32 v2, v0, v6
	v_cndmask_b32_e32 v7, 0x7f800000, v10, vcc_lo
	v_cmp_nlt_f32_e32 vcc_lo, 0x42b17218, v3
	v_pk_mul_f16 v70, v8, v70 op_sel_hi:[0,1]
	v_pk_mul_f16 v75, v8, v75 op_sel_hi:[0,1]
	;; [unrolled: 1-line block ×3, first 2 shown]
	v_cvt_f16_f32_e32 v0, v7
	v_cndmask_b32_e32 v3, 0x7f800000, v11, vcc_lo
	s_delay_alu instid0(VALU_DEP_2) | instskip(NEXT) | instid1(VALU_DEP_2)
	v_pk_mul_f16 v61, v0, v61 op_sel_hi:[0,1]
	v_fmac_f32_e32 v3, v1, v7
	v_pk_mul_f16 v74, v0, v74 op_sel_hi:[0,1]
	v_pk_mul_f16 v73, v0, v73 op_sel_hi:[0,1]
	;; [unrolled: 1-line block ×3, first 2 shown]
	s_delay_alu instid0(VALU_DEP_4)
	v_dual_mov_b32 v0, v2 :: v_dual_mov_b32 v1, v3
	s_mov_b32 s2, exec_lo
	v_cmpx_gt_i32_e64 s10, v16
	s_cbranch_execnz .LBB17_15
.LBB17_13:
	s_nop 0
	s_sendmsg sendmsg(MSG_DEALLOC_VGPRS)
	s_endpgm
.LBB17_14:
	s_delay_alu instid0(VALU_DEP_1)
	v_dual_mov_b32 v3, v1 :: v_dual_mov_b32 v2, v0
	s_mov_b32 s2, exec_lo
	v_cmpx_gt_i32_e64 s10, v16
	s_cbranch_execz .LBB17_13
.LBB17_15:
	s_load_b32 s1, s[0:1], 0xd4
	v_mov_b32_e32 v6, 1.0
	s_waitcnt lgkmcnt(0)
	s_cmp_lg_u32 s1, 1
	s_cselect_b32 s3, -1, 0
	s_cmp_eq_u32 s1, 1
	s_cselect_b32 s2, -1, 0
	s_and_b32 vcc_lo, exec_lo, s3
	s_cbranch_vccnz .LBB17_17
; %bb.16:
	v_div_scale_f32 v4, null, v0, v0, 1.0
	s_delay_alu instid0(VALU_DEP_1) | instskip(SKIP_2) | instid1(VALU_DEP_1)
	v_rcp_f32_e32 v5, v4
	s_waitcnt_depctr 0xfff
	v_fma_f32 v6, -v4, v5, 1.0
	v_fmac_f32_e32 v5, v6, v5
	v_div_scale_f32 v6, vcc_lo, 1.0, v0, 1.0
	s_delay_alu instid0(VALU_DEP_1) | instskip(NEXT) | instid1(VALU_DEP_1)
	v_mul_f32_e32 v7, v6, v5
	v_fma_f32 v8, -v4, v7, v6
	s_delay_alu instid0(VALU_DEP_1) | instskip(NEXT) | instid1(VALU_DEP_1)
	v_fmac_f32_e32 v7, v8, v5
	v_fma_f32 v4, -v4, v7, v6
	s_delay_alu instid0(VALU_DEP_1) | instskip(NEXT) | instid1(VALU_DEP_1)
	v_div_fmas_f32 v4, v4, v5, v7
	v_div_fixup_f32 v6, v4, v0, 1.0
.LBB17_17:
	v_mad_u64_u32 v[4:5], null, s33, s10, v[16:17]
	v_lshrrev_b32_e32 v7, 16, v70
	v_cvt_f32_f16_e32 v8, v70
	v_lshrrev_b32_e32 v10, 16, v69
	v_mov_b32_e32 v16, 0
	v_lshrrev_b32_e32 v12, 16, v76
	v_cmp_eq_u32_e32 vcc_lo, 0, v17
	v_mul_f32_e32 v9, v6, v8
	v_mul_lo_u32 v0, v4, s11
	v_cvt_f32_f16_e32 v11, v69
	v_cvt_f32_f16_e32 v14, v75
	;; [unrolled: 1-line block ×5, first 2 shown]
	v_mul_f32_e32 v7, v6, v11
	v_mul_f32_e32 v11, v6, v14
	v_add3_u32 v0, s15, v38, v0
	v_mul_f32_e32 v8, v6, v8
	v_mul_f32_e32 v14, v6, v12
	;; [unrolled: 1-line block ×3, first 2 shown]
	s_delay_alu instid0(VALU_DEP_4) | instskip(SKIP_2) | instid1(VALU_DEP_2)
	v_mad_u64_u32 v[4:5], null, s1, v0, s[14:15]
	v_cvt_f32_f16_e32 v0, v76
	v_lshrrev_b32_e32 v5, 16, v75
	v_mul_f32_e32 v13, v6, v0
	s_delay_alu instid0(VALU_DEP_4) | instskip(NEXT) | instid1(VALU_DEP_3)
	v_lshl_add_u32 v15, v4, 8, v37
	v_cvt_f32_f16_e32 v0, v5
	s_delay_alu instid0(VALU_DEP_2) | instskip(NEXT) | instid1(VALU_DEP_2)
	v_lshlrev_b64 v[20:21], 2, v[15:16]
	v_dual_mul_f32 v12, v6, v0 :: v_dual_add_nc_u32 v15, 0x80, v15
	s_delay_alu instid0(VALU_DEP_1) | instskip(NEXT) | instid1(VALU_DEP_3)
	v_lshlrev_b64 v[5:6], 2, v[15:16]
	v_add_co_u32 v15, s0, s28, v20
	s_delay_alu instid0(VALU_DEP_1) | instskip(NEXT) | instid1(VALU_DEP_3)
	v_add_co_ci_u32_e64 v16, s0, s29, v21, s0
	v_add_co_u32 v5, s0, s28, v5
	s_delay_alu instid0(VALU_DEP_1)
	v_add_co_ci_u32_e64 v6, s0, s29, v6, s0
	s_and_b32 s0, vcc_lo, s3
	s_clause 0x1
	global_store_b128 v[15:16], v[7:10], off
	global_store_b128 v[5:6], v[11:14], off
	s_and_saveexec_b32 s3, s0
	s_cbranch_execz .LBB17_19
; %bb.18:
	v_ashrrev_i32_e32 v5, 31, v4
	v_mov_b32_e32 v7, v18
	v_mov_b32_e32 v8, v2
	s_delay_alu instid0(VALU_DEP_3) | instskip(NEXT) | instid1(VALU_DEP_1)
	v_lshlrev_b64 v[5:6], 3, v[4:5]
	v_add_co_u32 v5, vcc_lo, s30, v5
	s_delay_alu instid0(VALU_DEP_2)
	v_add_co_ci_u32_e32 v6, vcc_lo, s31, v6, vcc_lo
	global_store_b64 v[5:6], v[7:8], off
.LBB17_19:
	s_or_b32 exec_lo, exec_lo, s3
	v_mov_b32_e32 v2, 1.0
	s_and_not1_b32 vcc_lo, exec_lo, s2
	s_cbranch_vccnz .LBB17_21
; %bb.20:
	v_div_scale_f32 v0, null, v1, v1, 1.0
	s_delay_alu instid0(VALU_DEP_1) | instskip(SKIP_2) | instid1(VALU_DEP_1)
	v_rcp_f32_e32 v2, v0
	s_waitcnt_depctr 0xfff
	v_fma_f32 v5, -v0, v2, 1.0
	v_fmac_f32_e32 v2, v5, v2
	v_div_scale_f32 v5, vcc_lo, 1.0, v1, 1.0
	s_delay_alu instid0(VALU_DEP_1) | instskip(NEXT) | instid1(VALU_DEP_1)
	v_mul_f32_e32 v6, v5, v2
	v_fma_f32 v7, -v0, v6, v5
	s_delay_alu instid0(VALU_DEP_1) | instskip(NEXT) | instid1(VALU_DEP_1)
	v_fmac_f32_e32 v6, v7, v2
	v_fma_f32 v0, -v0, v6, v5
	s_delay_alu instid0(VALU_DEP_1) | instskip(NEXT) | instid1(VALU_DEP_1)
	v_div_fmas_f32 v0, v0, v2, v6
	v_div_fixup_f32 v2, v0, v1, 1.0
.LBB17_21:
	v_lshrrev_b32_e32 v1, 16, v74
	v_dual_mov_b32 v9, 0 :: v_dual_add_nc_u32 v0, s1, v4
	v_lshrrev_b32_e32 v4, 16, v61
	v_lshrrev_b32_e32 v14, 16, v73
	s_delay_alu instid0(VALU_DEP_4) | instskip(NEXT) | instid1(VALU_DEP_4)
	v_cvt_f32_f16_e32 v1, v1
	v_lshl_add_u32 v8, v0, 8, v37
	v_cvt_f32_f16_e32 v5, v74
	v_cvt_f32_f16_e32 v4, v4
	;; [unrolled: 1-line block ×3, first 2 shown]
	v_mul_f32_e32 v7, v2, v1
	v_lshlrev_b64 v[10:11], 2, v[8:9]
	v_add_nc_u32_e32 v8, 0x80, v8
	v_lshrrev_b32_e32 v1, 16, v71
	v_cvt_f32_f16_e32 v16, v14
	v_mul_f32_e32 v6, v2, v5
	v_mul_f32_e32 v5, v2, v4
	v_lshlrev_b64 v[14:15], 2, v[8:9]
	v_cvt_f32_f16_e32 v1, v1
	v_mul_f32_e32 v4, v2, v12
	v_add_co_u32 v12, vcc_lo, s28, v10
	v_cvt_f32_f16_e32 v10, v71
	v_cvt_f32_f16_e32 v17, v73
	v_add_co_ci_u32_e32 v13, vcc_lo, s29, v11, vcc_lo
	v_mul_f32_e32 v11, v2, v1
	v_add_co_u32 v1, vcc_lo, s28, v14
	v_mul_f32_e32 v10, v2, v10
	v_mul_f32_e32 v9, v2, v16
	v_mul_f32_e32 v8, v2, v17
	v_add_co_ci_u32_e32 v2, vcc_lo, s29, v15, vcc_lo
	s_clause 0x1
	global_store_b128 v[12:13], v[4:7], off
	global_store_b128 v[1:2], v[8:11], off
	s_and_b32 exec_lo, exec_lo, s0
	s_cbranch_execz .LBB17_13
; %bb.22:
	v_ashrrev_i32_e32 v1, 31, v0
	v_mov_b32_e32 v2, v19
	s_delay_alu instid0(VALU_DEP_2) | instskip(NEXT) | instid1(VALU_DEP_1)
	v_lshlrev_b64 v[0:1], 3, v[0:1]
	v_add_co_u32 v0, vcc_lo, s30, v0
	s_delay_alu instid0(VALU_DEP_2)
	v_add_co_ci_u32_e32 v1, vcc_lo, s31, v1, vcc_lo
	global_store_b64 v[0:1], v[2:3], off
	s_nop 0
	s_sendmsg sendmsg(MSG_DEALLOC_VGPRS)
	s_endpgm
	.section	.rodata,"a",@progbits
	.p2align	6, 0x0
	.amdhsa_kernel _ZL15flash_attn_tileILi256ELi256ELi4ELi4ELb0EEvPKcS1_S1_S1_S1_PKiPfP15HIP_vector_typeIfLj2EEffffjfiS5_IjLj3EEiiiiiiiiiiiliiliiiiil
		.amdhsa_group_segment_fixed_size 26112
		.amdhsa_private_segment_fixed_size 0
		.amdhsa_kernarg_size 464
		.amdhsa_user_sgpr_count 13
		.amdhsa_user_sgpr_dispatch_ptr 0
		.amdhsa_user_sgpr_queue_ptr 0
		.amdhsa_user_sgpr_kernarg_segment_ptr 1
		.amdhsa_user_sgpr_dispatch_id 0
		.amdhsa_user_sgpr_private_segment_size 0
		.amdhsa_wavefront_size32 1
		.amdhsa_uses_dynamic_stack 0
		.amdhsa_enable_private_segment 0
		.amdhsa_system_sgpr_workgroup_id_x 1
		.amdhsa_system_sgpr_workgroup_id_y 1
		.amdhsa_system_sgpr_workgroup_id_z 1
		.amdhsa_system_sgpr_workgroup_info 0
		.amdhsa_system_vgpr_workitem_id 1
		.amdhsa_next_free_vgpr 138
		.amdhsa_next_free_sgpr 40
		.amdhsa_reserve_vcc 1
		.amdhsa_float_round_mode_32 0
		.amdhsa_float_round_mode_16_64 0
		.amdhsa_float_denorm_mode_32 3
		.amdhsa_float_denorm_mode_16_64 3
		.amdhsa_dx10_clamp 1
		.amdhsa_ieee_mode 1
		.amdhsa_fp16_overflow 0
		.amdhsa_workgroup_processor_mode 1
		.amdhsa_memory_ordered 1
		.amdhsa_forward_progress 0
		.amdhsa_shared_vgpr_count 0
		.amdhsa_exception_fp_ieee_invalid_op 0
		.amdhsa_exception_fp_denorm_src 0
		.amdhsa_exception_fp_ieee_div_zero 0
		.amdhsa_exception_fp_ieee_overflow 0
		.amdhsa_exception_fp_ieee_underflow 0
		.amdhsa_exception_fp_ieee_inexact 0
		.amdhsa_exception_int_div_zero 0
	.end_amdhsa_kernel
	.section	.text._ZL15flash_attn_tileILi256ELi256ELi4ELi4ELb0EEvPKcS1_S1_S1_S1_PKiPfP15HIP_vector_typeIfLj2EEffffjfiS5_IjLj3EEiiiiiiiiiiiliiliiiiil,"axG",@progbits,_ZL15flash_attn_tileILi256ELi256ELi4ELi4ELb0EEvPKcS1_S1_S1_S1_PKiPfP15HIP_vector_typeIfLj2EEffffjfiS5_IjLj3EEiiiiiiiiiiiliiliiiiil,comdat
.Lfunc_end17:
	.size	_ZL15flash_attn_tileILi256ELi256ELi4ELi4ELb0EEvPKcS1_S1_S1_S1_PKiPfP15HIP_vector_typeIfLj2EEffffjfiS5_IjLj3EEiiiiiiiiiiiliiliiiiil, .Lfunc_end17-_ZL15flash_attn_tileILi256ELi256ELi4ELi4ELb0EEvPKcS1_S1_S1_S1_PKiPfP15HIP_vector_typeIfLj2EEffffjfiS5_IjLj3EEiiiiiiiiiiiliiliiiiil
                                        ; -- End function
	.section	.AMDGPU.csdata,"",@progbits
; Kernel info:
; codeLenInByte = 13808
; NumSgprs: 42
; NumVgprs: 138
; ScratchSize: 0
; MemoryBound: 0
; FloatMode: 240
; IeeeMode: 1
; LDSByteSize: 26112 bytes/workgroup (compile time only)
; SGPRBlocks: 5
; VGPRBlocks: 17
; NumSGPRsForWavesPerEU: 42
; NumVGPRsForWavesPerEU: 138
; Occupancy: 10
; WaveLimiterHint : 1
; COMPUTE_PGM_RSRC2:SCRATCH_EN: 0
; COMPUTE_PGM_RSRC2:USER_SGPR: 13
; COMPUTE_PGM_RSRC2:TRAP_HANDLER: 0
; COMPUTE_PGM_RSRC2:TGID_X_EN: 1
; COMPUTE_PGM_RSRC2:TGID_Y_EN: 1
; COMPUTE_PGM_RSRC2:TGID_Z_EN: 1
; COMPUTE_PGM_RSRC2:TIDIG_COMP_CNT: 1
	.section	.text._ZL33flash_attn_stream_k_fixup_uniformILi256ELi4ELi4EEvPfPK15HIP_vector_typeIfLj2EEiiiiiiS1_IjLj3EES5_S5_,"axG",@progbits,_ZL33flash_attn_stream_k_fixup_uniformILi256ELi4ELi4EEvPfPK15HIP_vector_typeIfLj2EEiiiiiiS1_IjLj3EES5_S5_,comdat
	.globl	_ZL33flash_attn_stream_k_fixup_uniformILi256ELi4ELi4EEvPfPK15HIP_vector_typeIfLj2EEiiiiiiS1_IjLj3EES5_S5_ ; -- Begin function _ZL33flash_attn_stream_k_fixup_uniformILi256ELi4ELi4EEvPfPK15HIP_vector_typeIfLj2EEiiiiiiS1_IjLj3EES5_S5_
	.p2align	8
	.type	_ZL33flash_attn_stream_k_fixup_uniformILi256ELi4ELi4EEvPfPK15HIP_vector_typeIfLj2EEiiiiiiS1_IjLj3EES5_S5_,@function
_ZL33flash_attn_stream_k_fixup_uniformILi256ELi4ELi4EEvPfPK15HIP_vector_typeIfLj2EEiiiiiiS1_IjLj3EES5_S5_: ; @_ZL33flash_attn_stream_k_fixup_uniformILi256ELi4ELi4EEvPfPK15HIP_vector_typeIfLj2EEiiiiiiS1_IjLj3EES5_S5_
; %bb.0:
	s_clause 0x1
	s_load_b256 s[4:11], s[0:1], 0x1c
	s_load_b128 s[16:19], s[0:1], 0x3c
	s_waitcnt lgkmcnt(0)
	s_mul_hi_u32 s2, s7, s13
	s_delay_alu instid0(SALU_CYCLE_1) | instskip(NEXT) | instid1(SALU_CYCLE_1)
	s_add_i32 s2, s13, s2
	s_lshr_b32 s2, s2, s8
	s_delay_alu instid0(SALU_CYCLE_1) | instskip(SKIP_2) | instid1(SALU_CYCLE_1)
	s_mul_i32 s3, s2, s9
	s_load_b64 s[8:9], s[0:1], 0x10
	s_sub_i32 s7, s13, s3
	s_mul_hi_u32 s3, s7, s10
	s_delay_alu instid0(SALU_CYCLE_1) | instskip(NEXT) | instid1(SALU_CYCLE_1)
	s_add_i32 s3, s7, s3
	s_lshr_b32 s3, s3, s11
	s_delay_alu instid0(SALU_CYCLE_1) | instskip(NEXT) | instid1(SALU_CYCLE_1)
	s_mul_i32 s10, s3, s16
	s_sub_i32 s7, s7, s10
	s_delay_alu instid0(SALU_CYCLE_1) | instskip(NEXT) | instid1(SALU_CYCLE_1)
	s_mul_hi_u32 s10, s7, s17
	s_add_i32 s10, s7, s10
	s_delay_alu instid0(SALU_CYCLE_1) | instskip(NEXT) | instid1(SALU_CYCLE_1)
	s_lshr_b32 s10, s10, s18
	s_mul_i32 s11, s10, s19
	s_lshl_b32 s10, s10, 2
	s_sub_i32 s7, s7, s11
	s_delay_alu instid0(SALU_CYCLE_1) | instskip(NEXT) | instid1(SALU_CYCLE_1)
	s_lshl_b32 s11, s7, 2
	s_add_i32 s11, s11, s14
	s_waitcnt lgkmcnt(0)
	s_cmp_lt_i32 s11, s8
	s_cselect_b32 s11, -1, 0
	s_add_i32 s12, s10, s15
	s_delay_alu instid0(SALU_CYCLE_1) | instskip(SKIP_1) | instid1(SALU_CYCLE_1)
	s_cmp_lt_i32 s12, s5
	s_cselect_b32 s12, -1, 0
	s_and_b32 s11, s11, s12
	s_delay_alu instid0(SALU_CYCLE_1)
	s_and_not1_b32 vcc_lo, exec_lo, s11
	s_cbranch_vccnz .LBB18_6
; %bb.1:
	s_mul_i32 s2, s2, s8
	s_mul_i32 s5, s3, s5
	s_add_i32 s2, s2, s14
	s_mul_i32 s7, s9, s7
	s_mul_i32 s2, s2, s9
	s_lshl_b32 s7, s7, 10
	s_add_i32 s8, s2, s15
	s_load_b128 s[0:3], s[0:1], 0x0
	s_add_i32 s5, s8, s5
	s_lshl_b32 s9, s14, 2
	s_add_i32 s5, s5, s10
	s_delay_alu instid0(SALU_CYCLE_1) | instskip(NEXT) | instid1(SALU_CYCLE_1)
	s_lshl_b32 s5, s5, 8
	s_add_i32 s7, s7, s5
	s_mul_i32 s5, s13, s6
	v_or_b32_e32 v1, s7, v0
	s_add_i32 s10, s5, s6
	s_delay_alu instid0(VALU_DEP_1) | instskip(NEXT) | instid1(VALU_DEP_1)
	v_ashrrev_i32_e32 v2, 31, v1
	v_lshlrev_b64 v[1:2], 2, v[1:2]
	s_waitcnt lgkmcnt(0)
	s_delay_alu instid0(VALU_DEP_1) | instskip(NEXT) | instid1(VALU_DEP_2)
	v_add_co_u32 v1, vcc_lo, s0, v1
	v_add_co_ci_u32_e32 v2, vcc_lo, s1, v2, vcc_lo
	s_add_i32 s0, s9, s15
	s_lshl_b32 s1, s10, 4
	s_delay_alu instid0(SALU_CYCLE_1) | instskip(SKIP_2) | instid1(SALU_CYCLE_1)
	s_add_i32 s0, s0, s1
	global_load_b32 v5, v[1:2], off
	s_add_i32 s0, s0, -16
	s_ashr_i32 s1, s0, 31
	s_delay_alu instid0(SALU_CYCLE_1) | instskip(NEXT) | instid1(SALU_CYCLE_1)
	s_lshl_b64 s[0:1], s[0:1], 3
	s_add_u32 s0, s2, s0
	s_addc_u32 s1, s3, s1
	s_add_i32 s7, s10, -2
	s_load_b32 s11, s[0:1], 0x4
	s_cmp_lt_i32 s7, s5
	s_cbranch_scc1 .LBB18_4
; %bb.2:
	s_lshl_b32 s16, s4, 6
	s_load_b32 s12, s[0:1], 0x0
	s_ashr_i32 s17, s16, 31
	s_delay_alu instid0(SALU_CYCLE_1) | instskip(NEXT) | instid1(SALU_CYCLE_1)
	s_lshl_b64 s[0:1], s[16:17], 2
	s_add_u32 s7, s2, s0
	s_addc_u32 s8, s3, s1
	s_add_i32 s13, s13, 1
	s_lshl_b32 s0, s14, 10
	s_lshl_b32 s1, s15, 8
	s_mul_i32 s6, s6, s13
	s_add_i32 s0, s1, s0
	s_lshl_b32 s1, s6, 12
	s_delay_alu instid0(SALU_CYCLE_1)
	s_add_i32 s0, s0, s1
	s_lshl_b32 s1, s6, 4
	v_or_b32_e32 v0, s0, v0
	s_lshl_b32 s0, s4, 4
	s_add_i32 s1, s15, s1
	s_waitcnt lgkmcnt(0)
	v_mov_b32_e32 v6, s11
	s_add_i32 s0, s1, s0
	v_dual_mov_b32 v0, s12 :: v_dual_add_nc_u32 v3, 0xffffe000, v0
	s_add_i32 s0, s0, s9
	s_add_i32 s4, s10, -1
	s_sub_i32 s0, s0, 32
.LBB18_3:                               ; =>This Inner Loop Header: Depth=1
	s_delay_alu instid0(VALU_DEP_1) | instskip(SKIP_1) | instid1(SALU_CYCLE_1)
	v_ashrrev_i32_e32 v4, 31, v3
	s_ashr_i32 s1, s0, 31
	s_lshl_b64 s[10:11], s[0:1], 3
	s_delay_alu instid0(SALU_CYCLE_1) | instskip(NEXT) | instid1(VALU_DEP_1)
	s_add_u32 s10, s2, s10
	v_lshlrev_b64 v[7:8], 2, v[3:4]
	s_addc_u32 s11, s3, s11
	s_add_i32 s4, s4, -1
	s_add_i32 s0, s0, -16
	s_cmp_le_i32 s4, s5
	s_load_b64 s[10:11], s[10:11], 0x0
	v_add_co_u32 v7, vcc_lo, s7, v7
	v_add_co_ci_u32_e32 v8, vcc_lo, s8, v8, vcc_lo
	global_load_b32 v4, v[7:8], off
	v_max_f32_e32 v7, v0, v0
	s_waitcnt lgkmcnt(0)
	v_max_f32_e64 v8, s10, s10
	s_delay_alu instid0(VALU_DEP_1) | instskip(NEXT) | instid1(VALU_DEP_1)
	v_max_f32_e32 v7, v7, v8
	v_sub_f32_e32 v8, s10, v7
	s_delay_alu instid0(VALU_DEP_1) | instskip(NEXT) | instid1(VALU_DEP_1)
	v_dual_sub_f32 v0, v0, v7 :: v_dual_mul_f32 v9, 0x3fb8aa3b, v8
	v_fma_f32 v10, 0x3fb8aa3b, v8, -v9
	v_rndne_f32_e32 v11, v9
	s_delay_alu instid0(VALU_DEP_3) | instskip(NEXT) | instid1(VALU_DEP_2)
	v_mul_f32_e32 v12, 0x3fb8aa3b, v0
	v_dual_fmac_f32 v10, 0x32a5705f, v8 :: v_dual_sub_f32 v9, v9, v11
	v_cvt_i32_f32_e32 v11, v11
	s_delay_alu instid0(VALU_DEP_3) | instskip(SKIP_1) | instid1(VALU_DEP_4)
	v_fma_f32 v13, 0x3fb8aa3b, v0, -v12
	v_rndne_f32_e32 v14, v12
	v_add_f32_e32 v9, v9, v10
	v_cmp_ngt_f32_e32 vcc_lo, 0xc2ce8ed0, v8
	s_delay_alu instid0(VALU_DEP_3) | instskip(NEXT) | instid1(VALU_DEP_3)
	v_sub_f32_e32 v10, v12, v14
	v_exp_f32_e32 v9, v9
	s_waitcnt_depctr 0xfff
	v_ldexp_f32 v9, v9, v11
	v_cvt_i32_f32_e32 v11, v14
	s_delay_alu instid0(VALU_DEP_2) | instskip(SKIP_1) | instid1(VALU_DEP_2)
	v_cndmask_b32_e32 v9, 0, v9, vcc_lo
	v_cmp_nlt_f32_e32 vcc_lo, 0x42b17218, v8
	v_cndmask_b32_e32 v9, 0x7f800000, v9, vcc_lo
	v_cmp_ngt_f32_e32 vcc_lo, 0xc2ce8ed0, v0
	v_fmac_f32_e32 v13, 0x32a5705f, v0
	s_delay_alu instid0(VALU_DEP_1) | instskip(NEXT) | instid1(VALU_DEP_1)
	v_add_f32_e32 v10, v10, v13
	v_exp_f32_e32 v10, v10
	s_waitcnt_depctr 0xfff
	v_ldexp_f32 v10, v10, v11
	s_delay_alu instid0(VALU_DEP_1)
	v_dual_mov_b32 v11, v6 :: v_dual_cndmask_b32 v10, 0, v10
	v_cmp_le_f32_e32 vcc_lo, 0xc1a00000, v8
	s_waitcnt vmcnt(1)
	v_dual_cndmask_b32 v8, 0, v9 :: v_dual_mov_b32 v9, v5
	v_cmp_nlt_f32_e32 vcc_lo, 0x42b17218, v0
	v_cndmask_b32_e32 v5, 0x7f800000, v10, vcc_lo
	s_delay_alu instid0(VALU_DEP_3) | instskip(SKIP_2) | instid1(VALU_DEP_3)
	v_mul_f32_e32 v10, s11, v8
	v_cmp_le_f32_e32 vcc_lo, 0xc1a00000, v0
	v_mov_b32_e32 v0, v7
	v_mov_b32_e32 v6, v10
	s_waitcnt vmcnt(0)
	v_dual_cndmask_b32 v12, 0, v5 :: v_dual_mul_f32 v5, v4, v8
	s_delay_alu instid0(VALU_DEP_1) | instskip(NEXT) | instid1(VALU_DEP_2)
	v_dual_fmac_f32 v6, v11, v12 :: v_dual_add_nc_u32 v3, 0xfffff000, v3
	v_fmac_f32_e32 v5, v9, v12
	s_cbranch_scc0 .LBB18_3
	s_branch .LBB18_5
.LBB18_4:
	s_waitcnt lgkmcnt(0)
	v_mov_b32_e32 v6, s11
.LBB18_5:
	s_waitcnt vmcnt(0)
	s_delay_alu instid0(VALU_DEP_1) | instskip(NEXT) | instid1(VALU_DEP_1)
	v_div_scale_f32 v0, null, v6, v6, v5
	v_rcp_f32_e32 v3, v0
	s_waitcnt_depctr 0xfff
	v_fma_f32 v4, -v0, v3, 1.0
	s_delay_alu instid0(VALU_DEP_1) | instskip(SKIP_1) | instid1(VALU_DEP_1)
	v_fmac_f32_e32 v3, v4, v3
	v_div_scale_f32 v4, vcc_lo, v5, v6, v5
	v_mul_f32_e32 v7, v4, v3
	s_delay_alu instid0(VALU_DEP_1) | instskip(NEXT) | instid1(VALU_DEP_1)
	v_fma_f32 v8, -v0, v7, v4
	v_fmac_f32_e32 v7, v8, v3
	s_delay_alu instid0(VALU_DEP_1) | instskip(NEXT) | instid1(VALU_DEP_1)
	v_fma_f32 v0, -v0, v7, v4
	v_div_fmas_f32 v0, v0, v3, v7
	s_delay_alu instid0(VALU_DEP_1)
	v_div_fixup_f32 v0, v0, v6, v5
	global_store_b32 v[1:2], v0, off
.LBB18_6:
	s_nop 0
	s_sendmsg sendmsg(MSG_DEALLOC_VGPRS)
	s_endpgm
	.section	.rodata,"a",@progbits
	.p2align	6, 0x0
	.amdhsa_kernel _ZL33flash_attn_stream_k_fixup_uniformILi256ELi4ELi4EEvPfPK15HIP_vector_typeIfLj2EEiiiiiiS1_IjLj3EES5_S5_
		.amdhsa_group_segment_fixed_size 0
		.amdhsa_private_segment_fixed_size 0
		.amdhsa_kernarg_size 76
		.amdhsa_user_sgpr_count 13
		.amdhsa_user_sgpr_dispatch_ptr 0
		.amdhsa_user_sgpr_queue_ptr 0
		.amdhsa_user_sgpr_kernarg_segment_ptr 1
		.amdhsa_user_sgpr_dispatch_id 0
		.amdhsa_user_sgpr_private_segment_size 0
		.amdhsa_wavefront_size32 1
		.amdhsa_uses_dynamic_stack 0
		.amdhsa_enable_private_segment 0
		.amdhsa_system_sgpr_workgroup_id_x 1
		.amdhsa_system_sgpr_workgroup_id_y 1
		.amdhsa_system_sgpr_workgroup_id_z 1
		.amdhsa_system_sgpr_workgroup_info 0
		.amdhsa_system_vgpr_workitem_id 0
		.amdhsa_next_free_vgpr 15
		.amdhsa_next_free_sgpr 20
		.amdhsa_reserve_vcc 1
		.amdhsa_float_round_mode_32 0
		.amdhsa_float_round_mode_16_64 0
		.amdhsa_float_denorm_mode_32 3
		.amdhsa_float_denorm_mode_16_64 3
		.amdhsa_dx10_clamp 1
		.amdhsa_ieee_mode 1
		.amdhsa_fp16_overflow 0
		.amdhsa_workgroup_processor_mode 1
		.amdhsa_memory_ordered 1
		.amdhsa_forward_progress 0
		.amdhsa_shared_vgpr_count 0
		.amdhsa_exception_fp_ieee_invalid_op 0
		.amdhsa_exception_fp_denorm_src 0
		.amdhsa_exception_fp_ieee_div_zero 0
		.amdhsa_exception_fp_ieee_overflow 0
		.amdhsa_exception_fp_ieee_underflow 0
		.amdhsa_exception_fp_ieee_inexact 0
		.amdhsa_exception_int_div_zero 0
	.end_amdhsa_kernel
	.section	.text._ZL33flash_attn_stream_k_fixup_uniformILi256ELi4ELi4EEvPfPK15HIP_vector_typeIfLj2EEiiiiiiS1_IjLj3EES5_S5_,"axG",@progbits,_ZL33flash_attn_stream_k_fixup_uniformILi256ELi4ELi4EEvPfPK15HIP_vector_typeIfLj2EEiiiiiiS1_IjLj3EES5_S5_,comdat
.Lfunc_end18:
	.size	_ZL33flash_attn_stream_k_fixup_uniformILi256ELi4ELi4EEvPfPK15HIP_vector_typeIfLj2EEiiiiiiS1_IjLj3EES5_S5_, .Lfunc_end18-_ZL33flash_attn_stream_k_fixup_uniformILi256ELi4ELi4EEvPfPK15HIP_vector_typeIfLj2EEiiiiiiS1_IjLj3EES5_S5_
                                        ; -- End function
	.section	.AMDGPU.csdata,"",@progbits
; Kernel info:
; codeLenInByte = 996
; NumSgprs: 22
; NumVgprs: 15
; ScratchSize: 0
; MemoryBound: 0
; FloatMode: 240
; IeeeMode: 1
; LDSByteSize: 0 bytes/workgroup (compile time only)
; SGPRBlocks: 2
; VGPRBlocks: 1
; NumSGPRsForWavesPerEU: 22
; NumVGPRsForWavesPerEU: 15
; Occupancy: 16
; WaveLimiterHint : 0
; COMPUTE_PGM_RSRC2:SCRATCH_EN: 0
; COMPUTE_PGM_RSRC2:USER_SGPR: 13
; COMPUTE_PGM_RSRC2:TRAP_HANDLER: 0
; COMPUTE_PGM_RSRC2:TGID_X_EN: 1
; COMPUTE_PGM_RSRC2:TGID_Y_EN: 1
; COMPUTE_PGM_RSRC2:TGID_Z_EN: 1
; COMPUTE_PGM_RSRC2:TIDIG_COMP_CNT: 0
	.section	.text._ZL33flash_attn_stream_k_fixup_generalILi256ELi4ELi4EEvPfPK15HIP_vector_typeIfLj2EEiiiiS1_IjLj3EES5_S5_S5_,"axG",@progbits,_ZL33flash_attn_stream_k_fixup_generalILi256ELi4ELi4EEvPfPK15HIP_vector_typeIfLj2EEiiiiS1_IjLj3EES5_S5_S5_,comdat
	.globl	_ZL33flash_attn_stream_k_fixup_generalILi256ELi4ELi4EEvPfPK15HIP_vector_typeIfLj2EEiiiiS1_IjLj3EES5_S5_S5_ ; -- Begin function _ZL33flash_attn_stream_k_fixup_generalILi256ELi4ELi4EEvPfPK15HIP_vector_typeIfLj2EEiiiiS1_IjLj3EES5_S5_S5_
	.p2align	8
	.type	_ZL33flash_attn_stream_k_fixup_generalILi256ELi4ELi4EEvPfPK15HIP_vector_typeIfLj2EEiiiiS1_IjLj3EES5_S5_S5_,@function
_ZL33flash_attn_stream_k_fixup_generalILi256ELi4ELi4EEvPfPK15HIP_vector_typeIfLj2EEiiiiS1_IjLj3EES5_S5_S5_: ; @_ZL33flash_attn_stream_k_fixup_generalILi256ELi4ELi4EEvPfPK15HIP_vector_typeIfLj2EEiiiiS1_IjLj3EES5_S5_S5_
; %bb.0:
	s_clause 0x1
	s_load_b128 s[4:7], s[0:1], 0x10
	s_load_b32 s20, s[0:1], 0x50
	s_mov_b32 s2, 0
	s_waitcnt lgkmcnt(0)
	s_mul_hi_i32 s3, s7, s13
	s_mul_i32 s12, s7, s13
	s_cmp_lg_u64 s[2:3], 0
	s_cbranch_scc0 .LBB19_21
; %bb.1:
	v_cvt_f32_ubyte0_e32 v1, 0
	v_cvt_f32_u32_e32 v2, s20
	s_sub_u32 s10, 0, s20
	s_subb_u32 s11, 0, 0
	s_delay_alu instid0(VALU_DEP_1) | instskip(NEXT) | instid1(VALU_DEP_1)
	v_fmamk_f32 v1, v1, 0x4f800000, v2
	v_rcp_f32_e32 v1, v1
	s_waitcnt_depctr 0xfff
	v_mul_f32_e32 v1, 0x5f7ffffc, v1
	s_delay_alu instid0(VALU_DEP_1) | instskip(NEXT) | instid1(VALU_DEP_1)
	v_mul_f32_e32 v2, 0x2f800000, v1
	v_trunc_f32_e32 v2, v2
	s_delay_alu instid0(VALU_DEP_1) | instskip(SKIP_1) | instid1(VALU_DEP_2)
	v_fmamk_f32 v1, v2, 0xcf800000, v1
	v_cvt_u32_f32_e32 v2, v2
	v_cvt_u32_f32_e32 v1, v1
	s_delay_alu instid0(VALU_DEP_2) | instskip(NEXT) | instid1(VALU_DEP_2)
	v_readfirstlane_b32 s8, v2
	v_readfirstlane_b32 s9, v1
	s_delay_alu instid0(VALU_DEP_2) | instskip(NEXT) | instid1(VALU_DEP_1)
	s_mul_i32 s16, s10, s8
	s_mul_hi_u32 s18, s10, s9
	s_mul_i32 s17, s11, s9
	s_add_i32 s16, s18, s16
	s_mul_i32 s19, s10, s9
	s_add_i32 s16, s16, s17
	s_mul_hi_u32 s18, s9, s19
	s_mul_hi_u32 s21, s8, s19
	s_mul_i32 s17, s8, s19
	s_mul_hi_u32 s19, s9, s16
	s_mul_i32 s9, s9, s16
	s_mul_hi_u32 s22, s8, s16
	s_add_u32 s9, s18, s9
	s_addc_u32 s18, 0, s19
	s_add_u32 s9, s9, s17
	s_mul_i32 s16, s8, s16
	s_addc_u32 s9, s18, s21
	s_addc_u32 s17, s22, 0
	s_add_u32 s9, s9, s16
	s_addc_u32 s16, 0, s17
	v_add_co_u32 v1, s9, v1, s9
	s_delay_alu instid0(VALU_DEP_1) | instskip(SKIP_1) | instid1(VALU_DEP_1)
	s_cmp_lg_u32 s9, 0
	s_addc_u32 s8, s8, s16
	v_readfirstlane_b32 s9, v1
	s_mul_i32 s16, s10, s8
	s_delay_alu instid0(VALU_DEP_1)
	s_mul_hi_u32 s17, s10, s9
	s_mul_i32 s11, s11, s9
	s_add_i32 s16, s17, s16
	s_mul_i32 s10, s10, s9
	s_add_i32 s16, s16, s11
	s_mul_hi_u32 s17, s8, s10
	s_mul_i32 s18, s8, s10
	s_mul_hi_u32 s10, s9, s10
	s_mul_hi_u32 s19, s9, s16
	s_mul_i32 s9, s9, s16
	s_mul_hi_u32 s11, s8, s16
	s_add_u32 s9, s10, s9
	s_addc_u32 s10, 0, s19
	s_add_u32 s9, s9, s18
	s_mul_i32 s16, s8, s16
	s_addc_u32 s9, s10, s17
	s_addc_u32 s10, s11, 0
	s_add_u32 s9, s9, s16
	s_addc_u32 s10, 0, s10
	v_add_co_u32 v1, s9, v1, s9
	s_delay_alu instid0(VALU_DEP_1) | instskip(SKIP_2) | instid1(SALU_CYCLE_1)
	s_cmp_lg_u32 s9, 0
	s_addc_u32 s16, s8, s10
	s_ashr_i32 s8, s3, 31
	s_add_u32 s10, s12, s8
	s_addc_u32 s11, s3, s8
	v_readfirstlane_b32 s3, v1
	s_mov_b32 s9, s8
	s_delay_alu instid0(SALU_CYCLE_1) | instskip(NEXT) | instid1(SALU_CYCLE_1)
	s_xor_b64 s[10:11], s[10:11], s[8:9]
	s_mul_i32 s18, s10, s16
	s_delay_alu instid0(VALU_DEP_1)
	s_mul_hi_u32 s19, s10, s3
	s_mul_hi_u32 s17, s10, s16
	;; [unrolled: 1-line block ×3, first 2 shown]
	s_mul_i32 s3, s11, s3
	s_add_u32 s18, s19, s18
	s_addc_u32 s17, 0, s17
	s_mul_hi_u32 s21, s11, s16
	s_add_u32 s3, s18, s3
	s_mul_i32 s16, s11, s16
	s_addc_u32 s3, s17, s22
	s_addc_u32 s17, s21, 0
	s_add_u32 s3, s3, s16
	s_addc_u32 s16, 0, s17
	s_mul_i32 s18, s20, s3
	s_add_u32 s17, s3, 1
	v_sub_co_u32 v1, s10, s10, s18
	s_mul_hi_u32 s18, s20, s3
	s_addc_u32 s19, s16, 0
	s_mul_i32 s21, s20, s16
	s_delay_alu instid0(VALU_DEP_1)
	v_sub_co_u32 v2, s22, v1, s20
	s_add_u32 s23, s3, 2
	s_addc_u32 s24, s16, 0
	s_add_i32 s18, s18, s21
	s_cmp_lg_u32 s10, 0
	v_readfirstlane_b32 s10, v2
	s_subb_u32 s11, s11, s18
	s_cmp_lg_u32 s22, 0
	s_subb_u32 s18, s11, 0
	s_delay_alu instid0(VALU_DEP_1) | instskip(SKIP_4) | instid1(SALU_CYCLE_1)
	s_cmp_ge_u32 s10, s20
	s_cselect_b32 s10, -1, 0
	s_cmp_eq_u32 s18, 0
	v_readfirstlane_b32 s18, v1
	s_cselect_b32 s10, s10, -1
	s_cmp_lg_u32 s10, 0
	s_cselect_b32 s10, s23, s17
	s_cselect_b32 s17, s24, s19
	s_cmp_ge_u32 s18, s20
	s_cselect_b32 s18, -1, 0
	s_cmp_eq_u32 s11, 0
	s_cselect_b32 s11, s18, -1
	s_delay_alu instid0(SALU_CYCLE_1) | instskip(SKIP_2) | instid1(SALU_CYCLE_1)
	s_cmp_lg_u32 s11, 0
	s_cselect_b32 s11, s17, s16
	s_cselect_b32 s10, s10, s3
	s_xor_b64 s[10:11], s[10:11], s[8:9]
	s_delay_alu instid0(SALU_CYCLE_1)
	s_sub_u32 s16, s10, s8
	s_load_b128 s[8:11], s[0:1], 0x44
	s_and_not1_b32 vcc_lo, exec_lo, s2
	s_cbranch_vccnz .LBB19_3
.LBB19_2:
	v_cvt_f32_u32_e32 v1, s20
	s_sub_i32 s3, 0, s20
	s_delay_alu instid0(VALU_DEP_1) | instskip(SKIP_2) | instid1(VALU_DEP_1)
	v_rcp_iflag_f32_e32 v1, v1
	s_waitcnt_depctr 0xfff
	v_mul_f32_e32 v1, 0x4f7ffffe, v1
	v_cvt_u32_f32_e32 v1, v1
	s_delay_alu instid0(VALU_DEP_1) | instskip(NEXT) | instid1(VALU_DEP_1)
	v_readfirstlane_b32 s2, v1
	s_mul_i32 s3, s3, s2
	s_delay_alu instid0(SALU_CYCLE_1) | instskip(NEXT) | instid1(SALU_CYCLE_1)
	s_mul_hi_u32 s3, s2, s3
	s_add_i32 s2, s2, s3
	s_delay_alu instid0(SALU_CYCLE_1) | instskip(NEXT) | instid1(SALU_CYCLE_1)
	s_mul_hi_u32 s2, s12, s2
	s_mul_i32 s3, s2, s20
	s_waitcnt lgkmcnt(0)
	s_add_i32 s11, s2, 1
	s_sub_i32 s3, s12, s3
	s_delay_alu instid0(SALU_CYCLE_1)
	s_sub_i32 s12, s3, s20
	s_cmp_ge_u32 s3, s20
	s_cselect_b32 s2, s11, s2
	s_cselect_b32 s3, s12, s3
	s_add_i32 s11, s2, 1
	s_cmp_ge_u32 s3, s20
	s_cselect_b32 s16, s11, s2
.LBB19_3:
	s_waitcnt lgkmcnt(0)
	s_add_i32 s11, s13, 1
	s_mov_b32 s2, 0
	s_mul_hi_i32 s3, s7, s11
	s_mul_i32 s11, s7, s11
	s_cmp_lg_u64 s[2:3], 0
	s_cbranch_scc0 .LBB19_22
; %bb.4:
	v_cvt_f32_ubyte0_e32 v1, 0
	v_cvt_f32_u32_e32 v2, s20
	s_sub_u32 s18, 0, s20
	s_subb_u32 s19, 0, 0
	s_delay_alu instid0(VALU_DEP_1) | instskip(NEXT) | instid1(VALU_DEP_1)
	v_fmamk_f32 v1, v1, 0x4f800000, v2
	v_rcp_f32_e32 v1, v1
	s_waitcnt_depctr 0xfff
	v_mul_f32_e32 v1, 0x5f7ffffc, v1
	s_delay_alu instid0(VALU_DEP_1) | instskip(NEXT) | instid1(VALU_DEP_1)
	v_mul_f32_e32 v2, 0x2f800000, v1
	v_trunc_f32_e32 v2, v2
	s_delay_alu instid0(VALU_DEP_1) | instskip(SKIP_1) | instid1(VALU_DEP_2)
	v_fmamk_f32 v1, v2, 0xcf800000, v1
	v_cvt_u32_f32_e32 v2, v2
	v_cvt_u32_f32_e32 v1, v1
	s_delay_alu instid0(VALU_DEP_2) | instskip(NEXT) | instid1(VALU_DEP_2)
	v_readfirstlane_b32 s12, v2
	v_readfirstlane_b32 s17, v1
	s_delay_alu instid0(VALU_DEP_2) | instskip(NEXT) | instid1(VALU_DEP_1)
	s_mul_i32 s21, s18, s12
	s_mul_hi_u32 s23, s18, s17
	s_mul_i32 s22, s19, s17
	s_add_i32 s21, s23, s21
	s_mul_i32 s24, s18, s17
	s_add_i32 s21, s21, s22
	s_mul_hi_u32 s23, s17, s24
	s_mul_hi_u32 s25, s12, s24
	s_mul_i32 s22, s12, s24
	s_mul_hi_u32 s24, s17, s21
	s_mul_i32 s17, s17, s21
	s_mul_hi_u32 s26, s12, s21
	s_add_u32 s17, s23, s17
	s_addc_u32 s23, 0, s24
	s_add_u32 s17, s17, s22
	s_mul_i32 s21, s12, s21
	s_addc_u32 s17, s23, s25
	s_addc_u32 s22, s26, 0
	s_add_u32 s17, s17, s21
	s_addc_u32 s21, 0, s22
	v_add_co_u32 v1, s17, v1, s17
	s_delay_alu instid0(VALU_DEP_1) | instskip(SKIP_1) | instid1(VALU_DEP_1)
	s_cmp_lg_u32 s17, 0
	s_addc_u32 s12, s12, s21
	v_readfirstlane_b32 s17, v1
	s_mul_i32 s21, s18, s12
	s_delay_alu instid0(VALU_DEP_1)
	s_mul_hi_u32 s22, s18, s17
	s_mul_i32 s19, s19, s17
	s_add_i32 s21, s22, s21
	s_mul_i32 s18, s18, s17
	s_add_i32 s21, s21, s19
	s_mul_hi_u32 s22, s12, s18
	s_mul_i32 s23, s12, s18
	s_mul_hi_u32 s18, s17, s18
	s_mul_hi_u32 s24, s17, s21
	s_mul_i32 s17, s17, s21
	s_mul_hi_u32 s19, s12, s21
	s_add_u32 s17, s18, s17
	s_addc_u32 s18, 0, s24
	s_add_u32 s17, s17, s23
	s_mul_i32 s21, s12, s21
	s_addc_u32 s17, s18, s22
	s_addc_u32 s18, s19, 0
	s_add_u32 s17, s17, s21
	s_addc_u32 s18, 0, s18
	v_add_co_u32 v1, s17, v1, s17
	s_delay_alu instid0(VALU_DEP_1) | instskip(SKIP_2) | instid1(SALU_CYCLE_1)
	s_cmp_lg_u32 s17, 0
	s_addc_u32 s12, s12, s18
	s_ashr_i32 s18, s3, 31
	s_add_u32 s22, s11, s18
	s_addc_u32 s23, s3, s18
	v_readfirstlane_b32 s3, v1
	s_mov_b32 s19, s18
	s_delay_alu instid0(SALU_CYCLE_1) | instskip(NEXT) | instid1(SALU_CYCLE_1)
	s_xor_b64 s[22:23], s[22:23], s[18:19]
	s_mul_i32 s21, s22, s12
	s_delay_alu instid0(VALU_DEP_1)
	s_mul_hi_u32 s24, s22, s3
	s_mul_hi_u32 s17, s22, s12
	;; [unrolled: 1-line block ×3, first 2 shown]
	s_mul_i32 s3, s23, s3
	s_add_u32 s21, s24, s21
	s_addc_u32 s17, 0, s17
	s_mul_hi_u32 s25, s23, s12
	s_add_u32 s3, s21, s3
	s_mul_i32 s12, s23, s12
	s_addc_u32 s3, s17, s26
	s_addc_u32 s17, s25, 0
	s_add_u32 s3, s3, s12
	s_addc_u32 s12, 0, s17
	s_mul_i32 s21, s20, s3
	s_add_u32 s17, s3, 1
	v_sub_co_u32 v1, s21, s22, s21
	s_mul_hi_u32 s22, s20, s3
	s_addc_u32 s24, s12, 0
	s_mul_i32 s25, s20, s12
	s_delay_alu instid0(VALU_DEP_1)
	v_sub_co_u32 v2, s26, v1, s20
	s_add_u32 s27, s3, 2
	s_addc_u32 s28, s12, 0
	s_add_i32 s22, s22, s25
	s_cmp_lg_u32 s21, 0
	v_readfirstlane_b32 s21, v2
	s_subb_u32 s22, s23, s22
	s_cmp_lg_u32 s26, 0
	s_subb_u32 s23, s22, 0
	s_delay_alu instid0(VALU_DEP_1) | instskip(SKIP_4) | instid1(SALU_CYCLE_1)
	s_cmp_ge_u32 s21, s20
	s_cselect_b32 s21, -1, 0
	s_cmp_eq_u32 s23, 0
	v_readfirstlane_b32 s23, v1
	s_cselect_b32 s21, s21, -1
	s_cmp_lg_u32 s21, 0
	s_cselect_b32 s17, s27, s17
	s_cselect_b32 s21, s28, s24
	s_cmp_ge_u32 s23, s20
	s_cselect_b32 s23, -1, 0
	s_cmp_eq_u32 s22, 0
	s_cselect_b32 s22, s23, -1
	s_delay_alu instid0(SALU_CYCLE_1) | instskip(SKIP_2) | instid1(SALU_CYCLE_1)
	s_cmp_lg_u32 s22, 0
	s_cselect_b32 s23, s21, s12
	s_cselect_b32 s22, s17, s3
	s_xor_b64 s[22:23], s[22:23], s[18:19]
	s_delay_alu instid0(SALU_CYCLE_1)
	s_sub_u32 s18, s22, s18
	s_and_not1_b32 vcc_lo, exec_lo, s2
	s_cbranch_vccnz .LBB19_6
.LBB19_5:
	v_cvt_f32_u32_e32 v1, s20
	s_sub_i32 s3, 0, s20
	s_delay_alu instid0(VALU_DEP_1) | instskip(SKIP_2) | instid1(VALU_DEP_1)
	v_rcp_iflag_f32_e32 v1, v1
	s_waitcnt_depctr 0xfff
	v_mul_f32_e32 v1, 0x4f7ffffe, v1
	v_cvt_u32_f32_e32 v1, v1
	s_delay_alu instid0(VALU_DEP_1) | instskip(NEXT) | instid1(VALU_DEP_1)
	v_readfirstlane_b32 s2, v1
	s_mul_i32 s3, s3, s2
	s_delay_alu instid0(SALU_CYCLE_1) | instskip(NEXT) | instid1(SALU_CYCLE_1)
	s_mul_hi_u32 s3, s2, s3
	s_add_i32 s2, s2, s3
	s_delay_alu instid0(SALU_CYCLE_1) | instskip(NEXT) | instid1(SALU_CYCLE_1)
	s_mul_hi_u32 s2, s11, s2
	s_mul_i32 s3, s2, s20
	s_delay_alu instid0(SALU_CYCLE_1)
	s_sub_i32 s3, s11, s3
	s_add_i32 s11, s2, 1
	s_sub_i32 s12, s3, s20
	s_cmp_ge_u32 s3, s20
	s_cselect_b32 s2, s11, s2
	s_cselect_b32 s3, s12, s3
	s_add_i32 s11, s2, 1
	s_cmp_ge_u32 s3, s20
	s_cselect_b32 s18, s11, s2
.LBB19_6:
	s_delay_alu instid0(SALU_CYCLE_1) | instskip(SKIP_3) | instid1(SALU_CYCLE_1)
	s_cmp_eq_u32 s16, s18
	s_mul_hi_u32 s2, s16, s8
	s_cselect_b32 s3, -1, 0
	s_add_i32 s2, s2, s16
	s_lshr_b32 s11, s2, s9
	s_delay_alu instid0(SALU_CYCLE_1) | instskip(NEXT) | instid1(SALU_CYCLE_1)
	s_mul_i32 s2, s11, s10
	s_cmp_eq_u32 s2, s16
	s_mul_hi_u32 s2, s18, s8
	s_cselect_b32 s12, -1, 0
	s_add_i32 s2, s2, s18
	s_delay_alu instid0(SALU_CYCLE_1) | instskip(NEXT) | instid1(SALU_CYCLE_1)
	s_lshr_b32 s2, s2, s9
	s_cmp_eq_u32 s11, s2
	s_mul_i32 s2, s2, s10
	s_cselect_b32 s17, -1, 0
	s_cmp_lg_u32 s2, s18
	s_cselect_b32 s2, -1, 0
	s_or_b32 s3, s3, s12
	s_and_b32 s2, s17, s2
	s_delay_alu instid0(SALU_CYCLE_1) | instskip(NEXT) | instid1(SALU_CYCLE_1)
	s_or_b32 s2, s3, s2
	s_and_b32 vcc_lo, exec_lo, s2
	s_cbranch_vccnz .LBB19_24
; %bb.7:
	s_load_b256 s[24:31], s[0:1], 0x20
	s_waitcnt lgkmcnt(0)
	s_mul_hi_u32 s2, s16, s24
	s_delay_alu instid0(SALU_CYCLE_1) | instskip(NEXT) | instid1(SALU_CYCLE_1)
	s_add_i32 s2, s2, s16
	s_lshr_b32 s17, s2, s25
	s_load_b32 s2, s[0:1], 0x40
	s_mul_i32 s3, s17, s26
	s_delay_alu instid0(SALU_CYCLE_1) | instskip(NEXT) | instid1(SALU_CYCLE_1)
	s_sub_i32 s3, s16, s3
	s_mul_hi_u32 s12, s3, s27
	s_delay_alu instid0(SALU_CYCLE_1) | instskip(NEXT) | instid1(SALU_CYCLE_1)
	s_add_i32 s12, s3, s12
	s_lshr_b32 s21, s12, s28
	s_delay_alu instid0(SALU_CYCLE_1) | instskip(NEXT) | instid1(SALU_CYCLE_1)
	s_mul_i32 s12, s21, s29
	s_sub_i32 s3, s3, s12
	s_delay_alu instid0(SALU_CYCLE_1) | instskip(NEXT) | instid1(SALU_CYCLE_1)
	s_mul_hi_u32 s12, s3, s30
	s_add_i32 s12, s3, s12
	s_delay_alu instid0(SALU_CYCLE_1)
	s_lshr_b32 s12, s12, s31
	s_waitcnt lgkmcnt(0)
	s_mul_i32 s2, s12, s2
	s_lshl_b32 s23, s12, 2
	s_sub_i32 s2, s3, s2
	s_mov_b32 s12, 0
	s_mul_hi_u32 s3, s2, s8
	s_delay_alu instid0(SALU_CYCLE_1) | instskip(NEXT) | instid1(SALU_CYCLE_1)
	s_add_i32 s2, s2, s3
	s_lshr_b32 s22, s2, s9
	s_delay_alu instid0(SALU_CYCLE_1) | instskip(NEXT) | instid1(SALU_CYCLE_1)
	s_lshl_b32 s2, s22, 2
	s_add_i32 s2, s2, s14
	s_delay_alu instid0(SALU_CYCLE_1) | instskip(SKIP_2) | instid1(SALU_CYCLE_1)
	s_cmp_lt_i32 s2, s4
	s_cselect_b32 s2, -1, 0
	s_add_i32 s3, s23, s15
	s_cmp_lt_i32 s3, s6
	s_cselect_b32 s3, -1, 0
	s_delay_alu instid0(SALU_CYCLE_1) | instskip(NEXT) | instid1(SALU_CYCLE_1)
	s_and_b32 s2, s2, s3
	s_and_not1_b32 vcc_lo, exec_lo, s2
	s_cbranch_vccnz .LBB19_24
; %bb.8:
	s_load_b128 s[0:3], s[0:1], 0x0
	s_lshl_b32 s18, s20, 6
	s_mov_b32 s19, s12
	s_lshl_b32 s24, s14, 2
	s_lshl_b64 s[18:19], s[18:19], 2
	s_mul_i32 s4, s17, s4
	s_add_i32 s17, s24, s15
	s_mul_i32 s21, s21, s6
	v_cvt_f32_ubyte0_e32 v4, 0
	v_cvt_f32_u32_e32 v5, s20
	s_waitcnt lgkmcnt(0)
	s_add_u32 s18, s2, s18
	s_addc_u32 s19, s3, s19
	s_add_i32 s4, s4, s14
	s_delay_alu instid0(SALU_CYCLE_1) | instskip(SKIP_4) | instid1(SALU_CYCLE_1)
	s_mul_i32 s4, s4, s5
	s_mul_i32 s5, s5, s22
	s_add_i32 s4, s4, s15
	s_lshl_b32 s5, s5, 10
	s_add_i32 s4, s4, s21
	s_add_i32 s4, s4, s23
	s_delay_alu instid0(SALU_CYCLE_1) | instskip(NEXT) | instid1(SALU_CYCLE_1)
	s_lshl_b32 s4, s4, 8
	s_add_i32 s5, s5, s4
	s_delay_alu instid0(SALU_CYCLE_1) | instskip(SKIP_1) | instid1(VALU_DEP_2)
	v_or_b32_e32 v1, s5, v0
	v_lshl_or_b32 v0, s17, 8, v0
	v_ashrrev_i32_e32 v2, 31, v1
	s_delay_alu instid0(VALU_DEP_1) | instskip(NEXT) | instid1(VALU_DEP_1)
	v_lshlrev_b64 v[1:2], 2, v[1:2]
	v_add_co_u32 v1, vcc_lo, s0, v1
	s_delay_alu instid0(VALU_DEP_2) | instskip(SKIP_1) | instid1(SALU_CYCLE_1)
	v_add_co_ci_u32_e32 v2, vcc_lo, s1, v2, vcc_lo
	s_lshl_b32 s0, s13, 4
	s_add_i32 s0, s17, s0
	global_load_b32 v3, v[1:2], off
	s_ashr_i32 s1, s0, 31
	s_delay_alu instid0(SALU_CYCLE_1) | instskip(NEXT) | instid1(SALU_CYCLE_1)
	s_lshl_b64 s[0:1], s[0:1], 3
	s_add_u32 s0, s2, s0
	s_addc_u32 s1, s3, s1
	s_add_i32 s14, s13, -1
	s_load_b64 s[0:1], s[0:1], 0x0
	v_fmac_f32_e32 v5, 0x4f800000, v4
	s_sub_i32 s6, 0, s20
	s_waitcnt lgkmcnt(0)
	v_mov_b32_e32 v8, s0
	s_delay_alu instid0(VALU_DEP_2) | instskip(SKIP_2) | instid1(VALU_DEP_2)
	v_rcp_f32_e32 v4, v5
	v_cvt_f32_u32_e32 v5, s20
	v_mov_b32_e32 v7, s1
	v_rcp_iflag_f32_e32 v5, v5
	s_waitcnt_depctr 0xfff
	v_mul_f32_e32 v4, 0x5f7ffffc, v4
	s_delay_alu instid0(VALU_DEP_1) | instskip(SKIP_1) | instid1(VALU_DEP_2)
	v_mul_f32_e32 v6, 0x2f800000, v4
	v_mul_f32_e32 v9, 0x4f7ffffe, v5
	v_trunc_f32_e32 v6, v6
	s_delay_alu instid0(VALU_DEP_1) | instskip(SKIP_1) | instid1(VALU_DEP_4)
	v_fmac_f32_e32 v4, 0xcf800000, v6
	v_cvt_u32_f32_e32 v5, v6
	v_cvt_u32_f32_e32 v6, v9
	s_delay_alu instid0(VALU_DEP_3)
	v_cvt_u32_f32_e32 v4, v4
.LBB19_9:                               ; =>This Inner Loop Header: Depth=1
	s_mul_hi_i32 s13, s14, s7
	s_mul_i32 s4, s14, s7
	s_cmp_lg_u64 s[12:13], 0
	s_mov_b32 s5, -1
                                        ; implicit-def: $sgpr0_sgpr1
	s_cbranch_scc0 .LBB19_11
; %bb.10:                               ;   in Loop: Header=BB19_9 Depth=1
	v_readfirstlane_b32 s0, v4
	v_readfirstlane_b32 s1, v5
	s_sub_u32 s5, 0, s20
	s_subb_u32 s15, 0, 0
	s_delay_alu instid0(VALU_DEP_2) | instskip(NEXT) | instid1(VALU_DEP_1)
	s_mul_hi_u32 s21, s5, s0
	s_mul_i32 s22, s5, s1
	s_mul_i32 s23, s15, s0
	s_add_i32 s21, s21, s22
	s_mul_i32 s22, s5, s0
	s_add_i32 s21, s21, s23
	s_mul_hi_u32 s23, s0, s22
	s_mul_i32 s24, s0, s21
	s_mul_hi_u32 s0, s0, s21
	s_add_u32 s23, s23, s24
	s_mul_i32 s25, s1, s22
	s_addc_u32 s0, 0, s0
	s_mul_hi_u32 s22, s1, s22
	s_mul_hi_u32 s24, s1, s21
	s_add_u32 s23, s23, s25
	s_addc_u32 s0, s0, s22
	s_mul_i32 s21, s1, s21
	s_addc_u32 s22, s24, 0
	s_add_u32 s0, s0, s21
	s_addc_u32 s21, 0, s22
	v_add_co_u32 v9, s0, v4, s0
	s_delay_alu instid0(VALU_DEP_1) | instskip(SKIP_1) | instid1(VALU_DEP_1)
	s_cmp_lg_u32 s0, 0
	s_addc_u32 s1, s1, s21
	v_readfirstlane_b32 s0, v9
	s_mul_i32 s21, s5, s1
	s_delay_alu instid0(VALU_DEP_1)
	s_mul_hi_u32 s22, s5, s0
	s_mul_i32 s15, s15, s0
	s_add_i32 s21, s22, s21
	s_mul_i32 s5, s5, s0
	s_add_i32 s21, s21, s15
	s_mul_hi_u32 s15, s1, s5
	s_mul_i32 s23, s1, s5
	s_mul_i32 s24, s0, s21
	s_mul_hi_u32 s5, s0, s5
	s_mul_hi_u32 s0, s0, s21
	s_add_u32 s5, s5, s24
	s_addc_u32 s0, 0, s0
	s_mul_hi_u32 s22, s1, s21
	s_add_u32 s5, s5, s23
	s_addc_u32 s0, s0, s15
	s_mul_i32 s5, s1, s21
	s_addc_u32 s15, s22, 0
	s_add_u32 s0, s0, s5
	s_addc_u32 s5, 0, s15
	v_add_co_u32 v9, s0, v9, s0
	s_delay_alu instid0(VALU_DEP_1) | instskip(SKIP_2) | instid1(SALU_CYCLE_1)
	s_cmp_lg_u32 s0, 0
	s_addc_u32 s5, s1, s5
	s_ashr_i32 s0, s13, 31
	s_add_u32 s22, s4, s0
	s_addc_u32 s23, s13, s0
	v_readfirstlane_b32 s13, v9
	s_mov_b32 s1, s0
	s_delay_alu instid0(SALU_CYCLE_1) | instskip(NEXT) | instid1(SALU_CYCLE_1)
	s_xor_b64 s[22:23], s[22:23], s[0:1]
	s_mul_i32 s15, s22, s5
	s_delay_alu instid0(VALU_DEP_1)
	s_mul_hi_u32 s21, s22, s13
	s_mul_hi_u32 s24, s22, s5
	s_add_u32 s15, s21, s15
	s_mul_i32 s25, s23, s13
	s_addc_u32 s21, 0, s24
	s_mul_hi_u32 s13, s23, s13
	s_mul_hi_u32 s24, s23, s5
	s_add_u32 s15, s15, s25
	s_addc_u32 s13, s21, s13
	s_mul_i32 s5, s23, s5
	s_addc_u32 s15, s24, 0
	s_add_u32 s5, s13, s5
	s_addc_u32 s13, 0, s15
	s_mul_i32 s21, s20, s5
	s_add_u32 s15, s5, 1
	v_sub_co_u32 v9, s21, s22, s21
	s_addc_u32 s22, s13, 0
	s_mul_i32 s25, s20, s13
	s_mul_hi_u32 s27, s20, s5
	s_delay_alu instid0(VALU_DEP_1)
	v_sub_co_u32 v10, s26, v9, s20
	s_add_u32 s24, s5, 2
	s_addc_u32 s28, s13, 0
	s_add_i32 s27, s27, s25
	s_cmp_lg_u32 s21, 0
	v_readfirstlane_b32 s21, v10
	s_subb_u32 s23, s23, s27
	s_cmp_lg_u32 s26, 0
	s_subb_u32 s25, s23, 0
	s_delay_alu instid0(VALU_DEP_1) | instskip(SKIP_4) | instid1(SALU_CYCLE_1)
	s_cmp_ge_u32 s21, s20
	s_cselect_b32 s21, -1, 0
	s_cmp_eq_u32 s25, 0
	v_readfirstlane_b32 s25, v9
	s_cselect_b32 s21, s21, -1
	s_cmp_lg_u32 s21, 0
	s_cselect_b32 s15, s24, s15
	s_cselect_b32 s21, s28, s22
	s_cmp_ge_u32 s25, s20
	s_cselect_b32 s22, -1, 0
	s_cmp_eq_u32 s23, 0
	s_cselect_b32 s22, s22, -1
	s_delay_alu instid0(SALU_CYCLE_1) | instskip(SKIP_4) | instid1(SALU_CYCLE_1)
	s_cmp_lg_u32 s22, 0
	s_cselect_b32 s23, s21, s13
	s_cselect_b32 s22, s15, s5
	s_mov_b32 s5, 0
	s_xor_b64 s[22:23], s[22:23], s[0:1]
	s_sub_u32 s0, s22, s0
.LBB19_11:                              ;   in Loop: Header=BB19_9 Depth=1
	s_and_not1_b32 vcc_lo, exec_lo, s5
	s_cbranch_vccnz .LBB19_13
; %bb.12:                               ;   in Loop: Header=BB19_9 Depth=1
	v_readfirstlane_b32 s0, v6
	s_delay_alu instid0(VALU_DEP_1) | instskip(NEXT) | instid1(SALU_CYCLE_1)
	s_mul_i32 s1, s6, s0
	s_mul_hi_u32 s1, s0, s1
	s_delay_alu instid0(SALU_CYCLE_1) | instskip(NEXT) | instid1(SALU_CYCLE_1)
	s_add_i32 s0, s0, s1
	s_mul_hi_u32 s0, s4, s0
	s_delay_alu instid0(SALU_CYCLE_1) | instskip(NEXT) | instid1(SALU_CYCLE_1)
	s_mul_i32 s1, s0, s20
	s_sub_i32 s1, s4, s1
	s_add_i32 s4, s0, 1
	s_sub_i32 s5, s1, s20
	s_cmp_ge_u32 s1, s20
	s_cselect_b32 s0, s4, s0
	s_cselect_b32 s1, s5, s1
	s_add_i32 s4, s0, 1
	s_cmp_ge_u32 s1, s20
	s_cselect_b32 s0, s4, s0
.LBB19_13:                              ;   in Loop: Header=BB19_9 Depth=1
	s_delay_alu instid0(SALU_CYCLE_1)
	s_cmp_lg_u32 s16, s0
	s_cbranch_scc0 .LBB19_17
; %bb.14:                               ;   in Loop: Header=BB19_9 Depth=1
	s_add_i32 s1, s14, s20
	s_mov_b32 s5, s12
	s_lshl_b32 s1, s1, 4
	s_mov_b32 s15, s16
	s_add_i32 s4, s1, s17
	s_mul_hi_u32 s1, s0, s8
	s_lshl_b64 s[4:5], s[4:5], 3
	s_delay_alu instid0(SALU_CYCLE_1) | instskip(SKIP_2) | instid1(SALU_CYCLE_1)
	s_add_u32 s4, s2, s4
	s_addc_u32 s5, s3, s5
	s_add_i32 s1, s1, s0
	s_lshr_b32 s1, s1, s9
	s_delay_alu instid0(SALU_CYCLE_1) | instskip(NEXT) | instid1(SALU_CYCLE_1)
	s_mul_i32 s13, s1, s10
	s_cmp_eq_u32 s13, s0
	s_cselect_b32 s13, -1, 0
	s_cmp_lt_u32 s1, s11
	s_cselect_b32 s1, -1, 0
	s_delay_alu instid0(SALU_CYCLE_1)
	s_or_b32 s1, s1, s13
	s_mov_b32 s13, -1
	s_and_b32 vcc_lo, exec_lo, s1
	s_mov_b32 s1, s14
	s_cbranch_vccnz .LBB19_16
; %bb.15:                               ;   in Loop: Header=BB19_9 Depth=1
	s_add_i32 s1, s14, -1
	s_mov_b32 s13, 0
	s_mov_b32 s15, s0
.LBB19_16:                              ;   in Loop: Header=BB19_9 Depth=1
	v_lshl_add_u32 v9, s14, 12, v0
	s_load_b64 s[4:5], s[4:5], 0x0
	s_delay_alu instid0(VALU_DEP_1) | instskip(NEXT) | instid1(VALU_DEP_1)
	v_ashrrev_i32_e32 v10, 31, v9
	v_lshlrev_b64 v[9:10], 2, v[9:10]
	s_delay_alu instid0(VALU_DEP_1) | instskip(NEXT) | instid1(VALU_DEP_2)
	v_add_co_u32 v9, vcc_lo, s18, v9
	v_add_co_ci_u32_e32 v10, vcc_lo, s19, v10, vcc_lo
	s_waitcnt lgkmcnt(0)
	v_max_f32_e64 v11, s4, s4
	global_load_b32 v10, v[9:10], off
	v_max_f32_e32 v9, v8, v8
	s_delay_alu instid0(VALU_DEP_1) | instskip(NEXT) | instid1(VALU_DEP_1)
	v_max_f32_e32 v9, v9, v11
	v_sub_f32_e32 v12, v8, v9
	s_delay_alu instid0(VALU_DEP_1) | instskip(NEXT) | instid1(VALU_DEP_1)
	v_dual_mul_f32 v14, 0x3fb8aa3b, v12 :: v_dual_sub_f32 v11, s4, v9
	v_rndne_f32_e32 v18, v14
	s_delay_alu instid0(VALU_DEP_2) | instskip(SKIP_2) | instid1(VALU_DEP_4)
	v_mul_f32_e32 v13, 0x3fb8aa3b, v11
	v_fma_f32 v17, 0x3fb8aa3b, v12, -v14
	v_cmp_ngt_f32_e32 vcc_lo, 0xc2ce8ed0, v11
	v_sub_f32_e32 v14, v14, v18
	s_delay_alu instid0(VALU_DEP_4) | instskip(SKIP_2) | instid1(VALU_DEP_3)
	v_fma_f32 v15, 0x3fb8aa3b, v11, -v13
	v_rndne_f32_e32 v16, v13
	v_fmac_f32_e32 v17, 0x32a5705f, v12
	v_fmac_f32_e32 v15, 0x32a5705f, v11
	s_delay_alu instid0(VALU_DEP_2) | instskip(NEXT) | instid1(VALU_DEP_1)
	v_dual_sub_f32 v13, v13, v16 :: v_dual_add_f32 v14, v14, v17
	v_add_f32_e32 v13, v13, v15
	s_delay_alu instid0(VALU_DEP_2) | instskip(SKIP_2) | instid1(VALU_DEP_3)
	v_exp_f32_e32 v14, v14
	v_cvt_i32_f32_e32 v15, v16
	v_cvt_i32_f32_e32 v16, v18
	v_exp_f32_e32 v13, v13
	s_waitcnt_depctr 0xfff
	v_ldexp_f32 v14, v14, v16
	v_ldexp_f32 v13, v13, v15
	s_delay_alu instid0(VALU_DEP_1) | instskip(SKIP_1) | instid1(VALU_DEP_4)
	v_cndmask_b32_e32 v13, 0, v13, vcc_lo
	v_cmp_ngt_f32_e32 vcc_lo, 0xc2ce8ed0, v12
	v_cndmask_b32_e32 v14, 0, v14, vcc_lo
	v_cmp_nlt_f32_e32 vcc_lo, 0x42b17218, v11
	s_delay_alu instid0(VALU_DEP_4) | instskip(SKIP_1) | instid1(VALU_DEP_4)
	v_cndmask_b32_e32 v13, 0x7f800000, v13, vcc_lo
	v_cmp_nlt_f32_e32 vcc_lo, 0x42b17218, v12
	v_cndmask_b32_e32 v14, 0x7f800000, v14, vcc_lo
	v_cmp_le_f32_e32 vcc_lo, 0xc1a00000, v11
	s_delay_alu instid0(VALU_DEP_4) | instskip(SKIP_1) | instid1(VALU_DEP_4)
	v_cndmask_b32_e32 v11, 0, v13, vcc_lo
	v_cmp_le_f32_e32 vcc_lo, 0xc1a00000, v12
	v_cndmask_b32_e32 v12, 0, v14, vcc_lo
	s_waitcnt vmcnt(0)
	s_delay_alu instid0(VALU_DEP_3) | instskip(NEXT) | instid1(VALU_DEP_1)
	v_mul_f32_e32 v10, v10, v11
	v_dual_mul_f32 v11, s5, v11 :: v_dual_fmac_f32 v10, v3, v12
	s_delay_alu instid0(VALU_DEP_1)
	v_fmac_f32_e32 v11, v7, v12
	s_cbranch_execz .LBB19_18
	s_branch .LBB19_19
.LBB19_17:                              ;   in Loop: Header=BB19_9 Depth=1
                                        ; implicit-def: $sgpr13
                                        ; implicit-def: $vgpr10
                                        ; implicit-def: $vgpr9
                                        ; implicit-def: $vgpr11
                                        ; implicit-def: $sgpr1
                                        ; implicit-def: $sgpr15
.LBB19_18:                              ;   in Loop: Header=BB19_9 Depth=1
	v_mov_b32_e32 v11, v7
	s_waitcnt vmcnt(0)
	v_dual_mov_b32 v9, v8 :: v_dual_mov_b32 v10, v3
	s_add_i32 s1, s14, -1
	s_mov_b32 s13, 0
	s_mov_b32 s15, s16
.LBB19_19:                              ;   in Loop: Header=BB19_9 Depth=1
	s_and_not1_b32 vcc_lo, exec_lo, s13
	s_cbranch_vccz .LBB19_23
; %bb.20:                               ;   in Loop: Header=BB19_9 Depth=1
	v_dual_mov_b32 v7, v11 :: v_dual_mov_b32 v8, v9
	s_waitcnt vmcnt(0)
	v_mov_b32_e32 v3, v10
	s_mov_b32 s16, s15
	s_mov_b32 s14, s1
	s_branch .LBB19_9
.LBB19_21:
                                        ; implicit-def: $sgpr16_sgpr17
	s_load_b128 s[8:11], s[0:1], 0x44
	s_branch .LBB19_2
.LBB19_22:
                                        ; implicit-def: $sgpr18_sgpr19
	s_branch .LBB19_5
.LBB19_23:
	v_div_scale_f32 v0, null, v11, v11, v10
	s_waitcnt vmcnt(0)
	s_delay_alu instid0(VALU_DEP_1) | instskip(SKIP_2) | instid1(VALU_DEP_1)
	v_rcp_f32_e32 v3, v0
	s_waitcnt_depctr 0xfff
	v_fma_f32 v4, -v0, v3, 1.0
	v_fmac_f32_e32 v3, v4, v3
	v_div_scale_f32 v4, vcc_lo, v10, v11, v10
	s_delay_alu instid0(VALU_DEP_1) | instskip(NEXT) | instid1(VALU_DEP_1)
	v_mul_f32_e32 v5, v4, v3
	v_fma_f32 v6, -v0, v5, v4
	s_delay_alu instid0(VALU_DEP_1) | instskip(NEXT) | instid1(VALU_DEP_1)
	v_fmac_f32_e32 v5, v6, v3
	v_fma_f32 v0, -v0, v5, v4
	s_delay_alu instid0(VALU_DEP_1) | instskip(NEXT) | instid1(VALU_DEP_1)
	v_div_fmas_f32 v0, v0, v3, v5
	v_div_fixup_f32 v0, v0, v11, v10
	global_store_b32 v[1:2], v0, off
.LBB19_24:
	s_nop 0
	s_sendmsg sendmsg(MSG_DEALLOC_VGPRS)
	s_endpgm
	.section	.rodata,"a",@progbits
	.p2align	6, 0x0
	.amdhsa_kernel _ZL33flash_attn_stream_k_fixup_generalILi256ELi4ELi4EEvPfPK15HIP_vector_typeIfLj2EEiiiiS1_IjLj3EES5_S5_S5_
		.amdhsa_group_segment_fixed_size 0
		.amdhsa_private_segment_fixed_size 0
		.amdhsa_kernarg_size 336
		.amdhsa_user_sgpr_count 13
		.amdhsa_user_sgpr_dispatch_ptr 0
		.amdhsa_user_sgpr_queue_ptr 0
		.amdhsa_user_sgpr_kernarg_segment_ptr 1
		.amdhsa_user_sgpr_dispatch_id 0
		.amdhsa_user_sgpr_private_segment_size 0
		.amdhsa_wavefront_size32 1
		.amdhsa_uses_dynamic_stack 0
		.amdhsa_enable_private_segment 0
		.amdhsa_system_sgpr_workgroup_id_x 1
		.amdhsa_system_sgpr_workgroup_id_y 1
		.amdhsa_system_sgpr_workgroup_id_z 1
		.amdhsa_system_sgpr_workgroup_info 0
		.amdhsa_system_vgpr_workitem_id 0
		.amdhsa_next_free_vgpr 19
		.amdhsa_next_free_sgpr 32
		.amdhsa_reserve_vcc 1
		.amdhsa_float_round_mode_32 0
		.amdhsa_float_round_mode_16_64 0
		.amdhsa_float_denorm_mode_32 3
		.amdhsa_float_denorm_mode_16_64 3
		.amdhsa_dx10_clamp 1
		.amdhsa_ieee_mode 1
		.amdhsa_fp16_overflow 0
		.amdhsa_workgroup_processor_mode 1
		.amdhsa_memory_ordered 1
		.amdhsa_forward_progress 0
		.amdhsa_shared_vgpr_count 0
		.amdhsa_exception_fp_ieee_invalid_op 0
		.amdhsa_exception_fp_denorm_src 0
		.amdhsa_exception_fp_ieee_div_zero 0
		.amdhsa_exception_fp_ieee_overflow 0
		.amdhsa_exception_fp_ieee_underflow 0
		.amdhsa_exception_fp_ieee_inexact 0
		.amdhsa_exception_int_div_zero 0
	.end_amdhsa_kernel
	.section	.text._ZL33flash_attn_stream_k_fixup_generalILi256ELi4ELi4EEvPfPK15HIP_vector_typeIfLj2EEiiiiS1_IjLj3EES5_S5_S5_,"axG",@progbits,_ZL33flash_attn_stream_k_fixup_generalILi256ELi4ELi4EEvPfPK15HIP_vector_typeIfLj2EEiiiiS1_IjLj3EES5_S5_S5_,comdat
.Lfunc_end19:
	.size	_ZL33flash_attn_stream_k_fixup_generalILi256ELi4ELi4EEvPfPK15HIP_vector_typeIfLj2EEiiiiS1_IjLj3EES5_S5_S5_, .Lfunc_end19-_ZL33flash_attn_stream_k_fixup_generalILi256ELi4ELi4EEvPfPK15HIP_vector_typeIfLj2EEiiiiS1_IjLj3EES5_S5_S5_
                                        ; -- End function
	.section	.AMDGPU.csdata,"",@progbits
; Kernel info:
; codeLenInByte = 3224
; NumSgprs: 34
; NumVgprs: 19
; ScratchSize: 0
; MemoryBound: 0
; FloatMode: 240
; IeeeMode: 1
; LDSByteSize: 0 bytes/workgroup (compile time only)
; SGPRBlocks: 4
; VGPRBlocks: 2
; NumSGPRsForWavesPerEU: 34
; NumVGPRsForWavesPerEU: 19
; Occupancy: 16
; WaveLimiterHint : 0
; COMPUTE_PGM_RSRC2:SCRATCH_EN: 0
; COMPUTE_PGM_RSRC2:USER_SGPR: 13
; COMPUTE_PGM_RSRC2:TRAP_HANDLER: 0
; COMPUTE_PGM_RSRC2:TGID_X_EN: 1
; COMPUTE_PGM_RSRC2:TGID_Y_EN: 1
; COMPUTE_PGM_RSRC2:TGID_Z_EN: 1
; COMPUTE_PGM_RSRC2:TIDIG_COMP_CNT: 0
	.section	.text._ZL15flash_attn_tileILi256ELi256ELi2ELi4ELb0EEvPKcS1_S1_S1_S1_PKiPfP15HIP_vector_typeIfLj2EEffffjfiS5_IjLj3EEiiiiiiiiiiiliiliiiiil,"axG",@progbits,_ZL15flash_attn_tileILi256ELi256ELi2ELi4ELb0EEvPKcS1_S1_S1_S1_PKiPfP15HIP_vector_typeIfLj2EEffffjfiS5_IjLj3EEiiiiiiiiiiiliiliiiiil,comdat
	.globl	_ZL15flash_attn_tileILi256ELi256ELi2ELi4ELb0EEvPKcS1_S1_S1_S1_PKiPfP15HIP_vector_typeIfLj2EEffffjfiS5_IjLj3EEiiiiiiiiiiiliiliiiiil ; -- Begin function _ZL15flash_attn_tileILi256ELi256ELi2ELi4ELb0EEvPKcS1_S1_S1_S1_PKiPfP15HIP_vector_typeIfLj2EEffffjfiS5_IjLj3EEiiiiiiiiiiiliiliiiiil
	.p2align	8
	.type	_ZL15flash_attn_tileILi256ELi256ELi2ELi4ELb0EEvPKcS1_S1_S1_S1_PKiPfP15HIP_vector_typeIfLj2EEffffjfiS5_IjLj3EEiiiiiiiiiiiliiliiiiil,@function
_ZL15flash_attn_tileILi256ELi256ELi2ELi4ELb0EEvPKcS1_S1_S1_S1_PKiPfP15HIP_vector_typeIfLj2EEffffjfiS5_IjLj3EEiiiiiiiiiiiliiliiiiil: ; @_ZL15flash_attn_tileILi256ELi256ELi2ELi4ELb0EEvPKcS1_S1_S1_S1_PKiPfP15HIP_vector_typeIfLj2EEffffjfiS5_IjLj3EEiiiiiiiiiiiliiliiiiil
; %bb.0:
	s_clause 0x1
	s_load_b128 s[8:11], s[0:1], 0x5c
	s_load_b64 s[34:35], s[0:1], 0x80
	s_mov_b64 s[36:37], 0
	s_waitcnt lgkmcnt(0)
	s_ashr_i32 s2, s11, 31
	s_delay_alu instid0(SALU_CYCLE_1) | instskip(NEXT) | instid1(SALU_CYCLE_1)
	s_lshr_b32 s2, s2, 30
	s_add_i32 s2, s11, s2
	s_delay_alu instid0(SALU_CYCLE_1) | instskip(NEXT) | instid1(SALU_CYCLE_1)
	s_ashr_i32 s2, s2, 2
	v_cvt_f32_u32_e32 v1, s2
	s_sub_i32 s4, 0, s2
	s_delay_alu instid0(VALU_DEP_1) | instskip(SKIP_2) | instid1(VALU_DEP_1)
	v_rcp_iflag_f32_e32 v1, v1
	s_waitcnt_depctr 0xfff
	v_mul_f32_e32 v1, 0x4f7ffffe, v1
	v_cvt_u32_f32_e32 v1, v1
	s_delay_alu instid0(VALU_DEP_1) | instskip(NEXT) | instid1(VALU_DEP_1)
	v_readfirstlane_b32 s3, v1
	s_mul_i32 s4, s4, s3
	s_delay_alu instid0(SALU_CYCLE_1) | instskip(NEXT) | instid1(SALU_CYCLE_1)
	s_mul_hi_u32 s4, s3, s4
	s_add_i32 s3, s3, s4
	s_delay_alu instid0(SALU_CYCLE_1) | instskip(NEXT) | instid1(SALU_CYCLE_1)
	s_mul_hi_u32 s3, s15, s3
	s_mul_i32 s4, s3, s2
	s_add_i32 s5, s3, 1
	s_sub_i32 s4, s15, s4
	s_delay_alu instid0(SALU_CYCLE_1)
	s_sub_i32 s6, s4, s2
	s_cmp_ge_u32 s4, s2
	s_cselect_b32 s3, s5, s3
	s_cselect_b32 s4, s6, s4
	s_add_i32 s5, s3, 1
	s_cmp_ge_u32 s4, s2
	s_cselect_b32 s33, s5, s3
	s_abs_i32 s2, s35
	s_abs_i32 s7, s11
	v_cvt_f32_u32_e32 v1, s2
	s_sub_i32 s4, 0, s2
	s_lshl_b32 s5, s15, 2
	s_mul_i32 s6, s33, s11
	s_delay_alu instid0(VALU_DEP_1) | instskip(SKIP_3) | instid1(VALU_DEP_1)
	v_rcp_iflag_f32_e32 v1, v1
	s_sub_i32 s15, s5, s6
	s_waitcnt_depctr 0xfff
	v_mul_f32_e32 v1, 0x4f7ffffe, v1
	v_cvt_u32_f32_e32 v1, v1
	s_delay_alu instid0(VALU_DEP_1) | instskip(NEXT) | instid1(VALU_DEP_1)
	v_readfirstlane_b32 s3, v1
	s_mul_i32 s4, s4, s3
	s_delay_alu instid0(SALU_CYCLE_1) | instskip(NEXT) | instid1(SALU_CYCLE_1)
	s_mul_hi_u32 s4, s3, s4
	s_add_i32 s3, s3, s4
	s_xor_b32 s4, s11, s35
	s_mul_hi_u32 s3, s7, s3
	s_ashr_i32 s4, s4, 31
	s_mul_i32 s5, s3, s2
	s_add_i32 s6, s3, 1
	s_sub_i32 s5, s7, s5
	s_delay_alu instid0(SALU_CYCLE_1)
	s_sub_i32 s7, s5, s2
	s_cmp_ge_u32 s5, s2
	s_cselect_b32 s3, s6, s3
	s_cselect_b32 s5, s7, s5
	s_add_i32 s6, s3, 1
	s_cmp_ge_u32 s5, s2
	s_cselect_b32 s2, s6, s3
	s_delay_alu instid0(SALU_CYCLE_1) | instskip(NEXT) | instid1(SALU_CYCLE_1)
	s_xor_b32 s2, s2, s4
	s_sub_i32 s35, s2, s4
	s_clause 0x1
	s_load_b512 s[16:31], s[0:1], 0x0
	s_load_b64 s[2:3], s[0:1], 0xb8
	s_abs_i32 s12, s35
	s_delay_alu instid0(SALU_CYCLE_1) | instskip(NEXT) | instid1(VALU_DEP_1)
	v_cvt_f32_u32_e32 v1, s12
	v_rcp_iflag_f32_e32 v1, v1
	s_waitcnt_depctr 0xfff
	v_mul_f32_e32 v1, 0x4f7ffffe, v1
	s_waitcnt lgkmcnt(0)
	s_cmp_eq_u64 s[22:23], 0
	s_delay_alu instid0(VALU_DEP_1) | instskip(NEXT) | instid1(VALU_DEP_1)
	v_cvt_u32_f32_e32 v1, v1
	v_readfirstlane_b32 s38, v1
	s_cbranch_scc1 .LBB20_2
; %bb.1:
	s_abs_i32 s2, s2
	s_abs_i32 s6, s33
	v_cvt_f32_u32_e32 v1, s2
	s_sub_i32 s5, 0, s2
	s_delay_alu instid0(VALU_DEP_1) | instskip(SKIP_2) | instid1(VALU_DEP_1)
	v_rcp_iflag_f32_e32 v1, v1
	s_waitcnt_depctr 0xfff
	v_mul_f32_e32 v1, 0x4f7ffffe, v1
	v_cvt_u32_f32_e32 v1, v1
	s_delay_alu instid0(VALU_DEP_1) | instskip(NEXT) | instid1(VALU_DEP_1)
	v_readfirstlane_b32 s4, v1
	s_mul_i32 s5, s5, s4
	s_delay_alu instid0(SALU_CYCLE_1) | instskip(NEXT) | instid1(SALU_CYCLE_1)
	s_mul_hi_u32 s5, s4, s5
	s_add_i32 s7, s4, s5
	s_load_b64 s[4:5], s[0:1], 0xc8
	s_mul_hi_u32 s7, s6, s7
	s_delay_alu instid0(SALU_CYCLE_1) | instskip(NEXT) | instid1(SALU_CYCLE_1)
	s_mul_i32 s7, s7, s2
	s_sub_i32 s6, s6, s7
	s_ashr_i32 s7, s33, 31
	s_sub_i32 s36, s6, s2
	s_cmp_ge_u32 s6, s2
	s_cselect_b32 s6, s36, s6
	s_delay_alu instid0(SALU_CYCLE_1) | instskip(SKIP_2) | instid1(SALU_CYCLE_1)
	s_sub_i32 s36, s6, s2
	s_cmp_ge_u32 s6, s2
	s_cselect_b32 s2, s36, s6
	s_xor_b32 s2, s2, s7
	s_delay_alu instid0(SALU_CYCLE_1)
	s_sub_i32 s2, s2, s7
	s_waitcnt lgkmcnt(0)
	s_mul_i32 s5, s2, s5
	s_mul_hi_u32 s6, s2, s4
	s_ashr_i32 s7, s2, 31
	s_add_i32 s5, s6, s5
	s_mul_i32 s7, s7, s4
	s_mul_i32 s2, s2, s4
	s_add_i32 s5, s5, s7
	s_add_u32 s36, s22, s2
	s_addc_u32 s37, s23, s5
.LBB20_2:
	v_bfe_u32 v1, v0, 10, 10
	s_load_b128 s[4:7], s[0:1], 0x70
	v_and_b32_e32 v33, 0x3ff, v0
	s_delay_alu instid0(VALU_DEP_2) | instskip(SKIP_1) | instid1(VALU_DEP_3)
	v_lshrrev_b32_e32 v2, 1, v1
	v_lshlrev_b32_e32 v5, 1, v1
	v_lshlrev_b32_e32 v0, 4, v33
	v_lshlrev_b32_e32 v20, 3, v33
	s_delay_alu instid0(VALU_DEP_4) | instskip(NEXT) | instid1(VALU_DEP_4)
	v_lshl_add_u32 v32, s13, 1, v2
	v_or_b32_e32 v19, 1, v5
	v_and_b32_e32 v70, 2, v5
	s_delay_alu instid0(VALU_DEP_4) | instskip(NEXT) | instid1(VALU_DEP_4)
	v_lshl_or_b32 v20, v1, 10, v20
	v_mul_hi_u32 v2, s8, v32
	s_delay_alu instid0(VALU_DEP_4) | instskip(SKIP_1) | instid1(VALU_DEP_4)
	v_and_b32_e32 v12, 3, v19
	v_lshlrev_b32_e32 v19, 7, v19
	v_add_nc_u32_e32 v27, 0x4000, v20
	s_waitcnt lgkmcnt(0)
	s_mul_i32 s2, s33, s6
	s_mul_i32 s6, s15, s5
	s_delay_alu instid0(VALU_DEP_4)
	v_add_nc_u32_e32 v2, v32, v2
	s_ashr_i32 s7, s2, 31
	s_add_u32 s2, s16, s2
	s_addc_u32 s7, s17, s7
	s_ashr_i32 s8, s6, 31
	v_lshrrev_b32_e32 v2, s9, v2
	s_add_u32 s2, s2, s6
	s_addc_u32 s6, s7, s8
	s_ashr_i32 s7, s4, 31
	s_delay_alu instid0(VALU_DEP_1)
	v_mul_lo_u32 v2, v2, s10
	v_alignbit_b32 v6, s7, s4, 2
	s_ashr_i32 s4, s5, 31
	s_lshr_b32 s7, s7, 2
	v_alignbit_b32 v10, s4, s5, 2
	s_lshr_b32 s8, s4, 2
	s_mov_b32 s5, 0
	v_mul_lo_u32 v11, s8, v70
	v_sub_nc_u32_e32 v2, v32, v2
	v_mad_u64_u32 v[8:9], null, v10, v70, 0
	s_cmp_eq_u64 s[26:27], 0
	s_delay_alu instid0(VALU_DEP_2) | instskip(NEXT) | instid1(VALU_DEP_2)
	v_mad_u64_u32 v[3:4], null, v6, v2, 0
	v_or_b32_e32 v9, v9, v11
	s_delay_alu instid0(VALU_DEP_2) | instskip(SKIP_1) | instid1(VALU_DEP_3)
	v_mad_u64_u32 v[5:6], null, s7, v2, v[4:5]
	v_mad_u64_u32 v[6:7], null, v10, v12, 0
	v_lshlrev_b64 v[8:9], 2, v[8:9]
	s_delay_alu instid0(VALU_DEP_2) | instskip(NEXT) | instid1(VALU_DEP_1)
	v_dual_mov_b32 v4, v5 :: v_dual_mov_b32 v5, v7
	v_lshlrev_b64 v[3:4], 2, v[3:4]
	s_delay_alu instid0(VALU_DEP_2) | instskip(NEXT) | instid1(VALU_DEP_2)
	v_mad_u64_u32 v[10:11], null, s8, v12, v[5:6]
	v_add_co_u32 v3, vcc_lo, s2, v3
	s_delay_alu instid0(VALU_DEP_3) | instskip(NEXT) | instid1(VALU_DEP_3)
	v_add_co_ci_u32_e32 v4, vcc_lo, s6, v4, vcc_lo
	v_mov_b32_e32 v7, v10
	s_delay_alu instid0(VALU_DEP_3) | instskip(NEXT) | instid1(VALU_DEP_3)
	v_add_co_u32 v0, vcc_lo, v3, v0
	v_add_co_ci_u32_e32 v5, vcc_lo, 0, v4, vcc_lo
	s_delay_alu instid0(VALU_DEP_3) | instskip(NEXT) | instid1(VALU_DEP_3)
	v_lshlrev_b64 v[3:4], 2, v[6:7]
	v_add_co_u32 v7, vcc_lo, v0, v8
	s_delay_alu instid0(VALU_DEP_3) | instskip(SKIP_1) | instid1(VALU_DEP_3)
	v_add_co_ci_u32_e32 v8, vcc_lo, v5, v9, vcc_lo
	s_load_b32 s2, s[0:1], 0x40
	v_add_co_u32 v15, vcc_lo, v0, v3
	s_delay_alu instid0(VALU_DEP_4)
	v_add_co_ci_u32_e32 v16, vcc_lo, v5, v4, vcc_lo
	s_clause 0x3
	global_load_b128 v[3:6], v[7:8], off
	global_load_b128 v[7:10], v[7:8], off offset:512
	global_load_b128 v[11:14], v[15:16], off
	global_load_b128 v[15:18], v[15:16], off offset:512
	v_lshlrev_b32_e32 v0, 1, v33
	s_delay_alu instid0(VALU_DEP_1) | instskip(NEXT) | instid1(VALU_DEP_1)
	v_add_lshl_u32 v19, v19, v0, 2
	v_add_nc_u32_e32 v28, 0x4000, v19
	s_waitcnt vmcnt(3) lgkmcnt(0)
	v_fma_mixlo_f16 v19, v3, s2, 0
	v_fma_mixlo_f16 v20, v5, s2, 0
	s_waitcnt vmcnt(2)
	v_fma_mixlo_f16 v21, v7, s2, 0
	v_fma_mixlo_f16 v22, v9, s2, 0
	s_waitcnt vmcnt(1)
	;; [unrolled: 3-line block ×3, first 2 shown]
	v_fma_mixlo_f16 v25, v15, s2, 0
	v_fma_mixlo_f16 v26, v17, s2, 0
	v_fma_mixhi_f16 v20, v6, s2, 0
	v_fma_mixhi_f16 v19, v4, s2, 0
	;; [unrolled: 1-line block ×8, first 2 shown]
	ds_store_2addr_b64 v27, v[19:20], v[21:22] offset0:64 offset1:96
	ds_store_2addr_b64 v28, v[23:24], v[25:26] offset0:64 offset1:96
	s_waitcnt lgkmcnt(0)
	s_barrier
	buffer_gl0_inv
	s_cbranch_scc1 .LBB20_4
; %bb.3:
	s_load_b32 s2, s[0:1], 0xd0
	s_waitcnt lgkmcnt(0)
	s_mul_i32 s2, s2, s33
	s_delay_alu instid0(SALU_CYCLE_1) | instskip(NEXT) | instid1(SALU_CYCLE_1)
	s_add_i32 s4, s2, s13
	s_lshl_b64 s[4:5], s[4:5], 2
	s_delay_alu instid0(SALU_CYCLE_1)
	s_add_u32 s4, s26, s4
	s_addc_u32 s5, s27, s5
	s_load_b32 s34, s[4:5], 0x0
.LBB20_4:
	v_lshlrev_b32_e32 v69, 2, v33
	v_mbcnt_lo_u32_b32 v71, -1, 0
	s_lshl_b32 s9, s14, 5
	s_waitcnt lgkmcnt(0)
	s_cmp_lt_i32 s9, s34
	s_cbranch_scc1 .LBB20_6
; %bb.5:
	v_mbcnt_lo_u32_b32 v3, -1, 0
	v_mov_b32_e32 v73, 32
	s_mov_b32 s2, 0
	s_mov_b32 s4, 0xfeffffff
	s_delay_alu instid0(VALU_DEP_2)
	v_xor_b32_e32 v79, 16, v3
	v_xor_b32_e32 v78, 8, v3
	;; [unrolled: 1-line block ×5, first 2 shown]
	s_branch .LBB20_7
.LBB20_6:
	s_mov_b32 s2, -1
                                        ; implicit-def: $sgpr4
                                        ; implicit-def: $vgpr3
                                        ; implicit-def: $vgpr73
                                        ; implicit-def: $vgpr79
                                        ; implicit-def: $vgpr78
                                        ; implicit-def: $vgpr76
                                        ; implicit-def: $vgpr75
                                        ; implicit-def: $vgpr74
.LBB20_7:
	s_delay_alu instid0(SALU_CYCLE_1) | instskip(SKIP_2) | instid1(VALU_DEP_3)
	v_cndmask_b32_e64 v4, 0, 1, s2
	v_dual_mov_b32 v68, s4 :: v_dual_mov_b32 v67, s4
	v_dual_mov_b32 v118, s2 :: v_dual_mov_b32 v115, s2
	v_cmp_ne_u32_e32 vcc_lo, 1, v4
	v_dual_mov_b32 v88, s2 :: v_dual_mov_b32 v113, s2
	v_dual_mov_b32 v80, s2 :: v_dual_mov_b32 v111, s2
	v_mov_b32_e32 v94, s2
	v_mov_b32_e32 v114, s2
	;; [unrolled: 1-line block ×4, first 2 shown]
	s_cbranch_vccnz .LBB20_11
; %bb.8:
	s_clause 0x1
	s_load_b128 s[4:7], s[0:1], 0x98
	s_load_b64 s[22:23], s[0:1], 0x8c
	s_sub_i32 s2, 0, s12
	s_abs_i32 s8, s15
	s_mul_i32 s2, s2, s38
	s_ashr_i32 s13, s15, 31
	s_mul_hi_u32 s2, s38, s2
	s_ashr_i32 s35, s35, 31
	s_add_i32 s38, s38, s2
	s_ashr_i32 s2, s3, 1
	s_mul_hi_u32 s3, s8, s38
	s_ashr_i32 s38, s33, 31
	s_load_b64 s[26:27], s[0:1], 0xa8
	s_mul_i32 s39, s3, s12
	v_mad_u64_u32 v[34:35], null, v2, s2, v[33:34]
	v_dual_mov_b32 v112, 0 :: v_dual_lshlrev_b32 v77, 2, v69
	v_lshl_add_u32 v82, v1, 10, 0x4200
	v_lshl_add_u32 v83, v1, 7, 0x5200
	s_waitcnt lgkmcnt(0)
	s_mul_i32 s5, s33, s5
	s_mul_hi_u32 s40, s33, s4
	s_mul_i32 s41, s38, s4
	s_add_i32 s5, s40, s5
	s_mul_i32 s4, s33, s4
	s_ashr_i32 s16, s6, 2
	s_ashr_i32 s17, s22, 2
	s_add_i32 s5, s5, s41
	s_add_u32 s4, s18, s4
	s_addc_u32 s5, s19, s5
	s_sub_i32 s8, s8, s39
	s_xor_b32 s13, s13, s35
	s_add_i32 s18, s3, 1
	s_sub_i32 s19, s8, s12
	s_cmp_ge_u32 s8, s12
	s_mul_i32 s38, s38, s26
	s_cselect_b32 s3, s18, s3
	s_cselect_b32 s8, s19, s8
	s_add_i32 s18, s3, 1
	s_cmp_ge_u32 s8, s12
	s_mul_i32 s8, s33, s27
	s_cselect_b32 s3, s18, s3
	s_mul_hi_u32 s12, s33, s26
	s_xor_b32 s3, s3, s13
	v_mul_lo_u32 v3, s17, v1
	s_sub_i32 s3, s3, s13
	v_mul_lo_u32 v9, s16, v1
	s_mul_i32 s18, s3, s23
	s_mul_i32 s13, s33, s26
	s_ashr_i32 s19, s18, 31
	s_add_u32 s18, s4, s18
	s_addc_u32 s19, s5, s19
	s_add_i32 s4, s12, s8
	s_mul_i32 s3, s3, s7
	s_add_i32 s4, s4, s38
	s_add_u32 s5, s20, s13
	s_addc_u32 s4, s21, s4
	s_ashr_i32 s7, s3, 31
	s_add_u32 s20, s5, s3
	s_addc_u32 s21, s4, s7
	s_and_b32 s3, s22, -4
	s_and_b32 s2, s6, -4
	v_dual_mov_b32 v80, 0 :: v_dual_add_nc_u32 v5, s3, v3
	v_dual_mov_b32 v68, 0xfeffffff :: v_dual_add_nc_u32 v13, s2, v9
	s_delay_alu instid0(VALU_DEP_2) | instskip(SKIP_1) | instid1(VALU_DEP_3)
	v_dual_mov_b32 v72, 0 :: v_dual_add_nc_u32 v7, s3, v5
	v_mad_u32_u24 v84, 0x210, v1, v77
	v_add_nc_u32_e32 v17, s2, v13
	v_lshl_add_u32 v85, v1, 9, v77
	s_delay_alu instid0(VALU_DEP_4) | instskip(NEXT) | instid1(VALU_DEP_3)
	v_dual_mov_b32 v114, 0 :: v_dual_add_nc_u32 v11, s3, v7
	v_dual_mov_b32 v88, 0 :: v_dual_add_nc_u32 v21, s2, v17
	v_ashrrev_i32_e32 v4, 31, v3
	v_ashrrev_i32_e32 v6, 31, v5
	s_delay_alu instid0(VALU_DEP_4)
	v_add_nc_u32_e32 v1, s3, v11
	v_ashrrev_i32_e32 v8, 31, v7
	v_add_nc_u32_e32 v25, s2, v21
	v_ashrrev_i32_e32 v12, 31, v11
	v_ashrrev_i32_e32 v10, 31, v9
	v_add_nc_u32_e32 v15, s3, v1
	v_ashrrev_i32_e32 v2, 31, v1
	v_add_nc_u32_e32 v27, s2, v25
	v_ashrrev_i32_e32 v14, 31, v13
	v_ashrrev_i32_e32 v18, 31, v17
	;; [unrolled: 5-line block ×4, first 2 shown]
	v_ashrrev_i32_e32 v24, 31, v23
	v_lshlrev_b32_e32 v103, 2, v0
	v_ashrrev_i32_e32 v66, 31, v65
	v_lshlrev_b64 v[35:36], 2, v[3:4]
	v_lshlrev_b64 v[37:38], 2, v[5:6]
	;; [unrolled: 1-line block ×16, first 2 shown]
	v_mul_u32_u24_e32 v81, 0x210, v33
	v_dual_mov_b32 v111, 0 :: v_dual_add_nc_u32 v86, 0x840, v84
	v_dual_mov_b32 v94, 0 :: v_dual_add_nc_u32 v87, 0x1080, v84
	;; [unrolled: 1-line block ×4, first 2 shown]
	v_add_nc_u32_e32 v91, 0x2940, v84
	v_dual_mov_b32 v113, 0 :: v_dual_add_nc_u32 v92, 0x3180, v84
	v_add_nc_u32_e32 v93, 0x39c0, v84
	v_lshl_add_u32 v95, v0, 1, v83
	v_dual_mov_b32 v115, 0 :: v_dual_add_nc_u32 v96, 0x800, v85
	v_add_nc_u32_e32 v97, 0x1000, v85
	v_add_nc_u32_e32 v98, 0x1800, v85
	;; [unrolled: 1-line block ×6, first 2 shown]
	v_mov_b32_e32 v67, 0xfeffffff
	v_xor_b32_e32 v79, 16, v71
	v_xor_b32_e32 v78, 8, v71
	;; [unrolled: 1-line block ×5, first 2 shown]
	v_add_nc_u32_e32 v104, 0x800, v103
	v_add_nc_u32_e32 v105, 0x1000, v103
	;; [unrolled: 1-line block ×7, first 2 shown]
	s_add_u32 s12, s0, 0xd0
	s_addc_u32 s13, s1, 0
.LBB20_9:                               ; =>This Inner Loop Header: Depth=1
	s_mul_hi_i32 s3, s9, s17
	s_mul_i32 s2, s9, s17
	v_dual_mov_b32 v119, 0 :: v_dual_mov_b32 v120, 0
	s_lshl_b64 s[2:3], s[2:3], 2
	v_dual_mov_b32 v116, v68 :: v_dual_mov_b32 v117, v67
	s_add_u32 s8, s18, s2
	s_addc_u32 s22, s19, s3
	v_add_co_u32 v0, vcc_lo, s8, v37
	v_add_co_u32 v1, s2, s8, v39
	v_add_co_u32 v2, s3, s8, v41
	;; [unrolled: 1-line block ×7, first 2 shown]
	s_delay_alu instid0(VALU_DEP_1)
	v_add_co_ci_u32_e64 v10, s8, s22, v36, s8
	v_add_co_ci_u32_e32 v11, vcc_lo, s22, v38, vcc_lo
	v_add_co_ci_u32_e64 v13, vcc_lo, s22, v40, s2
	v_add_co_ci_u32_e64 v14, vcc_lo, s22, v42, s3
	;; [unrolled: 1-line block ×6, first 2 shown]
	v_add_co_u32 v4, vcc_lo, v0, v77
	v_add_co_u32 v0, s8, v9, v77
	v_add_co_u32 v8, s2, v1, v77
	v_add_co_ci_u32_e64 v1, s8, 0, v10, s8
	v_add_co_u32 v12, s3, v2, v77
	v_add_co_u32 v20, s5, v5, v77
	v_add_co_ci_u32_e32 v5, vcc_lo, 0, v11, vcc_lo
	v_add_co_u32 v16, s4, v3, v77
	v_add_co_u32 v24, s6, v6, v77
	;; [unrolled: 1-line block ×3, first 2 shown]
	v_add_co_ci_u32_e64 v9, vcc_lo, 0, v13, s2
	v_add_co_ci_u32_e64 v13, vcc_lo, 0, v14, s3
	;; [unrolled: 1-line block ×6, first 2 shown]
	s_clause 0x7
	global_load_b128 v[0:3], v[0:1], off
	global_load_b128 v[4:7], v[4:5], off
	;; [unrolled: 1-line block ×8, first 2 shown]
	v_cmp_gt_i32_e32 vcc_lo, 32, v79
	v_add_nc_u32_e32 v67, s9, v34
	v_dual_mov_b32 v121, v118 :: v_dual_max_f32 v126, v116, v116
	v_cmp_gt_i32_e64 s2, 32, v78
	v_cndmask_b32_e32 v118, v71, v79, vcc_lo
	s_delay_alu instid0(VALU_DEP_4)
	v_ashrrev_i32_e32 v68, 31, v67
	v_cmp_gt_i32_e64 s3, 32, v76
	s_mul_hi_i32 s7, s9, s16
	s_mul_i32 s6, s9, s16
	v_cmp_gt_i32_e64 s4, 32, v75
	v_lshlrev_b64 v[67:68], 1, v[67:68]
	v_cmp_gt_i32_e64 s5, 32, v74
	v_cndmask_b32_e64 v122, v71, v78, s2
	v_cndmask_b32_e64 v123, v71, v76, s3
	s_lshl_b64 s[2:3], s[6:7], 2
	v_cndmask_b32_e64 v124, v71, v75, s4
	v_add_co_u32 v67, vcc_lo, s36, v67
	v_add_co_ci_u32_e32 v68, vcc_lo, s37, v68, vcc_lo
	s_add_u32 s8, s20, s2
	v_cndmask_b32_e64 v125, v71, v74, s5
	s_addc_u32 s22, s21, s3
	v_max_f32_e32 v127, v117, v117
	s_waitcnt vmcnt(7)
	ds_store_b128 v84, v[0:3]
	s_waitcnt vmcnt(6)
	ds_store_b128 v86, v[4:7]
	;; [unrolled: 2-line block ×8, first 2 shown]
	s_waitcnt lgkmcnt(0)
	s_barrier
	buffer_gl0_inv
	ds_load_b128 v[0:3], v81
	ds_load_b128 v[4:7], v82
	ds_load_b128 v[8:11], v82 offset:512
	s_waitcnt lgkmcnt(1)
	;;#ASMSTART
	v_dot2_f32_f16 v119, v0, v4, v119
	;;#ASMEND
	;;#ASMSTART
	v_dot2_f32_f16 v119, v1, v5, v119
	;;#ASMEND
	;;#ASMSTART
	v_dot2_f32_f16 v119, v2, v6, v119
	;;#ASMEND
	;;#ASMSTART
	v_dot2_f32_f16 v119, v3, v7, v119
	;;#ASMEND
	s_waitcnt lgkmcnt(0)
	;;#ASMSTART
	v_dot2_f32_f16 v120, v0, v8, v120
	;;#ASMEND
	;;#ASMSTART
	v_dot2_f32_f16 v120, v1, v9, v120
	;;#ASMEND
	;;#ASMSTART
	v_dot2_f32_f16 v120, v2, v10, v120
	;;#ASMEND
	;;#ASMSTART
	v_dot2_f32_f16 v120, v3, v11, v120
	;;#ASMEND
	ds_load_b128 v[0:3], v81 offset:16
	ds_load_b128 v[4:7], v82 offset:16
	ds_load_b128 v[8:11], v82 offset:528
	s_waitcnt lgkmcnt(1)
	;;#ASMSTART
	v_dot2_f32_f16 v119, v0, v4, v119
	;;#ASMEND
	;;#ASMSTART
	v_dot2_f32_f16 v119, v1, v5, v119
	;;#ASMEND
	;;#ASMSTART
	v_dot2_f32_f16 v119, v2, v6, v119
	;;#ASMEND
	;;#ASMSTART
	v_dot2_f32_f16 v119, v3, v7, v119
	;;#ASMEND
	s_waitcnt lgkmcnt(0)
	;;#ASMSTART
	v_dot2_f32_f16 v120, v0, v8, v120
	;;#ASMEND
	;;#ASMSTART
	v_dot2_f32_f16 v120, v1, v9, v120
	;;#ASMEND
	;;#ASMSTART
	v_dot2_f32_f16 v120, v2, v10, v120
	;;#ASMEND
	;;#ASMSTART
	v_dot2_f32_f16 v120, v3, v11, v120
	;;#ASMEND
	ds_load_b128 v[0:3], v81 offset:32
	ds_load_b128 v[4:7], v82 offset:32
	;; [unrolled: 29-line block ×31, first 2 shown]
	ds_load_b128 v[8:11], v82 offset:1008
	s_waitcnt lgkmcnt(1)
	;;#ASMSTART
	v_dot2_f32_f16 v119, v0, v4, v119
	;;#ASMEND
	;;#ASMSTART
	v_dot2_f32_f16 v119, v1, v5, v119
	;;#ASMEND
	;; [unrolled: 3-line block ×4, first 2 shown]
	s_waitcnt lgkmcnt(0)
	;;#ASMSTART
	v_dot2_f32_f16 v120, v0, v8, v120
	;;#ASMEND
	;;#ASMSTART
	v_dot2_f32_f16 v120, v1, v9, v120
	;;#ASMEND
	;; [unrolled: 3-line block ×4, first 2 shown]
	flat_load_u16 v67, v[67:68]
	v_lshlrev_b32_e32 v68, 2, v118
	v_add_co_u32 v0, vcc_lo, s8, v53
	v_add_co_u32 v1, s2, s8, v55
	v_add_co_u32 v2, s3, s8, v57
	;; [unrolled: 1-line block ×7, first 2 shown]
	s_delay_alu instid0(VALU_DEP_1)
	v_add_co_ci_u32_e64 v10, s8, s22, v52, s8
	v_add_co_ci_u32_e32 v11, vcc_lo, s22, v54, vcc_lo
	v_add_co_ci_u32_e64 v13, vcc_lo, s22, v56, s2
	v_add_co_ci_u32_e64 v14, vcc_lo, s22, v58, s3
	;; [unrolled: 1-line block ×6, first 2 shown]
	v_add_co_u32 v4, vcc_lo, v0, v77
	v_add_co_u32 v0, s8, v9, v77
	v_add_co_u32 v8, s2, v1, v77
	v_add_co_ci_u32_e64 v1, s8, 0, v10, s8
	v_add_co_u32 v12, s3, v2, v77
	v_add_co_u32 v20, s5, v5, v77
	v_add_co_ci_u32_e32 v5, vcc_lo, 0, v11, vcc_lo
	v_add_co_u32 v16, s4, v3, v77
	v_add_co_u32 v24, s6, v6, v77
	;; [unrolled: 1-line block ×3, first 2 shown]
	v_add_co_ci_u32_e64 v9, vcc_lo, 0, v13, s2
	v_add_co_ci_u32_e64 v13, vcc_lo, 0, v14, s3
	;; [unrolled: 1-line block ×6, first 2 shown]
	s_waitcnt vmcnt(0) lgkmcnt(0)
	s_barrier
	buffer_gl0_inv
	s_clause 0x7
	global_load_b128 v[0:3], v[0:1], off
	global_load_b128 v[4:7], v[4:5], off
	;; [unrolled: 1-line block ×8, first 2 shown]
	v_cvt_f32_f16_e32 v67, v67
	s_delay_alu instid0(VALU_DEP_1) | instskip(SKIP_3) | instid1(VALU_DEP_4)
	v_dual_add_f32 v119, v119, v67 :: v_dual_lshlrev_b32 v118, 2, v122
	v_add_f32_e32 v120, v120, v67
	v_lshlrev_b32_e32 v122, 2, v123
	v_lshlrev_b32_e32 v123, 2, v124
	v_dual_add_f32 v67, 0x40051340, v119 :: v_dual_lshlrev_b32 v124, 2, v125
	s_delay_alu instid0(VALU_DEP_4) | instskip(NEXT) | instid1(VALU_DEP_2)
	v_add_f32_e32 v125, 0x40051340, v120
	v_max_f32_e32 v67, v127, v67
	s_delay_alu instid0(VALU_DEP_2)
	v_max_f32_e32 v125, v126, v125
	ds_bpermute_b32 v126, v68, v67
	ds_bpermute_b32 v68, v68, v125
	s_waitcnt lgkmcnt(1)
	v_max_f32_e32 v126, v126, v126
	s_waitcnt lgkmcnt(0)
	s_delay_alu instid0(VALU_DEP_1) | instskip(NEXT) | instid1(VALU_DEP_1)
	v_dual_max_f32 v68, v68, v68 :: v_dual_max_f32 v67, v67, v126
	v_max_f32_e32 v68, v125, v68
	ds_bpermute_b32 v125, v118, v67
	ds_bpermute_b32 v118, v118, v68
	s_waitcnt lgkmcnt(0)
	v_dual_max_f32 v125, v125, v125 :: v_dual_max_f32 v118, v118, v118
	s_delay_alu instid0(VALU_DEP_1) | instskip(SKIP_4) | instid1(VALU_DEP_1)
	v_dual_max_f32 v67, v67, v125 :: v_dual_max_f32 v68, v68, v118
	ds_bpermute_b32 v118, v122, v67
	ds_bpermute_b32 v122, v122, v68
	s_waitcnt lgkmcnt(1)
	v_max_f32_e32 v118, v118, v118
	v_max_f32_e32 v67, v67, v118
	ds_bpermute_b32 v118, v123, v67
	s_waitcnt lgkmcnt(0)
	v_max_f32_e32 v118, v118, v118
	s_delay_alu instid0(VALU_DEP_1) | instskip(SKIP_3) | instid1(VALU_DEP_1)
	v_max_f32_e32 v67, v67, v118
	ds_bpermute_b32 v118, v124, v67
	s_waitcnt lgkmcnt(0)
	v_max_f32_e32 v118, v118, v118
	v_max_f32_e32 v67, v67, v118
	s_delay_alu instid0(VALU_DEP_1) | instskip(NEXT) | instid1(VALU_DEP_1)
	v_dual_max_f32 v122, v122, v122 :: v_dual_sub_f32 v119, v119, v67
	v_dual_max_f32 v68, v68, v122 :: v_dual_sub_f32 v117, v117, v67
	s_delay_alu instid0(VALU_DEP_2)
	v_cmp_ngt_f32_e64 s2, 0xc2ce8ed0, v119
	ds_bpermute_b32 v122, v123, v68
	v_mul_f32_e32 v123, 0x3fb8aa3b, v119
	v_cmp_nlt_f32_e64 s6, 0x42b17218, v119
	v_cmp_ngt_f32_e64 s4, 0xc2ce8ed0, v117
	v_cmp_nlt_f32_e64 s8, 0x42b17218, v117
	s_delay_alu instid0(VALU_DEP_4) | instskip(SKIP_1) | instid1(VALU_DEP_2)
	v_fma_f32 v129, 0x3fb8aa3b, v119, -v123
	v_rndne_f32_e32 v130, v123
	v_fmac_f32_e32 v129, 0x32a5705f, v119
	s_delay_alu instid0(VALU_DEP_2) | instskip(SKIP_2) | instid1(VALU_DEP_2)
	v_sub_f32_e32 v119, v123, v130
	v_cvt_i32_f32_e32 v123, v130
	s_waitcnt lgkmcnt(0)
	v_dual_add_f32 v119, v119, v129 :: v_dual_max_f32 v122, v122, v122
	s_delay_alu instid0(VALU_DEP_1) | instskip(NEXT) | instid1(VALU_DEP_1)
	v_exp_f32_e32 v119, v119
	v_max_f32_e32 v68, v68, v122
	ds_bpermute_b32 v122, v124, v68
	v_ldexp_f32 v119, v119, v123
	s_delay_alu instid0(VALU_DEP_1) | instskip(NEXT) | instid1(VALU_DEP_1)
	v_cndmask_b32_e64 v119, 0, v119, s2
	v_cndmask_b32_e64 v119, 0x7f800000, v119, s6
	s_waitcnt lgkmcnt(0)
	v_max_f32_e32 v122, v122, v122
	s_delay_alu instid0(VALU_DEP_1) | instskip(NEXT) | instid1(VALU_DEP_1)
	v_max_f32_e32 v68, v68, v122
	v_sub_f32_e32 v118, v120, v68
	v_sub_f32_e32 v116, v116, v68
	v_mul_f32_e32 v120, 0x3fb8aa3b, v117
	s_delay_alu instid0(VALU_DEP_3) | instskip(SKIP_1) | instid1(VALU_DEP_3)
	v_mul_f32_e32 v122, 0x3fb8aa3b, v118
	v_cmp_ngt_f32_e32 vcc_lo, 0xc2ce8ed0, v118
	v_fma_f32 v125, 0x3fb8aa3b, v117, -v120
	v_rndne_f32_e32 v126, v120
	v_mul_f32_e32 v124, 0x3fb8aa3b, v116
	v_fma_f32 v127, 0x3fb8aa3b, v118, -v122
	v_rndne_f32_e32 v128, v122
	v_fmac_f32_e32 v125, 0x32a5705f, v117
	v_sub_f32_e32 v117, v120, v126
	v_fma_f32 v131, 0x3fb8aa3b, v116, -v124
	v_rndne_f32_e32 v132, v124
	v_cmp_nlt_f32_e64 s5, 0x42b17218, v118
	v_dual_fmac_f32 v127, 0x32a5705f, v118 :: v_dual_sub_f32 v118, v122, v128
	v_cmp_ngt_f32_e64 s3, 0xc2ce8ed0, v116
	v_cmp_nlt_f32_e64 s7, 0x42b17218, v116
	v_fmac_f32_e32 v131, 0x32a5705f, v116
	v_dual_sub_f32 v116, v124, v132 :: v_dual_add_f32 v117, v117, v125
	v_add_f32_e32 v118, v118, v127
	v_cvt_i32_f32_e32 v120, v126
	v_cvt_i32_f32_e32 v122, v128
	s_delay_alu instid0(VALU_DEP_4) | instskip(SKIP_3) | instid1(VALU_DEP_2)
	v_add_f32_e32 v116, v116, v131
	v_exp_f32_e32 v117, v117
	v_exp_f32_e32 v118, v118
	v_cvt_i32_f32_e32 v124, v132
	v_exp_f32_e32 v116, v116
	s_delay_alu instid0(TRANS32_DEP_3) | instskip(SKIP_4) | instid1(VALU_DEP_3)
	v_ldexp_f32 v117, v117, v120
	s_waitcnt_depctr 0xfff
	v_ldexp_f32 v118, v118, v122
	v_ldexp_f32 v116, v116, v124
	v_cndmask_b32_e64 v117, 0, v117, s4
	v_cndmask_b32_e32 v118, 0, v118, vcc_lo
	s_delay_alu instid0(VALU_DEP_3) | instskip(NEXT) | instid1(VALU_DEP_3)
	v_cndmask_b32_e64 v116, 0, v116, s3
	v_cndmask_b32_e64 v117, 0x7f800000, v117, s8
	s_delay_alu instid0(VALU_DEP_3) | instskip(NEXT) | instid1(VALU_DEP_3)
	v_cndmask_b32_e64 v118, 0x7f800000, v118, s5
	v_cndmask_b32_e64 v116, 0x7f800000, v116, s7
	s_delay_alu instid0(VALU_DEP_3) | instskip(SKIP_1) | instid1(VALU_DEP_4)
	v_fma_f32 v80, v80, v117, v119
	v_cvt_f16_f32_e32 v117, v117
	v_cvt_f16_f32_e32 v120, v118
	;; [unrolled: 1-line block ×3, first 2 shown]
	v_cvt_f16_f32_e64 v227, v116
	v_fmac_f32_e32 v118, v121, v116
	v_pk_mul_f16 v228, v117, v114 op_sel_hi:[0,1]
	v_pk_mul_f16 v115, v117, v115 op_sel_hi:[0,1]
	v_pack_b32_f16 v114, v119, v120
	v_pk_mul_f16 v116, v227, v113 op_sel_hi:[0,1]
	v_pk_mul_f16 v229, v227, v112 op_sel_hi:[0,1]
	;; [unrolled: 1-line block ×3, first 2 shown]
	ds_store_b32 v95, v114
	s_waitcnt vmcnt(7)
	ds_store_b128 v85, v[0:3]
	s_waitcnt vmcnt(6)
	ds_store_b128 v96, v[4:7]
	;; [unrolled: 2-line block ×8, first 2 shown]
	s_waitcnt lgkmcnt(0)
	s_barrier
	buffer_gl0_inv
	ds_load_2addr_b64 v[8:11], v103 offset1:32
	ds_load_b128 v[12:15], v83
	ds_load_b128 v[16:19], v83 offset:16
	ds_load_b128 v[4:7], v83 offset:32
	;; [unrolled: 1-line block ×3, first 2 shown]
	ds_load_2addr_b64 v[20:23], v103 offset0:64 offset1:96
	ds_load_2addr_b64 v[24:27], v103 offset0:128 offset1:160
	ds_load_2addr_b64 v[28:31], v103 offset0:192 offset1:224
	ds_load_2addr_b64 v[111:114], v104 offset1:32
	ds_load_2addr_b64 v[119:122], v104 offset0:64 offset1:96
	ds_load_2addr_b64 v[123:126], v104 offset0:128 offset1:160
	ds_load_2addr_b64 v[127:130], v104 offset0:192 offset1:224
	ds_load_2addr_b64 v[131:134], v105 offset1:32
	;; [unrolled: 4-line block ×5, first 2 shown]
	ds_load_b128 v[183:186], v83 offset:64
	ds_load_b128 v[187:190], v83 offset:80
	ds_load_2addr_b64 v[191:194], v108 offset0:64 offset1:96
	ds_load_2addr_b64 v[195:198], v108 offset0:128 offset1:160
	;; [unrolled: 1-line block ×3, first 2 shown]
	ds_load_2addr_b64 v[203:206], v109 offset1:32
	ds_load_2addr_b64 v[207:210], v109 offset0:64 offset1:96
	ds_load_2addr_b64 v[211:214], v109 offset0:128 offset1:160
	;; [unrolled: 1-line block ×3, first 2 shown]
	ds_load_2addr_b64 v[219:222], v110 offset1:32
	ds_load_b128 v[223:226], v83 offset:96
	s_waitcnt lgkmcnt(34)
	v_pk_mul_f16 v231, v8, v12 op_sel_hi:[1,0]
	v_pk_mul_f16 v8, v8, v12 op_sel:[0,1]
	v_pk_fma_f16 v116, v9, v12, v116 op_sel:[0,1,0]
	v_pk_fma_f16 v232, v10, v12, v228 op_sel_hi:[1,0,1]
	v_pk_fma_f16 v233, v10, v12, v229 op_sel:[0,1,0]
	v_pk_fma_f16 v115, v11, v12, v115 op_sel_hi:[1,0,1]
	v_pk_fma_f16 v234, v11, v12, v230 op_sel:[0,1,0]
	v_pk_mul_f16 v12, v9, v12 op_sel_hi:[1,0]
	v_pk_fma_f16 v72, v227, v72, v8 op_sel_hi:[0,1,1]
	v_pk_fma_f16 v88, v117, v88, v231 op_sel_hi:[0,1,1]
	s_waitcnt lgkmcnt(30)
	v_pk_fma_f16 v115, v23, v13, v115 op_sel_hi:[1,0,1]
	v_pk_fma_f16 v231, v23, v13, v234 op_sel:[0,1,0]
	v_pk_fma_f16 v12, v117, v94, v12 op_sel_hi:[0,1,1]
	v_pk_fma_f16 v94, v21, v13, v116 op_sel:[0,1,0]
	;; [unrolled: 2-line block ×4, first 2 shown]
	v_pk_fma_f16 v12, v21, v13, v12 op_sel_hi:[1,0,1]
	s_waitcnt lgkmcnt(29)
	v_pk_fma_f16 v13, v25, v14, v94 op_sel:[0,1,0]
	v_pk_fma_f16 v94, v26, v14, v116 op_sel_hi:[1,0,1]
	v_pk_fma_f16 v116, v26, v14, v117 op_sel:[0,1,0]
	v_pk_fma_f16 v115, v27, v14, v115 op_sel_hi:[1,0,1]
	v_pk_fma_f16 v117, v27, v14, v231 op_sel:[0,1,0]
	v_pk_fma_f16 v88, v24, v14, v88 op_sel_hi:[1,0,1]
	v_pk_fma_f16 v72, v24, v14, v72 op_sel:[0,1,0]
	v_pk_fma_f16 v12, v25, v14, v12 op_sel_hi:[1,0,1]
	s_waitcnt lgkmcnt(28)
	v_pk_fma_f16 v13, v29, v15, v13 op_sel:[0,1,0]
	v_pk_fma_f16 v14, v30, v15, v94 op_sel_hi:[1,0,1]
	v_pk_fma_f16 v30, v30, v15, v116 op_sel:[0,1,0]
	v_pk_fma_f16 v94, v31, v15, v115 op_sel_hi:[1,0,1]
	v_pk_fma_f16 v31, v31, v15, v117 op_sel:[0,1,0]
	v_pk_fma_f16 v88, v28, v15, v88 op_sel_hi:[1,0,1]
	v_pk_fma_f16 v28, v28, v15, v72 op_sel:[0,1,0]
	;; [unrolled: 9-line block ×15, first 2 shown]
	v_pk_fma_f16 v0, v164, v183, v0 op_sel_hi:[1,0,1]
	v_pk_fma_f16 v1, v168, v184, v1 op_sel:[0,1,0]
	v_pk_fma_f16 v2, v169, v184, v2 op_sel_hi:[1,0,1]
	v_pk_fma_f16 v3, v169, v184, v3 op_sel:[0,1,0]
	;; [unrolled: 2-line block ×12, first 2 shown]
	v_pk_fma_f16 v0, v176, v186, v0 op_sel_hi:[1,0,1]
	s_waitcnt lgkmcnt(9)
	v_pk_fma_f16 v1, v180, v187, v1 op_sel:[0,1,0]
	v_pk_fma_f16 v2, v181, v187, v2 op_sel_hi:[1,0,1]
	v_pk_fma_f16 v3, v181, v187, v3 op_sel:[0,1,0]
	v_pk_fma_f16 v4, v182, v187, v4 op_sel_hi:[1,0,1]
	v_pk_fma_f16 v5, v182, v187, v5 op_sel:[0,1,0]
	v_pk_fma_f16 v6, v179, v187, v6 op_sel_hi:[1,0,1]
	v_pk_fma_f16 v7, v179, v187, v7 op_sel:[0,1,0]
	v_pk_fma_f16 v0, v180, v187, v0 op_sel_hi:[1,0,1]
	s_waitcnt lgkmcnt(8)
	v_pk_fma_f16 v1, v192, v188, v1 op_sel:[0,1,0]
	v_pk_fma_f16 v2, v193, v188, v2 op_sel_hi:[1,0,1]
	v_pk_fma_f16 v3, v193, v188, v3 op_sel:[0,1,0]
	v_pk_fma_f16 v4, v194, v188, v4 op_sel_hi:[1,0,1]
	v_pk_fma_f16 v5, v194, v188, v5 op_sel:[0,1,0]
	v_pk_fma_f16 v6, v191, v188, v6 op_sel_hi:[1,0,1]
	v_pk_fma_f16 v7, v191, v188, v7 op_sel:[0,1,0]
	;; [unrolled: 9-line block ×4, first 2 shown]
	v_pk_fma_f16 v0, v200, v190, v0 op_sel_hi:[1,0,1]
	ds_load_b128 v[8:11], v83 offset:112
	s_waitcnt lgkmcnt(1)
	v_pk_fma_f16 v1, v204, v223, v1 op_sel:[0,1,0]
	v_pk_fma_f16 v2, v205, v223, v2 op_sel_hi:[1,0,1]
	v_pk_fma_f16 v3, v205, v223, v3 op_sel:[0,1,0]
	v_pk_fma_f16 v4, v206, v223, v4 op_sel_hi:[1,0,1]
	v_pk_fma_f16 v5, v206, v223, v5 op_sel:[0,1,0]
	v_pk_fma_f16 v6, v203, v223, v6 op_sel_hi:[1,0,1]
	v_pk_fma_f16 v7, v203, v223, v7 op_sel:[0,1,0]
	v_pk_fma_f16 v0, v204, v223, v0 op_sel_hi:[1,0,1]
	ds_load_2addr_b64 v[227:230], v110 offset0:64 offset1:96
	v_pk_fma_f16 v1, v208, v224, v1 op_sel:[0,1,0]
	v_pk_fma_f16 v2, v209, v224, v2 op_sel_hi:[1,0,1]
	v_pk_fma_f16 v3, v209, v224, v3 op_sel:[0,1,0]
	v_pk_fma_f16 v4, v210, v224, v4 op_sel_hi:[1,0,1]
	v_pk_fma_f16 v5, v210, v224, v5 op_sel:[0,1,0]
	v_pk_fma_f16 v6, v207, v224, v6 op_sel_hi:[1,0,1]
	v_pk_fma_f16 v7, v207, v224, v7 op_sel:[0,1,0]
	v_pk_fma_f16 v0, v208, v224, v0 op_sel_hi:[1,0,1]
	ds_load_2addr_b64 v[20:23], v110 offset0:128 offset1:160
	;; [unrolled: 9-line block ×3, first 2 shown]
	s_waitcnt lgkmcnt(0)
	s_barrier
	buffer_gl0_inv
	s_load_b32 s2, s[12:13], 0x4
	v_pk_fma_f16 v1, v216, v226, v1 op_sel:[0,1,0]
	v_pk_fma_f16 v2, v217, v226, v2 op_sel_hi:[1,0,1]
	v_pk_fma_f16 v3, v217, v226, v3 op_sel:[0,1,0]
	v_pk_fma_f16 v4, v218, v226, v4 op_sel_hi:[1,0,1]
	;; [unrolled: 2-line block ×16, first 2 shown]
	s_waitcnt lgkmcnt(0)
	s_lshl_b32 s2, s2, 5
	v_pk_fma_f16 v113, v25, v11, v1 op_sel:[0,1,0]
	v_pk_fma_f16 v114, v26, v11, v2 op_sel_hi:[1,0,1]
	v_pk_fma_f16 v112, v26, v11, v3 op_sel:[0,1,0]
	v_pk_fma_f16 v115, v27, v11, v4 op_sel_hi:[1,0,1]
	;; [unrolled: 2-line block ×4, first 2 shown]
	s_add_i32 s9, s2, s9
	s_delay_alu instid0(SALU_CYCLE_1)
	s_cmp_ge_i32 s9, s34
	s_cbranch_scc0 .LBB20_9
; %bb.10:
	v_mov_b32_e32 v3, v71
.LBB20_11:
	v_cmp_lt_i32_e32 vcc_lo, v79, v73
	s_cmp_lg_u64 s[24:25], 0
	s_cselect_b32 s2, -1, 0
	s_cmp_eq_u32 s14, 0
	v_cndmask_b32_e32 v0, v3, v79, vcc_lo
	v_cmp_lt_i32_e32 vcc_lo, v78, v73
	s_cselect_b32 s3, -1, 0
	s_delay_alu instid0(SALU_CYCLE_1)
	s_and_b32 s2, s3, s2
	v_cndmask_b32_e32 v2, v3, v78, vcc_lo
	v_cmp_lt_i32_e32 vcc_lo, v76, v73
	v_cndmask_b32_e32 v5, v3, v76, vcc_lo
	v_cmp_lt_i32_e32 vcc_lo, v75, v73
	v_lshlrev_b32_e32 v0, 2, v0
	s_delay_alu instid0(VALU_DEP_3)
	v_lshlrev_b32_e32 v5, 2, v5
	ds_bpermute_b32 v1, v0, v80
	ds_bpermute_b32 v0, v0, v118
	s_waitcnt lgkmcnt(1)
	v_dual_add_f32 v1, v80, v1 :: v_dual_lshlrev_b32 v2, 2, v2
	s_waitcnt lgkmcnt(0)
	v_add_f32_e32 v0, v118, v0
	ds_bpermute_b32 v4, v2, v1
	s_waitcnt lgkmcnt(0)
	v_add_f32_e32 v1, v1, v4
	ds_bpermute_b32 v2, v2, v0
	;; [unrolled: 3-line block ×3, first 2 shown]
	ds_bpermute_b32 v4, v5, v0
	v_cndmask_b32_e32 v5, v3, v75, vcc_lo
	v_cmp_lt_i32_e32 vcc_lo, v74, v73
	s_delay_alu instid0(VALU_DEP_2)
	v_lshlrev_b32_e32 v5, 2, v5
	s_waitcnt lgkmcnt(0)
	v_dual_add_f32 v1, v1, v2 :: v_dual_add_f32 v0, v0, v4
	ds_bpermute_b32 v2, v5, v1
	ds_bpermute_b32 v4, v5, v0
	v_cndmask_b32_e32 v3, v3, v74, vcc_lo
	s_and_b32 vcc_lo, exec_lo, s2
	s_waitcnt lgkmcnt(0)
	v_dual_add_f32 v1, v1, v2 :: v_dual_add_f32 v2, v0, v4
	s_delay_alu instid0(VALU_DEP_2)
	v_lshlrev_b32_e32 v3, 2, v3
	ds_bpermute_b32 v0, v3, v1
	s_waitcnt lgkmcnt(0)
	v_add_f32_e32 v0, v1, v0
	ds_bpermute_b32 v3, v3, v2
	s_waitcnt lgkmcnt(0)
	v_add_f32_e32 v1, v2, v3
	s_cbranch_vccz .LBB20_14
; %bb.12:
	v_add_nc_u32_e32 v2, s15, v70
	s_delay_alu instid0(VALU_DEP_1) | instskip(NEXT) | instid1(VALU_DEP_1)
	v_ashrrev_i32_e32 v3, 31, v2
	v_lshlrev_b64 v[2:3], 2, v[2:3]
	s_delay_alu instid0(VALU_DEP_1) | instskip(NEXT) | instid1(VALU_DEP_2)
	v_add_co_u32 v2, vcc_lo, s24, v2
	v_add_co_ci_u32_e32 v3, vcc_lo, s25, v3, vcc_lo
	global_load_b64 v[2:3], v[2:3], off
	v_max_f32_e32 v4, v67, v67
	s_waitcnt vmcnt(0)
	v_dual_max_f32 v6, v68, v68 :: v_dual_max_f32 v5, v2, v2
	s_delay_alu instid0(VALU_DEP_1) | instskip(NEXT) | instid1(VALU_DEP_1)
	v_dual_max_f32 v7, v3, v3 :: v_dual_max_f32 v4, v4, v5
	v_dual_max_f32 v5, v6, v7 :: v_dual_sub_f32 v6, v67, v4
	s_delay_alu instid0(VALU_DEP_1) | instskip(SKIP_2) | instid1(VALU_DEP_4)
	v_sub_f32_e32 v7, v68, v5
	v_dual_sub_f32 v3, v3, v5 :: v_dual_sub_f32 v2, v2, v4
	v_mov_b32_e32 v68, v5
	v_cmp_ngt_f32_e32 vcc_lo, 0xc2ce8ed0, v6
	s_delay_alu instid0(VALU_DEP_4) | instskip(NEXT) | instid1(VALU_DEP_4)
	v_mul_f32_e32 v10, 0x3fb8aa3b, v7
	v_mul_f32_e32 v11, 0x3fb8aa3b, v3
	;; [unrolled: 1-line block ×3, first 2 shown]
	v_mov_b32_e32 v67, v4
	s_delay_alu instid0(VALU_DEP_4) | instskip(NEXT) | instid1(VALU_DEP_4)
	v_fma_f32 v16, 0x3fb8aa3b, v7, -v10
	v_fma_f32 v18, 0x3fb8aa3b, v3, -v11
	s_delay_alu instid0(VALU_DEP_4)
	v_rndne_f32_e32 v15, v9
	v_mul_f32_e32 v8, 0x3fb8aa3b, v6
	v_fma_f32 v14, 0x3fb8aa3b, v2, -v9
	v_rndne_f32_e32 v19, v11
	v_fmac_f32_e32 v18, 0x32a5705f, v3
	v_sub_f32_e32 v9, v9, v15
	v_fma_f32 v12, 0x3fb8aa3b, v6, -v8
	v_rndne_f32_e32 v13, v8
	v_sub_f32_e32 v11, v11, v19
	v_fmac_f32_e32 v16, 0x32a5705f, v7
	v_fmac_f32_e32 v14, 0x32a5705f, v2
	;; [unrolled: 1-line block ×3, first 2 shown]
	s_delay_alu instid0(VALU_DEP_4) | instskip(SKIP_1) | instid1(VALU_DEP_2)
	v_dual_sub_f32 v8, v8, v13 :: v_dual_add_f32 v11, v11, v18
	v_rndne_f32_e32 v17, v10
	v_dual_add_f32 v9, v9, v14 :: v_dual_add_f32 v8, v8, v12
	s_delay_alu instid0(VALU_DEP_3)
	v_exp_f32_e32 v11, v11
	v_cvt_i32_f32_e32 v12, v13
	v_cvt_i32_f32_e32 v13, v15
	;; [unrolled: 1-line block ×3, first 2 shown]
	v_exp_f32_e32 v8, v8
	v_exp_f32_e32 v9, v9
	v_cvt_i32_f32_e32 v14, v17
	s_delay_alu instid0(TRANS32_DEP_3) | instid1(VALU_DEP_2)
	v_ldexp_f32 v11, v11, v15
	v_sub_f32_e32 v10, v10, v17
	s_waitcnt_depctr 0xfff
	v_ldexp_f32 v8, v8, v12
	v_ldexp_f32 v9, v9, v13
	v_add_f32_e32 v10, v10, v16
	s_delay_alu instid0(VALU_DEP_3) | instskip(SKIP_1) | instid1(VALU_DEP_3)
	v_cndmask_b32_e32 v8, 0, v8, vcc_lo
	v_cmp_ngt_f32_e32 vcc_lo, 0xc2ce8ed0, v2
	v_exp_f32_e32 v10, v10
	v_cndmask_b32_e32 v9, 0, v9, vcc_lo
	v_cmp_ngt_f32_e32 vcc_lo, 0xc2ce8ed0, v7
	s_waitcnt_depctr 0xfff
	v_ldexp_f32 v10, v10, v14
	s_delay_alu instid0(VALU_DEP_1)
	v_cndmask_b32_e32 v10, 0, v10, vcc_lo
	v_cmp_ngt_f32_e32 vcc_lo, 0xc2ce8ed0, v3
	v_cndmask_b32_e32 v11, 0, v11, vcc_lo
	v_cmp_nlt_f32_e32 vcc_lo, 0x42b17218, v6
	v_cndmask_b32_e32 v6, 0x7f800000, v8, vcc_lo
	v_cmp_nlt_f32_e32 vcc_lo, 0x42b17218, v2
	s_delay_alu instid0(VALU_DEP_2) | instskip(SKIP_2) | instid1(VALU_DEP_3)
	v_cvt_f16_f32_e32 v8, v6
	v_cndmask_b32_e32 v2, 0x7f800000, v9, vcc_lo
	v_cmp_nlt_f32_e32 vcc_lo, 0x42b17218, v7
	v_pk_mul_f16 v88, v8, v88 op_sel_hi:[0,1]
	s_delay_alu instid0(VALU_DEP_3)
	v_fmac_f32_e32 v2, v0, v6
	v_cndmask_b32_e32 v7, 0x7f800000, v10, vcc_lo
	v_cmp_nlt_f32_e32 vcc_lo, 0x42b17218, v3
	v_pk_mul_f16 v94, v8, v94 op_sel_hi:[0,1]
	v_pk_mul_f16 v114, v8, v114 op_sel_hi:[0,1]
	v_pk_mul_f16 v115, v8, v115 op_sel_hi:[0,1]
	v_cvt_f16_f32_e32 v0, v7
	v_cndmask_b32_e32 v3, 0x7f800000, v11, vcc_lo
	s_delay_alu instid0(VALU_DEP_2) | instskip(NEXT) | instid1(VALU_DEP_2)
	v_pk_mul_f16 v72, v0, v72 op_sel_hi:[0,1]
	v_fmac_f32_e32 v3, v1, v7
	v_pk_mul_f16 v113, v0, v113 op_sel_hi:[0,1]
	v_pk_mul_f16 v112, v0, v112 op_sel_hi:[0,1]
	;; [unrolled: 1-line block ×3, first 2 shown]
	s_delay_alu instid0(VALU_DEP_4)
	v_dual_mov_b32 v0, v2 :: v_dual_mov_b32 v1, v3
	s_mov_b32 s2, exec_lo
	v_cmpx_gt_i32_e64 s10, v32
	s_cbranch_execnz .LBB20_15
.LBB20_13:
	s_nop 0
	s_sendmsg sendmsg(MSG_DEALLOC_VGPRS)
	s_endpgm
.LBB20_14:
	s_delay_alu instid0(VALU_DEP_1)
	v_dual_mov_b32 v3, v1 :: v_dual_mov_b32 v2, v0
	s_mov_b32 s2, exec_lo
	v_cmpx_gt_i32_e64 s10, v32
	s_cbranch_execz .LBB20_13
.LBB20_15:
	s_load_b32 s1, s[0:1], 0xd4
	v_mov_b32_e32 v6, 1.0
	s_waitcnt lgkmcnt(0)
	s_cmp_lg_u32 s1, 1
	s_cselect_b32 s3, -1, 0
	s_cmp_eq_u32 s1, 1
	s_cselect_b32 s2, -1, 0
	s_and_b32 vcc_lo, exec_lo, s3
	s_cbranch_vccnz .LBB20_17
; %bb.16:
	v_div_scale_f32 v4, null, v0, v0, 1.0
	s_delay_alu instid0(VALU_DEP_1) | instskip(SKIP_2) | instid1(VALU_DEP_1)
	v_rcp_f32_e32 v5, v4
	s_waitcnt_depctr 0xfff
	v_fma_f32 v6, -v4, v5, 1.0
	v_fmac_f32_e32 v5, v6, v5
	v_div_scale_f32 v6, vcc_lo, 1.0, v0, 1.0
	s_delay_alu instid0(VALU_DEP_1) | instskip(NEXT) | instid1(VALU_DEP_1)
	v_mul_f32_e32 v7, v6, v5
	v_fma_f32 v8, -v4, v7, v6
	s_delay_alu instid0(VALU_DEP_1) | instskip(NEXT) | instid1(VALU_DEP_1)
	v_fmac_f32_e32 v7, v8, v5
	v_fma_f32 v4, -v4, v7, v6
	s_delay_alu instid0(VALU_DEP_1) | instskip(NEXT) | instid1(VALU_DEP_1)
	v_div_fmas_f32 v4, v4, v5, v7
	v_div_fixup_f32 v6, v4, v0, 1.0
.LBB20_17:
	v_mad_u64_u32 v[4:5], null, s33, s10, v[32:33]
	v_lshrrev_b32_e32 v7, 16, v94
	v_cvt_f32_f16_e32 v8, v94
	v_lshrrev_b32_e32 v10, 16, v88
	v_mov_b32_e32 v16, 0
	v_lshrrev_b32_e32 v12, 16, v115
	v_cvt_f32_f16_e32 v11, v88
	v_mul_f32_e32 v9, v6, v8
	v_mul_lo_u32 v0, v4, s11
	v_cvt_f32_f16_e32 v14, v114
	v_cvt_f32_f16_e32 v19, v7
	;; [unrolled: 1-line block ×4, first 2 shown]
	v_mul_f32_e32 v7, v6, v11
	v_mul_f32_e32 v11, v6, v14
	v_mul_f32_e32 v10, v6, v19
	v_add3_u32 v0, s15, v70, v0
	v_mul_f32_e32 v14, v6, v12
	v_cmp_eq_u32_e32 vcc_lo, 0, v33
	v_mul_f32_e32 v8, v6, v8
	s_delay_alu instid0(VALU_DEP_4) | instskip(SKIP_2) | instid1(VALU_DEP_2)
	v_mad_u64_u32 v[4:5], null, s1, v0, s[14:15]
	v_cvt_f32_f16_e32 v0, v115
	v_lshrrev_b32_e32 v5, 16, v114
	v_mul_f32_e32 v13, v6, v0
	s_delay_alu instid0(VALU_DEP_4) | instskip(NEXT) | instid1(VALU_DEP_3)
	v_lshl_add_u32 v15, v4, 8, v69
	v_cvt_f32_f16_e32 v0, v5
	s_delay_alu instid0(VALU_DEP_2) | instskip(NEXT) | instid1(VALU_DEP_2)
	v_lshlrev_b64 v[17:18], 2, v[15:16]
	v_dual_mul_f32 v12, v6, v0 :: v_dual_add_nc_u32 v15, 0x80, v15
	s_delay_alu instid0(VALU_DEP_1) | instskip(NEXT) | instid1(VALU_DEP_3)
	v_lshlrev_b64 v[5:6], 2, v[15:16]
	v_add_co_u32 v15, s0, s28, v17
	s_delay_alu instid0(VALU_DEP_1) | instskip(NEXT) | instid1(VALU_DEP_3)
	v_add_co_ci_u32_e64 v16, s0, s29, v18, s0
	v_add_co_u32 v5, s0, s28, v5
	s_delay_alu instid0(VALU_DEP_1)
	v_add_co_ci_u32_e64 v6, s0, s29, v6, s0
	s_and_b32 s0, vcc_lo, s3
	s_clause 0x1
	global_store_b128 v[15:16], v[7:10], off
	global_store_b128 v[5:6], v[11:14], off
	s_and_saveexec_b32 s3, s0
	s_cbranch_execz .LBB20_19
; %bb.18:
	v_ashrrev_i32_e32 v5, 31, v4
	v_dual_mov_b32 v7, v67 :: v_dual_mov_b32 v8, v2
	s_delay_alu instid0(VALU_DEP_2) | instskip(NEXT) | instid1(VALU_DEP_1)
	v_lshlrev_b64 v[5:6], 3, v[4:5]
	v_add_co_u32 v5, vcc_lo, s30, v5
	s_delay_alu instid0(VALU_DEP_2)
	v_add_co_ci_u32_e32 v6, vcc_lo, s31, v6, vcc_lo
	global_store_b64 v[5:6], v[7:8], off
.LBB20_19:
	s_or_b32 exec_lo, exec_lo, s3
	v_mov_b32_e32 v2, 1.0
	s_and_not1_b32 vcc_lo, exec_lo, s2
	s_cbranch_vccnz .LBB20_21
; %bb.20:
	v_div_scale_f32 v0, null, v1, v1, 1.0
	s_delay_alu instid0(VALU_DEP_1) | instskip(SKIP_2) | instid1(VALU_DEP_1)
	v_rcp_f32_e32 v2, v0
	s_waitcnt_depctr 0xfff
	v_fma_f32 v5, -v0, v2, 1.0
	v_fmac_f32_e32 v2, v5, v2
	v_div_scale_f32 v5, vcc_lo, 1.0, v1, 1.0
	s_delay_alu instid0(VALU_DEP_1) | instskip(NEXT) | instid1(VALU_DEP_1)
	v_mul_f32_e32 v6, v5, v2
	v_fma_f32 v7, -v0, v6, v5
	s_delay_alu instid0(VALU_DEP_1) | instskip(NEXT) | instid1(VALU_DEP_1)
	v_fmac_f32_e32 v6, v7, v2
	v_fma_f32 v0, -v0, v6, v5
	s_delay_alu instid0(VALU_DEP_1) | instskip(NEXT) | instid1(VALU_DEP_1)
	v_div_fmas_f32 v0, v0, v2, v6
	v_div_fixup_f32 v2, v0, v1, 1.0
.LBB20_21:
	v_lshrrev_b32_e32 v1, 16, v113
	v_dual_mov_b32 v9, 0 :: v_dual_add_nc_u32 v0, s1, v4
	v_lshrrev_b32_e32 v4, 16, v72
	v_lshrrev_b32_e32 v14, 16, v112
	s_delay_alu instid0(VALU_DEP_4) | instskip(NEXT) | instid1(VALU_DEP_4)
	v_cvt_f32_f16_e32 v1, v1
	v_lshl_add_u32 v8, v0, 8, v69
	v_cvt_f32_f16_e32 v5, v113
	v_cvt_f32_f16_e32 v4, v4
	;; [unrolled: 1-line block ×3, first 2 shown]
	v_mul_f32_e32 v7, v2, v1
	v_lshlrev_b64 v[10:11], 2, v[8:9]
	v_add_nc_u32_e32 v8, 0x80, v8
	v_lshrrev_b32_e32 v1, 16, v111
	v_cvt_f32_f16_e32 v16, v14
	v_mul_f32_e32 v6, v2, v5
	v_mul_f32_e32 v5, v2, v4
	v_lshlrev_b64 v[14:15], 2, v[8:9]
	v_cvt_f32_f16_e32 v1, v1
	v_mul_f32_e32 v4, v2, v12
	v_add_co_u32 v12, vcc_lo, s28, v10
	v_cvt_f32_f16_e32 v10, v111
	v_cvt_f32_f16_e32 v17, v112
	v_add_co_ci_u32_e32 v13, vcc_lo, s29, v11, vcc_lo
	v_mul_f32_e32 v11, v2, v1
	v_add_co_u32 v1, vcc_lo, s28, v14
	v_mul_f32_e32 v10, v2, v10
	v_mul_f32_e32 v9, v2, v16
	;; [unrolled: 1-line block ×3, first 2 shown]
	v_add_co_ci_u32_e32 v2, vcc_lo, s29, v15, vcc_lo
	s_clause 0x1
	global_store_b128 v[12:13], v[4:7], off
	global_store_b128 v[1:2], v[8:11], off
	s_and_b32 exec_lo, exec_lo, s0
	s_cbranch_execz .LBB20_13
; %bb.22:
	v_ashrrev_i32_e32 v1, 31, v0
	v_mov_b32_e32 v2, v68
	s_delay_alu instid0(VALU_DEP_2) | instskip(NEXT) | instid1(VALU_DEP_1)
	v_lshlrev_b64 v[0:1], 3, v[0:1]
	v_add_co_u32 v0, vcc_lo, s30, v0
	s_delay_alu instid0(VALU_DEP_2)
	v_add_co_ci_u32_e32 v1, vcc_lo, s31, v1, vcc_lo
	global_store_b64 v[0:1], v[2:3], off
	s_nop 0
	s_sendmsg sendmsg(MSG_DEALLOC_VGPRS)
	s_endpgm
	.section	.rodata,"a",@progbits
	.p2align	6, 0x0
	.amdhsa_kernel _ZL15flash_attn_tileILi256ELi256ELi2ELi4ELb0EEvPKcS1_S1_S1_S1_PKiPfP15HIP_vector_typeIfLj2EEffffjfiS5_IjLj3EEiiiiiiiiiiiliiliiiiil
		.amdhsa_group_segment_fixed_size 21504
		.amdhsa_private_segment_fixed_size 0
		.amdhsa_kernarg_size 464
		.amdhsa_user_sgpr_count 13
		.amdhsa_user_sgpr_dispatch_ptr 0
		.amdhsa_user_sgpr_queue_ptr 0
		.amdhsa_user_sgpr_kernarg_segment_ptr 1
		.amdhsa_user_sgpr_dispatch_id 0
		.amdhsa_user_sgpr_private_segment_size 0
		.amdhsa_wavefront_size32 1
		.amdhsa_uses_dynamic_stack 0
		.amdhsa_enable_private_segment 0
		.amdhsa_system_sgpr_workgroup_id_x 1
		.amdhsa_system_sgpr_workgroup_id_y 1
		.amdhsa_system_sgpr_workgroup_id_z 1
		.amdhsa_system_sgpr_workgroup_info 0
		.amdhsa_system_vgpr_workitem_id 1
		.amdhsa_next_free_vgpr 235
		.amdhsa_next_free_sgpr 42
		.amdhsa_reserve_vcc 1
		.amdhsa_float_round_mode_32 0
		.amdhsa_float_round_mode_16_64 0
		.amdhsa_float_denorm_mode_32 3
		.amdhsa_float_denorm_mode_16_64 3
		.amdhsa_dx10_clamp 1
		.amdhsa_ieee_mode 1
		.amdhsa_fp16_overflow 0
		.amdhsa_workgroup_processor_mode 1
		.amdhsa_memory_ordered 1
		.amdhsa_forward_progress 0
		.amdhsa_shared_vgpr_count 0
		.amdhsa_exception_fp_ieee_invalid_op 0
		.amdhsa_exception_fp_denorm_src 0
		.amdhsa_exception_fp_ieee_div_zero 0
		.amdhsa_exception_fp_ieee_overflow 0
		.amdhsa_exception_fp_ieee_underflow 0
		.amdhsa_exception_fp_ieee_inexact 0
		.amdhsa_exception_int_div_zero 0
	.end_amdhsa_kernel
	.section	.text._ZL15flash_attn_tileILi256ELi256ELi2ELi4ELb0EEvPKcS1_S1_S1_S1_PKiPfP15HIP_vector_typeIfLj2EEffffjfiS5_IjLj3EEiiiiiiiiiiiliiliiiiil,"axG",@progbits,_ZL15flash_attn_tileILi256ELi256ELi2ELi4ELb0EEvPKcS1_S1_S1_S1_PKiPfP15HIP_vector_typeIfLj2EEffffjfiS5_IjLj3EEiiiiiiiiiiiliiliiiiil,comdat
.Lfunc_end20:
	.size	_ZL15flash_attn_tileILi256ELi256ELi2ELi4ELb0EEvPKcS1_S1_S1_S1_PKiPfP15HIP_vector_typeIfLj2EEffffjfiS5_IjLj3EEiiiiiiiiiiiliiliiiiil, .Lfunc_end20-_ZL15flash_attn_tileILi256ELi256ELi2ELi4ELb0EEvPKcS1_S1_S1_S1_PKiPfP15HIP_vector_typeIfLj2EEffffjfiS5_IjLj3EEiiiiiiiiiiiliiliiiiil
                                        ; -- End function
	.section	.AMDGPU.csdata,"",@progbits
; Kernel info:
; codeLenInByte = 14440
; NumSgprs: 44
; NumVgprs: 235
; ScratchSize: 0
; MemoryBound: 0
; FloatMode: 240
; IeeeMode: 1
; LDSByteSize: 21504 bytes/workgroup (compile time only)
; SGPRBlocks: 5
; VGPRBlocks: 29
; NumSGPRsForWavesPerEU: 44
; NumVGPRsForWavesPerEU: 235
; Occupancy: 6
; WaveLimiterHint : 1
; COMPUTE_PGM_RSRC2:SCRATCH_EN: 0
; COMPUTE_PGM_RSRC2:USER_SGPR: 13
; COMPUTE_PGM_RSRC2:TRAP_HANDLER: 0
; COMPUTE_PGM_RSRC2:TGID_X_EN: 1
; COMPUTE_PGM_RSRC2:TGID_Y_EN: 1
; COMPUTE_PGM_RSRC2:TGID_Z_EN: 1
; COMPUTE_PGM_RSRC2:TIDIG_COMP_CNT: 1
	.section	.text._ZL33flash_attn_stream_k_fixup_uniformILi256ELi2ELi4EEvPfPK15HIP_vector_typeIfLj2EEiiiiiiS1_IjLj3EES5_S5_,"axG",@progbits,_ZL33flash_attn_stream_k_fixup_uniformILi256ELi2ELi4EEvPfPK15HIP_vector_typeIfLj2EEiiiiiiS1_IjLj3EES5_S5_,comdat
	.globl	_ZL33flash_attn_stream_k_fixup_uniformILi256ELi2ELi4EEvPfPK15HIP_vector_typeIfLj2EEiiiiiiS1_IjLj3EES5_S5_ ; -- Begin function _ZL33flash_attn_stream_k_fixup_uniformILi256ELi2ELi4EEvPfPK15HIP_vector_typeIfLj2EEiiiiiiS1_IjLj3EES5_S5_
	.p2align	8
	.type	_ZL33flash_attn_stream_k_fixup_uniformILi256ELi2ELi4EEvPfPK15HIP_vector_typeIfLj2EEiiiiiiS1_IjLj3EES5_S5_,@function
_ZL33flash_attn_stream_k_fixup_uniformILi256ELi2ELi4EEvPfPK15HIP_vector_typeIfLj2EEiiiiiiS1_IjLj3EES5_S5_: ; @_ZL33flash_attn_stream_k_fixup_uniformILi256ELi2ELi4EEvPfPK15HIP_vector_typeIfLj2EEiiiiiiS1_IjLj3EES5_S5_
; %bb.0:
	s_clause 0x1
	s_load_b256 s[4:11], s[0:1], 0x1c
	s_load_b128 s[16:19], s[0:1], 0x3c
	s_waitcnt lgkmcnt(0)
	s_mul_hi_u32 s2, s7, s13
	s_delay_alu instid0(SALU_CYCLE_1) | instskip(NEXT) | instid1(SALU_CYCLE_1)
	s_add_i32 s2, s13, s2
	s_lshr_b32 s2, s2, s8
	s_delay_alu instid0(SALU_CYCLE_1) | instskip(SKIP_2) | instid1(SALU_CYCLE_1)
	s_mul_i32 s3, s2, s9
	s_load_b64 s[8:9], s[0:1], 0x10
	s_sub_i32 s7, s13, s3
	s_mul_hi_u32 s3, s7, s10
	s_delay_alu instid0(SALU_CYCLE_1) | instskip(NEXT) | instid1(SALU_CYCLE_1)
	s_add_i32 s3, s7, s3
	s_lshr_b32 s3, s3, s11
	s_delay_alu instid0(SALU_CYCLE_1) | instskip(NEXT) | instid1(SALU_CYCLE_1)
	s_mul_i32 s10, s3, s16
	s_sub_i32 s7, s7, s10
	s_delay_alu instid0(SALU_CYCLE_1) | instskip(NEXT) | instid1(SALU_CYCLE_1)
	s_mul_hi_u32 s10, s7, s17
	s_add_i32 s10, s7, s10
	s_delay_alu instid0(SALU_CYCLE_1) | instskip(NEXT) | instid1(SALU_CYCLE_1)
	s_lshr_b32 s10, s10, s18
	s_mul_i32 s11, s10, s19
	s_lshl_b32 s10, s10, 2
	s_sub_i32 s7, s7, s11
	s_delay_alu instid0(SALU_CYCLE_1) | instskip(NEXT) | instid1(SALU_CYCLE_1)
	s_lshl_b32 s11, s7, 1
	s_add_i32 s11, s11, s14
	s_waitcnt lgkmcnt(0)
	s_cmp_lt_i32 s11, s8
	s_cselect_b32 s11, -1, 0
	s_add_i32 s12, s10, s15
	s_delay_alu instid0(SALU_CYCLE_1) | instskip(SKIP_1) | instid1(SALU_CYCLE_1)
	s_cmp_lt_i32 s12, s5
	s_cselect_b32 s12, -1, 0
	s_and_b32 s11, s11, s12
	s_delay_alu instid0(SALU_CYCLE_1)
	s_and_not1_b32 vcc_lo, exec_lo, s11
	s_cbranch_vccnz .LBB21_6
; %bb.1:
	s_mul_i32 s2, s2, s8
	s_mul_i32 s5, s3, s5
	s_add_i32 s2, s2, s14
	s_mul_i32 s7, s9, s7
	s_mul_i32 s2, s2, s9
	s_lshl_b32 s7, s7, 9
	s_add_i32 s8, s2, s15
	s_load_b128 s[0:3], s[0:1], 0x0
	s_add_i32 s5, s8, s5
	s_lshl_b32 s9, s14, 2
	s_add_i32 s5, s5, s10
	s_delay_alu instid0(SALU_CYCLE_1) | instskip(NEXT) | instid1(SALU_CYCLE_1)
	s_lshl_b32 s5, s5, 8
	s_add_i32 s7, s7, s5
	s_mul_i32 s5, s13, s6
	v_or_b32_e32 v1, s7, v0
	s_add_i32 s10, s5, s6
	s_delay_alu instid0(VALU_DEP_1) | instskip(NEXT) | instid1(VALU_DEP_1)
	v_ashrrev_i32_e32 v2, 31, v1
	v_lshlrev_b64 v[1:2], 2, v[1:2]
	s_waitcnt lgkmcnt(0)
	s_delay_alu instid0(VALU_DEP_1) | instskip(NEXT) | instid1(VALU_DEP_2)
	v_add_co_u32 v1, vcc_lo, s0, v1
	v_add_co_ci_u32_e32 v2, vcc_lo, s1, v2, vcc_lo
	s_add_i32 s0, s9, s15
	s_lshl_b32 s1, s10, 3
	s_delay_alu instid0(SALU_CYCLE_1) | instskip(SKIP_2) | instid1(SALU_CYCLE_1)
	s_add_i32 s0, s0, s1
	global_load_b32 v5, v[1:2], off
	s_add_i32 s0, s0, -8
	s_ashr_i32 s1, s0, 31
	s_delay_alu instid0(SALU_CYCLE_1) | instskip(NEXT) | instid1(SALU_CYCLE_1)
	s_lshl_b64 s[0:1], s[0:1], 3
	s_add_u32 s0, s2, s0
	s_addc_u32 s1, s3, s1
	s_add_i32 s7, s10, -2
	s_load_b32 s11, s[0:1], 0x4
	s_cmp_lt_i32 s7, s5
	s_cbranch_scc1 .LBB21_4
; %bb.2:
	s_lshl_b32 s16, s4, 5
	s_load_b32 s12, s[0:1], 0x0
	s_ashr_i32 s17, s16, 31
	s_delay_alu instid0(SALU_CYCLE_1) | instskip(NEXT) | instid1(SALU_CYCLE_1)
	s_lshl_b64 s[0:1], s[16:17], 2
	s_add_u32 s7, s2, s0
	s_addc_u32 s8, s3, s1
	s_add_i32 s13, s13, 1
	s_lshl_b32 s0, s14, 10
	s_lshl_b32 s1, s15, 8
	s_mul_i32 s6, s6, s13
	s_add_i32 s0, s1, s0
	s_lshl_b32 s1, s6, 11
	s_delay_alu instid0(SALU_CYCLE_1)
	s_add_i32 s0, s0, s1
	s_lshl_b32 s1, s6, 3
	v_or_b32_e32 v0, s0, v0
	s_lshl_b32 s0, s4, 3
	s_add_i32 s1, s15, s1
	s_waitcnt lgkmcnt(0)
	v_mov_b32_e32 v6, s11
	s_add_i32 s0, s1, s0
	v_dual_mov_b32 v0, s12 :: v_dual_add_nc_u32 v3, 0xfffff000, v0
	s_add_i32 s0, s0, s9
	s_add_i32 s4, s10, -1
	s_add_i32 s0, s0, -16
.LBB21_3:                               ; =>This Inner Loop Header: Depth=1
	s_delay_alu instid0(VALU_DEP_1) | instskip(SKIP_1) | instid1(SALU_CYCLE_1)
	v_ashrrev_i32_e32 v4, 31, v3
	s_ashr_i32 s1, s0, 31
	s_lshl_b64 s[10:11], s[0:1], 3
	s_delay_alu instid0(SALU_CYCLE_1) | instskip(NEXT) | instid1(VALU_DEP_1)
	s_add_u32 s10, s2, s10
	v_lshlrev_b64 v[7:8], 2, v[3:4]
	s_addc_u32 s11, s3, s11
	s_add_i32 s4, s4, -1
	s_add_i32 s0, s0, -8
	s_cmp_le_i32 s4, s5
	s_load_b64 s[10:11], s[10:11], 0x0
	v_add_co_u32 v7, vcc_lo, s7, v7
	v_add_co_ci_u32_e32 v8, vcc_lo, s8, v8, vcc_lo
	global_load_b32 v4, v[7:8], off
	v_max_f32_e32 v7, v0, v0
	s_waitcnt lgkmcnt(0)
	v_max_f32_e64 v8, s10, s10
	s_delay_alu instid0(VALU_DEP_1) | instskip(NEXT) | instid1(VALU_DEP_1)
	v_max_f32_e32 v7, v7, v8
	v_sub_f32_e32 v8, s10, v7
	s_delay_alu instid0(VALU_DEP_1) | instskip(NEXT) | instid1(VALU_DEP_1)
	v_dual_sub_f32 v0, v0, v7 :: v_dual_mul_f32 v9, 0x3fb8aa3b, v8
	v_fma_f32 v10, 0x3fb8aa3b, v8, -v9
	v_rndne_f32_e32 v11, v9
	s_delay_alu instid0(VALU_DEP_3) | instskip(NEXT) | instid1(VALU_DEP_2)
	v_mul_f32_e32 v12, 0x3fb8aa3b, v0
	v_dual_fmac_f32 v10, 0x32a5705f, v8 :: v_dual_sub_f32 v9, v9, v11
	v_cvt_i32_f32_e32 v11, v11
	s_delay_alu instid0(VALU_DEP_3) | instskip(SKIP_1) | instid1(VALU_DEP_4)
	v_fma_f32 v13, 0x3fb8aa3b, v0, -v12
	v_rndne_f32_e32 v14, v12
	v_add_f32_e32 v9, v9, v10
	v_cmp_ngt_f32_e32 vcc_lo, 0xc2ce8ed0, v8
	s_delay_alu instid0(VALU_DEP_3) | instskip(NEXT) | instid1(VALU_DEP_3)
	v_sub_f32_e32 v10, v12, v14
	v_exp_f32_e32 v9, v9
	s_waitcnt_depctr 0xfff
	v_ldexp_f32 v9, v9, v11
	v_cvt_i32_f32_e32 v11, v14
	s_delay_alu instid0(VALU_DEP_2) | instskip(SKIP_1) | instid1(VALU_DEP_2)
	v_cndmask_b32_e32 v9, 0, v9, vcc_lo
	v_cmp_nlt_f32_e32 vcc_lo, 0x42b17218, v8
	v_cndmask_b32_e32 v9, 0x7f800000, v9, vcc_lo
	v_cmp_ngt_f32_e32 vcc_lo, 0xc2ce8ed0, v0
	v_fmac_f32_e32 v13, 0x32a5705f, v0
	s_delay_alu instid0(VALU_DEP_1) | instskip(NEXT) | instid1(VALU_DEP_1)
	v_add_f32_e32 v10, v10, v13
	v_exp_f32_e32 v10, v10
	s_waitcnt_depctr 0xfff
	v_ldexp_f32 v10, v10, v11
	s_delay_alu instid0(VALU_DEP_1)
	v_dual_mov_b32 v11, v6 :: v_dual_cndmask_b32 v10, 0, v10
	v_cmp_le_f32_e32 vcc_lo, 0xc1a00000, v8
	s_waitcnt vmcnt(1)
	v_dual_cndmask_b32 v8, 0, v9 :: v_dual_mov_b32 v9, v5
	v_cmp_nlt_f32_e32 vcc_lo, 0x42b17218, v0
	v_cndmask_b32_e32 v5, 0x7f800000, v10, vcc_lo
	s_delay_alu instid0(VALU_DEP_3) | instskip(SKIP_2) | instid1(VALU_DEP_3)
	v_mul_f32_e32 v10, s11, v8
	v_cmp_le_f32_e32 vcc_lo, 0xc1a00000, v0
	v_mov_b32_e32 v0, v7
	v_mov_b32_e32 v6, v10
	s_waitcnt vmcnt(0)
	v_dual_cndmask_b32 v12, 0, v5 :: v_dual_mul_f32 v5, v4, v8
	s_delay_alu instid0(VALU_DEP_1) | instskip(NEXT) | instid1(VALU_DEP_2)
	v_dual_fmac_f32 v6, v11, v12 :: v_dual_add_nc_u32 v3, 0xfffff800, v3
	v_fmac_f32_e32 v5, v9, v12
	s_cbranch_scc0 .LBB21_3
	s_branch .LBB21_5
.LBB21_4:
	s_waitcnt lgkmcnt(0)
	v_mov_b32_e32 v6, s11
.LBB21_5:
	s_waitcnt vmcnt(0)
	s_delay_alu instid0(VALU_DEP_1) | instskip(NEXT) | instid1(VALU_DEP_1)
	v_div_scale_f32 v0, null, v6, v6, v5
	v_rcp_f32_e32 v3, v0
	s_waitcnt_depctr 0xfff
	v_fma_f32 v4, -v0, v3, 1.0
	s_delay_alu instid0(VALU_DEP_1) | instskip(SKIP_1) | instid1(VALU_DEP_1)
	v_fmac_f32_e32 v3, v4, v3
	v_div_scale_f32 v4, vcc_lo, v5, v6, v5
	v_mul_f32_e32 v7, v4, v3
	s_delay_alu instid0(VALU_DEP_1) | instskip(NEXT) | instid1(VALU_DEP_1)
	v_fma_f32 v8, -v0, v7, v4
	v_fmac_f32_e32 v7, v8, v3
	s_delay_alu instid0(VALU_DEP_1) | instskip(NEXT) | instid1(VALU_DEP_1)
	v_fma_f32 v0, -v0, v7, v4
	v_div_fmas_f32 v0, v0, v3, v7
	s_delay_alu instid0(VALU_DEP_1)
	v_div_fixup_f32 v0, v0, v6, v5
	global_store_b32 v[1:2], v0, off
.LBB21_6:
	s_nop 0
	s_sendmsg sendmsg(MSG_DEALLOC_VGPRS)
	s_endpgm
	.section	.rodata,"a",@progbits
	.p2align	6, 0x0
	.amdhsa_kernel _ZL33flash_attn_stream_k_fixup_uniformILi256ELi2ELi4EEvPfPK15HIP_vector_typeIfLj2EEiiiiiiS1_IjLj3EES5_S5_
		.amdhsa_group_segment_fixed_size 0
		.amdhsa_private_segment_fixed_size 0
		.amdhsa_kernarg_size 76
		.amdhsa_user_sgpr_count 13
		.amdhsa_user_sgpr_dispatch_ptr 0
		.amdhsa_user_sgpr_queue_ptr 0
		.amdhsa_user_sgpr_kernarg_segment_ptr 1
		.amdhsa_user_sgpr_dispatch_id 0
		.amdhsa_user_sgpr_private_segment_size 0
		.amdhsa_wavefront_size32 1
		.amdhsa_uses_dynamic_stack 0
		.amdhsa_enable_private_segment 0
		.amdhsa_system_sgpr_workgroup_id_x 1
		.amdhsa_system_sgpr_workgroup_id_y 1
		.amdhsa_system_sgpr_workgroup_id_z 1
		.amdhsa_system_sgpr_workgroup_info 0
		.amdhsa_system_vgpr_workitem_id 0
		.amdhsa_next_free_vgpr 15
		.amdhsa_next_free_sgpr 20
		.amdhsa_reserve_vcc 1
		.amdhsa_float_round_mode_32 0
		.amdhsa_float_round_mode_16_64 0
		.amdhsa_float_denorm_mode_32 3
		.amdhsa_float_denorm_mode_16_64 3
		.amdhsa_dx10_clamp 1
		.amdhsa_ieee_mode 1
		.amdhsa_fp16_overflow 0
		.amdhsa_workgroup_processor_mode 1
		.amdhsa_memory_ordered 1
		.amdhsa_forward_progress 0
		.amdhsa_shared_vgpr_count 0
		.amdhsa_exception_fp_ieee_invalid_op 0
		.amdhsa_exception_fp_denorm_src 0
		.amdhsa_exception_fp_ieee_div_zero 0
		.amdhsa_exception_fp_ieee_overflow 0
		.amdhsa_exception_fp_ieee_underflow 0
		.amdhsa_exception_fp_ieee_inexact 0
		.amdhsa_exception_int_div_zero 0
	.end_amdhsa_kernel
	.section	.text._ZL33flash_attn_stream_k_fixup_uniformILi256ELi2ELi4EEvPfPK15HIP_vector_typeIfLj2EEiiiiiiS1_IjLj3EES5_S5_,"axG",@progbits,_ZL33flash_attn_stream_k_fixup_uniformILi256ELi2ELi4EEvPfPK15HIP_vector_typeIfLj2EEiiiiiiS1_IjLj3EES5_S5_,comdat
.Lfunc_end21:
	.size	_ZL33flash_attn_stream_k_fixup_uniformILi256ELi2ELi4EEvPfPK15HIP_vector_typeIfLj2EEiiiiiiS1_IjLj3EES5_S5_, .Lfunc_end21-_ZL33flash_attn_stream_k_fixup_uniformILi256ELi2ELi4EEvPfPK15HIP_vector_typeIfLj2EEiiiiiiS1_IjLj3EES5_S5_
                                        ; -- End function
	.section	.AMDGPU.csdata,"",@progbits
; Kernel info:
; codeLenInByte = 996
; NumSgprs: 22
; NumVgprs: 15
; ScratchSize: 0
; MemoryBound: 0
; FloatMode: 240
; IeeeMode: 1
; LDSByteSize: 0 bytes/workgroup (compile time only)
; SGPRBlocks: 2
; VGPRBlocks: 1
; NumSGPRsForWavesPerEU: 22
; NumVGPRsForWavesPerEU: 15
; Occupancy: 16
; WaveLimiterHint : 0
; COMPUTE_PGM_RSRC2:SCRATCH_EN: 0
; COMPUTE_PGM_RSRC2:USER_SGPR: 13
; COMPUTE_PGM_RSRC2:TRAP_HANDLER: 0
; COMPUTE_PGM_RSRC2:TGID_X_EN: 1
; COMPUTE_PGM_RSRC2:TGID_Y_EN: 1
; COMPUTE_PGM_RSRC2:TGID_Z_EN: 1
; COMPUTE_PGM_RSRC2:TIDIG_COMP_CNT: 0
	.section	.text._ZL33flash_attn_stream_k_fixup_generalILi256ELi2ELi4EEvPfPK15HIP_vector_typeIfLj2EEiiiiS1_IjLj3EES5_S5_S5_,"axG",@progbits,_ZL33flash_attn_stream_k_fixup_generalILi256ELi2ELi4EEvPfPK15HIP_vector_typeIfLj2EEiiiiS1_IjLj3EES5_S5_S5_,comdat
	.globl	_ZL33flash_attn_stream_k_fixup_generalILi256ELi2ELi4EEvPfPK15HIP_vector_typeIfLj2EEiiiiS1_IjLj3EES5_S5_S5_ ; -- Begin function _ZL33flash_attn_stream_k_fixup_generalILi256ELi2ELi4EEvPfPK15HIP_vector_typeIfLj2EEiiiiS1_IjLj3EES5_S5_S5_
	.p2align	8
	.type	_ZL33flash_attn_stream_k_fixup_generalILi256ELi2ELi4EEvPfPK15HIP_vector_typeIfLj2EEiiiiS1_IjLj3EES5_S5_S5_,@function
_ZL33flash_attn_stream_k_fixup_generalILi256ELi2ELi4EEvPfPK15HIP_vector_typeIfLj2EEiiiiS1_IjLj3EES5_S5_S5_: ; @_ZL33flash_attn_stream_k_fixup_generalILi256ELi2ELi4EEvPfPK15HIP_vector_typeIfLj2EEiiiiS1_IjLj3EES5_S5_S5_
; %bb.0:
	s_clause 0x1
	s_load_b128 s[4:7], s[0:1], 0x10
	s_load_b32 s20, s[0:1], 0x50
	s_mov_b32 s2, 0
	s_waitcnt lgkmcnt(0)
	s_mul_hi_i32 s3, s7, s13
	s_mul_i32 s12, s7, s13
	s_cmp_lg_u64 s[2:3], 0
	s_cbranch_scc0 .LBB22_21
; %bb.1:
	v_cvt_f32_ubyte0_e32 v1, 0
	v_cvt_f32_u32_e32 v2, s20
	s_sub_u32 s10, 0, s20
	s_subb_u32 s11, 0, 0
	s_delay_alu instid0(VALU_DEP_1) | instskip(NEXT) | instid1(VALU_DEP_1)
	v_fmamk_f32 v1, v1, 0x4f800000, v2
	v_rcp_f32_e32 v1, v1
	s_waitcnt_depctr 0xfff
	v_mul_f32_e32 v1, 0x5f7ffffc, v1
	s_delay_alu instid0(VALU_DEP_1) | instskip(NEXT) | instid1(VALU_DEP_1)
	v_mul_f32_e32 v2, 0x2f800000, v1
	v_trunc_f32_e32 v2, v2
	s_delay_alu instid0(VALU_DEP_1) | instskip(SKIP_1) | instid1(VALU_DEP_2)
	v_fmamk_f32 v1, v2, 0xcf800000, v1
	v_cvt_u32_f32_e32 v2, v2
	v_cvt_u32_f32_e32 v1, v1
	s_delay_alu instid0(VALU_DEP_2) | instskip(NEXT) | instid1(VALU_DEP_2)
	v_readfirstlane_b32 s8, v2
	v_readfirstlane_b32 s9, v1
	s_delay_alu instid0(VALU_DEP_2) | instskip(NEXT) | instid1(VALU_DEP_1)
	s_mul_i32 s16, s10, s8
	s_mul_hi_u32 s18, s10, s9
	s_mul_i32 s17, s11, s9
	s_add_i32 s16, s18, s16
	s_mul_i32 s19, s10, s9
	s_add_i32 s16, s16, s17
	s_mul_hi_u32 s18, s9, s19
	s_mul_hi_u32 s21, s8, s19
	s_mul_i32 s17, s8, s19
	s_mul_hi_u32 s19, s9, s16
	s_mul_i32 s9, s9, s16
	s_mul_hi_u32 s22, s8, s16
	s_add_u32 s9, s18, s9
	s_addc_u32 s18, 0, s19
	s_add_u32 s9, s9, s17
	s_mul_i32 s16, s8, s16
	s_addc_u32 s9, s18, s21
	s_addc_u32 s17, s22, 0
	s_add_u32 s9, s9, s16
	s_addc_u32 s16, 0, s17
	v_add_co_u32 v1, s9, v1, s9
	s_delay_alu instid0(VALU_DEP_1) | instskip(SKIP_1) | instid1(VALU_DEP_1)
	s_cmp_lg_u32 s9, 0
	s_addc_u32 s8, s8, s16
	v_readfirstlane_b32 s9, v1
	s_mul_i32 s16, s10, s8
	s_delay_alu instid0(VALU_DEP_1)
	s_mul_hi_u32 s17, s10, s9
	s_mul_i32 s11, s11, s9
	s_add_i32 s16, s17, s16
	s_mul_i32 s10, s10, s9
	s_add_i32 s16, s16, s11
	s_mul_hi_u32 s17, s8, s10
	s_mul_i32 s18, s8, s10
	s_mul_hi_u32 s10, s9, s10
	s_mul_hi_u32 s19, s9, s16
	s_mul_i32 s9, s9, s16
	s_mul_hi_u32 s11, s8, s16
	s_add_u32 s9, s10, s9
	s_addc_u32 s10, 0, s19
	s_add_u32 s9, s9, s18
	s_mul_i32 s16, s8, s16
	s_addc_u32 s9, s10, s17
	s_addc_u32 s10, s11, 0
	s_add_u32 s9, s9, s16
	s_addc_u32 s10, 0, s10
	v_add_co_u32 v1, s9, v1, s9
	s_delay_alu instid0(VALU_DEP_1) | instskip(SKIP_2) | instid1(SALU_CYCLE_1)
	s_cmp_lg_u32 s9, 0
	s_addc_u32 s16, s8, s10
	s_ashr_i32 s8, s3, 31
	s_add_u32 s10, s12, s8
	s_addc_u32 s11, s3, s8
	v_readfirstlane_b32 s3, v1
	s_mov_b32 s9, s8
	s_delay_alu instid0(SALU_CYCLE_1) | instskip(NEXT) | instid1(SALU_CYCLE_1)
	s_xor_b64 s[10:11], s[10:11], s[8:9]
	s_mul_i32 s18, s10, s16
	s_delay_alu instid0(VALU_DEP_1)
	s_mul_hi_u32 s19, s10, s3
	s_mul_hi_u32 s17, s10, s16
	;; [unrolled: 1-line block ×3, first 2 shown]
	s_mul_i32 s3, s11, s3
	s_add_u32 s18, s19, s18
	s_addc_u32 s17, 0, s17
	s_mul_hi_u32 s21, s11, s16
	s_add_u32 s3, s18, s3
	s_mul_i32 s16, s11, s16
	s_addc_u32 s3, s17, s22
	s_addc_u32 s17, s21, 0
	s_add_u32 s3, s3, s16
	s_addc_u32 s16, 0, s17
	s_mul_i32 s18, s20, s3
	s_add_u32 s17, s3, 1
	v_sub_co_u32 v1, s10, s10, s18
	s_mul_hi_u32 s18, s20, s3
	s_addc_u32 s19, s16, 0
	s_mul_i32 s21, s20, s16
	s_delay_alu instid0(VALU_DEP_1)
	v_sub_co_u32 v2, s22, v1, s20
	s_add_u32 s23, s3, 2
	s_addc_u32 s24, s16, 0
	s_add_i32 s18, s18, s21
	s_cmp_lg_u32 s10, 0
	v_readfirstlane_b32 s10, v2
	s_subb_u32 s11, s11, s18
	s_cmp_lg_u32 s22, 0
	s_subb_u32 s18, s11, 0
	s_delay_alu instid0(VALU_DEP_1) | instskip(SKIP_4) | instid1(SALU_CYCLE_1)
	s_cmp_ge_u32 s10, s20
	s_cselect_b32 s10, -1, 0
	s_cmp_eq_u32 s18, 0
	v_readfirstlane_b32 s18, v1
	s_cselect_b32 s10, s10, -1
	s_cmp_lg_u32 s10, 0
	s_cselect_b32 s10, s23, s17
	s_cselect_b32 s17, s24, s19
	s_cmp_ge_u32 s18, s20
	s_cselect_b32 s18, -1, 0
	s_cmp_eq_u32 s11, 0
	s_cselect_b32 s11, s18, -1
	s_delay_alu instid0(SALU_CYCLE_1) | instskip(SKIP_2) | instid1(SALU_CYCLE_1)
	s_cmp_lg_u32 s11, 0
	s_cselect_b32 s11, s17, s16
	s_cselect_b32 s10, s10, s3
	s_xor_b64 s[10:11], s[10:11], s[8:9]
	s_delay_alu instid0(SALU_CYCLE_1)
	s_sub_u32 s16, s10, s8
	s_load_b128 s[8:11], s[0:1], 0x44
	s_and_not1_b32 vcc_lo, exec_lo, s2
	s_cbranch_vccnz .LBB22_3
.LBB22_2:
	v_cvt_f32_u32_e32 v1, s20
	s_sub_i32 s3, 0, s20
	s_delay_alu instid0(VALU_DEP_1) | instskip(SKIP_2) | instid1(VALU_DEP_1)
	v_rcp_iflag_f32_e32 v1, v1
	s_waitcnt_depctr 0xfff
	v_mul_f32_e32 v1, 0x4f7ffffe, v1
	v_cvt_u32_f32_e32 v1, v1
	s_delay_alu instid0(VALU_DEP_1) | instskip(NEXT) | instid1(VALU_DEP_1)
	v_readfirstlane_b32 s2, v1
	s_mul_i32 s3, s3, s2
	s_delay_alu instid0(SALU_CYCLE_1) | instskip(NEXT) | instid1(SALU_CYCLE_1)
	s_mul_hi_u32 s3, s2, s3
	s_add_i32 s2, s2, s3
	s_delay_alu instid0(SALU_CYCLE_1) | instskip(NEXT) | instid1(SALU_CYCLE_1)
	s_mul_hi_u32 s2, s12, s2
	s_mul_i32 s3, s2, s20
	s_waitcnt lgkmcnt(0)
	s_add_i32 s11, s2, 1
	s_sub_i32 s3, s12, s3
	s_delay_alu instid0(SALU_CYCLE_1)
	s_sub_i32 s12, s3, s20
	s_cmp_ge_u32 s3, s20
	s_cselect_b32 s2, s11, s2
	s_cselect_b32 s3, s12, s3
	s_add_i32 s11, s2, 1
	s_cmp_ge_u32 s3, s20
	s_cselect_b32 s16, s11, s2
.LBB22_3:
	s_waitcnt lgkmcnt(0)
	s_add_i32 s11, s13, 1
	s_mov_b32 s2, 0
	s_mul_hi_i32 s3, s7, s11
	s_mul_i32 s11, s7, s11
	s_cmp_lg_u64 s[2:3], 0
	s_cbranch_scc0 .LBB22_22
; %bb.4:
	v_cvt_f32_ubyte0_e32 v1, 0
	v_cvt_f32_u32_e32 v2, s20
	s_sub_u32 s18, 0, s20
	s_subb_u32 s19, 0, 0
	s_delay_alu instid0(VALU_DEP_1) | instskip(NEXT) | instid1(VALU_DEP_1)
	v_fmamk_f32 v1, v1, 0x4f800000, v2
	v_rcp_f32_e32 v1, v1
	s_waitcnt_depctr 0xfff
	v_mul_f32_e32 v1, 0x5f7ffffc, v1
	s_delay_alu instid0(VALU_DEP_1) | instskip(NEXT) | instid1(VALU_DEP_1)
	v_mul_f32_e32 v2, 0x2f800000, v1
	v_trunc_f32_e32 v2, v2
	s_delay_alu instid0(VALU_DEP_1) | instskip(SKIP_1) | instid1(VALU_DEP_2)
	v_fmamk_f32 v1, v2, 0xcf800000, v1
	v_cvt_u32_f32_e32 v2, v2
	v_cvt_u32_f32_e32 v1, v1
	s_delay_alu instid0(VALU_DEP_2) | instskip(NEXT) | instid1(VALU_DEP_2)
	v_readfirstlane_b32 s12, v2
	v_readfirstlane_b32 s17, v1
	s_delay_alu instid0(VALU_DEP_2) | instskip(NEXT) | instid1(VALU_DEP_1)
	s_mul_i32 s21, s18, s12
	s_mul_hi_u32 s23, s18, s17
	s_mul_i32 s22, s19, s17
	s_add_i32 s21, s23, s21
	s_mul_i32 s24, s18, s17
	s_add_i32 s21, s21, s22
	s_mul_hi_u32 s23, s17, s24
	s_mul_hi_u32 s25, s12, s24
	s_mul_i32 s22, s12, s24
	s_mul_hi_u32 s24, s17, s21
	s_mul_i32 s17, s17, s21
	s_mul_hi_u32 s26, s12, s21
	s_add_u32 s17, s23, s17
	s_addc_u32 s23, 0, s24
	s_add_u32 s17, s17, s22
	s_mul_i32 s21, s12, s21
	s_addc_u32 s17, s23, s25
	s_addc_u32 s22, s26, 0
	s_add_u32 s17, s17, s21
	s_addc_u32 s21, 0, s22
	v_add_co_u32 v1, s17, v1, s17
	s_delay_alu instid0(VALU_DEP_1) | instskip(SKIP_1) | instid1(VALU_DEP_1)
	s_cmp_lg_u32 s17, 0
	s_addc_u32 s12, s12, s21
	v_readfirstlane_b32 s17, v1
	s_mul_i32 s21, s18, s12
	s_delay_alu instid0(VALU_DEP_1)
	s_mul_hi_u32 s22, s18, s17
	s_mul_i32 s19, s19, s17
	s_add_i32 s21, s22, s21
	s_mul_i32 s18, s18, s17
	s_add_i32 s21, s21, s19
	s_mul_hi_u32 s22, s12, s18
	s_mul_i32 s23, s12, s18
	s_mul_hi_u32 s18, s17, s18
	s_mul_hi_u32 s24, s17, s21
	s_mul_i32 s17, s17, s21
	s_mul_hi_u32 s19, s12, s21
	s_add_u32 s17, s18, s17
	s_addc_u32 s18, 0, s24
	s_add_u32 s17, s17, s23
	s_mul_i32 s21, s12, s21
	s_addc_u32 s17, s18, s22
	s_addc_u32 s18, s19, 0
	s_add_u32 s17, s17, s21
	s_addc_u32 s18, 0, s18
	v_add_co_u32 v1, s17, v1, s17
	s_delay_alu instid0(VALU_DEP_1) | instskip(SKIP_2) | instid1(SALU_CYCLE_1)
	s_cmp_lg_u32 s17, 0
	s_addc_u32 s12, s12, s18
	s_ashr_i32 s18, s3, 31
	s_add_u32 s22, s11, s18
	s_addc_u32 s23, s3, s18
	v_readfirstlane_b32 s3, v1
	s_mov_b32 s19, s18
	s_delay_alu instid0(SALU_CYCLE_1) | instskip(NEXT) | instid1(SALU_CYCLE_1)
	s_xor_b64 s[22:23], s[22:23], s[18:19]
	s_mul_i32 s21, s22, s12
	s_delay_alu instid0(VALU_DEP_1)
	s_mul_hi_u32 s24, s22, s3
	s_mul_hi_u32 s17, s22, s12
	;; [unrolled: 1-line block ×3, first 2 shown]
	s_mul_i32 s3, s23, s3
	s_add_u32 s21, s24, s21
	s_addc_u32 s17, 0, s17
	s_mul_hi_u32 s25, s23, s12
	s_add_u32 s3, s21, s3
	s_mul_i32 s12, s23, s12
	s_addc_u32 s3, s17, s26
	s_addc_u32 s17, s25, 0
	s_add_u32 s3, s3, s12
	s_addc_u32 s12, 0, s17
	s_mul_i32 s21, s20, s3
	s_add_u32 s17, s3, 1
	v_sub_co_u32 v1, s21, s22, s21
	s_mul_hi_u32 s22, s20, s3
	s_addc_u32 s24, s12, 0
	s_mul_i32 s25, s20, s12
	s_delay_alu instid0(VALU_DEP_1)
	v_sub_co_u32 v2, s26, v1, s20
	s_add_u32 s27, s3, 2
	s_addc_u32 s28, s12, 0
	s_add_i32 s22, s22, s25
	s_cmp_lg_u32 s21, 0
	v_readfirstlane_b32 s21, v2
	s_subb_u32 s22, s23, s22
	s_cmp_lg_u32 s26, 0
	s_subb_u32 s23, s22, 0
	s_delay_alu instid0(VALU_DEP_1) | instskip(SKIP_4) | instid1(SALU_CYCLE_1)
	s_cmp_ge_u32 s21, s20
	s_cselect_b32 s21, -1, 0
	s_cmp_eq_u32 s23, 0
	v_readfirstlane_b32 s23, v1
	s_cselect_b32 s21, s21, -1
	s_cmp_lg_u32 s21, 0
	s_cselect_b32 s17, s27, s17
	s_cselect_b32 s21, s28, s24
	s_cmp_ge_u32 s23, s20
	s_cselect_b32 s23, -1, 0
	s_cmp_eq_u32 s22, 0
	s_cselect_b32 s22, s23, -1
	s_delay_alu instid0(SALU_CYCLE_1) | instskip(SKIP_2) | instid1(SALU_CYCLE_1)
	s_cmp_lg_u32 s22, 0
	s_cselect_b32 s23, s21, s12
	s_cselect_b32 s22, s17, s3
	s_xor_b64 s[22:23], s[22:23], s[18:19]
	s_delay_alu instid0(SALU_CYCLE_1)
	s_sub_u32 s18, s22, s18
	s_and_not1_b32 vcc_lo, exec_lo, s2
	s_cbranch_vccnz .LBB22_6
.LBB22_5:
	v_cvt_f32_u32_e32 v1, s20
	s_sub_i32 s3, 0, s20
	s_delay_alu instid0(VALU_DEP_1) | instskip(SKIP_2) | instid1(VALU_DEP_1)
	v_rcp_iflag_f32_e32 v1, v1
	s_waitcnt_depctr 0xfff
	v_mul_f32_e32 v1, 0x4f7ffffe, v1
	v_cvt_u32_f32_e32 v1, v1
	s_delay_alu instid0(VALU_DEP_1) | instskip(NEXT) | instid1(VALU_DEP_1)
	v_readfirstlane_b32 s2, v1
	s_mul_i32 s3, s3, s2
	s_delay_alu instid0(SALU_CYCLE_1) | instskip(NEXT) | instid1(SALU_CYCLE_1)
	s_mul_hi_u32 s3, s2, s3
	s_add_i32 s2, s2, s3
	s_delay_alu instid0(SALU_CYCLE_1) | instskip(NEXT) | instid1(SALU_CYCLE_1)
	s_mul_hi_u32 s2, s11, s2
	s_mul_i32 s3, s2, s20
	s_delay_alu instid0(SALU_CYCLE_1)
	s_sub_i32 s3, s11, s3
	s_add_i32 s11, s2, 1
	s_sub_i32 s12, s3, s20
	s_cmp_ge_u32 s3, s20
	s_cselect_b32 s2, s11, s2
	s_cselect_b32 s3, s12, s3
	s_add_i32 s11, s2, 1
	s_cmp_ge_u32 s3, s20
	s_cselect_b32 s18, s11, s2
.LBB22_6:
	s_delay_alu instid0(SALU_CYCLE_1) | instskip(SKIP_3) | instid1(SALU_CYCLE_1)
	s_cmp_eq_u32 s16, s18
	s_mul_hi_u32 s2, s16, s8
	s_cselect_b32 s3, -1, 0
	s_add_i32 s2, s2, s16
	s_lshr_b32 s11, s2, s9
	s_delay_alu instid0(SALU_CYCLE_1) | instskip(NEXT) | instid1(SALU_CYCLE_1)
	s_mul_i32 s2, s11, s10
	s_cmp_eq_u32 s2, s16
	s_mul_hi_u32 s2, s18, s8
	s_cselect_b32 s12, -1, 0
	s_add_i32 s2, s2, s18
	s_delay_alu instid0(SALU_CYCLE_1) | instskip(NEXT) | instid1(SALU_CYCLE_1)
	s_lshr_b32 s2, s2, s9
	s_cmp_eq_u32 s11, s2
	s_mul_i32 s2, s2, s10
	s_cselect_b32 s17, -1, 0
	s_cmp_lg_u32 s2, s18
	s_cselect_b32 s2, -1, 0
	s_or_b32 s3, s3, s12
	s_and_b32 s2, s17, s2
	s_delay_alu instid0(SALU_CYCLE_1) | instskip(NEXT) | instid1(SALU_CYCLE_1)
	s_or_b32 s2, s3, s2
	s_and_b32 vcc_lo, exec_lo, s2
	s_cbranch_vccnz .LBB22_24
; %bb.7:
	s_load_b256 s[24:31], s[0:1], 0x20
	s_waitcnt lgkmcnt(0)
	s_mul_hi_u32 s2, s16, s24
	s_delay_alu instid0(SALU_CYCLE_1) | instskip(NEXT) | instid1(SALU_CYCLE_1)
	s_add_i32 s2, s2, s16
	s_lshr_b32 s17, s2, s25
	s_load_b32 s2, s[0:1], 0x40
	s_mul_i32 s3, s17, s26
	s_delay_alu instid0(SALU_CYCLE_1) | instskip(NEXT) | instid1(SALU_CYCLE_1)
	s_sub_i32 s3, s16, s3
	s_mul_hi_u32 s12, s3, s27
	s_delay_alu instid0(SALU_CYCLE_1) | instskip(NEXT) | instid1(SALU_CYCLE_1)
	s_add_i32 s12, s3, s12
	s_lshr_b32 s21, s12, s28
	s_delay_alu instid0(SALU_CYCLE_1) | instskip(NEXT) | instid1(SALU_CYCLE_1)
	s_mul_i32 s12, s21, s29
	s_sub_i32 s3, s3, s12
	s_delay_alu instid0(SALU_CYCLE_1) | instskip(NEXT) | instid1(SALU_CYCLE_1)
	s_mul_hi_u32 s12, s3, s30
	s_add_i32 s12, s3, s12
	s_delay_alu instid0(SALU_CYCLE_1)
	s_lshr_b32 s12, s12, s31
	s_waitcnt lgkmcnt(0)
	s_mul_i32 s2, s12, s2
	s_lshl_b32 s23, s12, 2
	s_sub_i32 s2, s3, s2
	s_mov_b32 s12, 0
	s_mul_hi_u32 s3, s2, s8
	s_delay_alu instid0(SALU_CYCLE_1) | instskip(NEXT) | instid1(SALU_CYCLE_1)
	s_add_i32 s2, s2, s3
	s_lshr_b32 s22, s2, s9
	s_delay_alu instid0(SALU_CYCLE_1) | instskip(NEXT) | instid1(SALU_CYCLE_1)
	s_lshl_b32 s2, s22, 1
	s_add_i32 s2, s2, s14
	s_delay_alu instid0(SALU_CYCLE_1) | instskip(SKIP_2) | instid1(SALU_CYCLE_1)
	s_cmp_lt_i32 s2, s4
	s_cselect_b32 s2, -1, 0
	s_add_i32 s3, s23, s15
	s_cmp_lt_i32 s3, s6
	s_cselect_b32 s3, -1, 0
	s_delay_alu instid0(SALU_CYCLE_1) | instskip(NEXT) | instid1(SALU_CYCLE_1)
	s_and_b32 s2, s2, s3
	s_and_not1_b32 vcc_lo, exec_lo, s2
	s_cbranch_vccnz .LBB22_24
; %bb.8:
	s_load_b128 s[0:3], s[0:1], 0x0
	s_lshl_b32 s18, s20, 5
	s_mov_b32 s19, s12
	s_lshl_b32 s24, s14, 2
	s_lshl_b64 s[18:19], s[18:19], 2
	s_mul_i32 s4, s17, s4
	s_add_i32 s17, s24, s15
	s_mul_i32 s21, s21, s6
	v_cvt_f32_ubyte0_e32 v4, 0
	v_cvt_f32_u32_e32 v5, s20
	s_waitcnt lgkmcnt(0)
	s_add_u32 s18, s2, s18
	s_addc_u32 s19, s3, s19
	s_add_i32 s4, s4, s14
	s_delay_alu instid0(SALU_CYCLE_1) | instskip(SKIP_4) | instid1(SALU_CYCLE_1)
	s_mul_i32 s4, s4, s5
	s_mul_i32 s5, s5, s22
	s_add_i32 s4, s4, s15
	s_lshl_b32 s5, s5, 9
	s_add_i32 s4, s4, s21
	s_add_i32 s4, s4, s23
	s_delay_alu instid0(SALU_CYCLE_1) | instskip(NEXT) | instid1(SALU_CYCLE_1)
	s_lshl_b32 s4, s4, 8
	s_add_i32 s5, s5, s4
	s_delay_alu instid0(SALU_CYCLE_1) | instskip(SKIP_1) | instid1(VALU_DEP_2)
	v_or_b32_e32 v1, s5, v0
	v_lshl_or_b32 v0, s17, 8, v0
	v_ashrrev_i32_e32 v2, 31, v1
	s_delay_alu instid0(VALU_DEP_1) | instskip(NEXT) | instid1(VALU_DEP_1)
	v_lshlrev_b64 v[1:2], 2, v[1:2]
	v_add_co_u32 v1, vcc_lo, s0, v1
	s_delay_alu instid0(VALU_DEP_2) | instskip(SKIP_1) | instid1(SALU_CYCLE_1)
	v_add_co_ci_u32_e32 v2, vcc_lo, s1, v2, vcc_lo
	s_lshl_b32 s0, s13, 3
	s_add_i32 s0, s17, s0
	global_load_b32 v3, v[1:2], off
	s_ashr_i32 s1, s0, 31
	s_delay_alu instid0(SALU_CYCLE_1) | instskip(NEXT) | instid1(SALU_CYCLE_1)
	s_lshl_b64 s[0:1], s[0:1], 3
	s_add_u32 s0, s2, s0
	s_addc_u32 s1, s3, s1
	s_add_i32 s14, s13, -1
	s_load_b64 s[0:1], s[0:1], 0x0
	v_fmac_f32_e32 v5, 0x4f800000, v4
	s_sub_i32 s6, 0, s20
	s_waitcnt lgkmcnt(0)
	v_mov_b32_e32 v8, s0
	s_delay_alu instid0(VALU_DEP_2) | instskip(SKIP_2) | instid1(VALU_DEP_2)
	v_rcp_f32_e32 v4, v5
	v_cvt_f32_u32_e32 v5, s20
	v_mov_b32_e32 v7, s1
	v_rcp_iflag_f32_e32 v5, v5
	s_waitcnt_depctr 0xfff
	v_mul_f32_e32 v4, 0x5f7ffffc, v4
	s_delay_alu instid0(VALU_DEP_1) | instskip(SKIP_1) | instid1(VALU_DEP_2)
	v_mul_f32_e32 v6, 0x2f800000, v4
	v_mul_f32_e32 v9, 0x4f7ffffe, v5
	v_trunc_f32_e32 v6, v6
	s_delay_alu instid0(VALU_DEP_1) | instskip(SKIP_1) | instid1(VALU_DEP_4)
	v_fmac_f32_e32 v4, 0xcf800000, v6
	v_cvt_u32_f32_e32 v5, v6
	v_cvt_u32_f32_e32 v6, v9
	s_delay_alu instid0(VALU_DEP_3)
	v_cvt_u32_f32_e32 v4, v4
.LBB22_9:                               ; =>This Inner Loop Header: Depth=1
	s_mul_hi_i32 s13, s14, s7
	s_mul_i32 s4, s14, s7
	s_cmp_lg_u64 s[12:13], 0
	s_mov_b32 s5, -1
                                        ; implicit-def: $sgpr0_sgpr1
	s_cbranch_scc0 .LBB22_11
; %bb.10:                               ;   in Loop: Header=BB22_9 Depth=1
	v_readfirstlane_b32 s0, v4
	v_readfirstlane_b32 s1, v5
	s_sub_u32 s5, 0, s20
	s_subb_u32 s15, 0, 0
	s_delay_alu instid0(VALU_DEP_2) | instskip(NEXT) | instid1(VALU_DEP_1)
	s_mul_hi_u32 s21, s5, s0
	s_mul_i32 s22, s5, s1
	s_mul_i32 s23, s15, s0
	s_add_i32 s21, s21, s22
	s_mul_i32 s22, s5, s0
	s_add_i32 s21, s21, s23
	s_mul_hi_u32 s23, s0, s22
	s_mul_i32 s24, s0, s21
	s_mul_hi_u32 s0, s0, s21
	s_add_u32 s23, s23, s24
	s_mul_i32 s25, s1, s22
	s_addc_u32 s0, 0, s0
	s_mul_hi_u32 s22, s1, s22
	s_mul_hi_u32 s24, s1, s21
	s_add_u32 s23, s23, s25
	s_addc_u32 s0, s0, s22
	s_mul_i32 s21, s1, s21
	s_addc_u32 s22, s24, 0
	s_add_u32 s0, s0, s21
	s_addc_u32 s21, 0, s22
	v_add_co_u32 v9, s0, v4, s0
	s_delay_alu instid0(VALU_DEP_1) | instskip(SKIP_1) | instid1(VALU_DEP_1)
	s_cmp_lg_u32 s0, 0
	s_addc_u32 s1, s1, s21
	v_readfirstlane_b32 s0, v9
	s_mul_i32 s21, s5, s1
	s_delay_alu instid0(VALU_DEP_1)
	s_mul_hi_u32 s22, s5, s0
	s_mul_i32 s15, s15, s0
	s_add_i32 s21, s22, s21
	s_mul_i32 s5, s5, s0
	s_add_i32 s21, s21, s15
	s_mul_hi_u32 s15, s1, s5
	s_mul_i32 s23, s1, s5
	s_mul_i32 s24, s0, s21
	s_mul_hi_u32 s5, s0, s5
	s_mul_hi_u32 s0, s0, s21
	s_add_u32 s5, s5, s24
	s_addc_u32 s0, 0, s0
	s_mul_hi_u32 s22, s1, s21
	s_add_u32 s5, s5, s23
	s_addc_u32 s0, s0, s15
	s_mul_i32 s5, s1, s21
	s_addc_u32 s15, s22, 0
	s_add_u32 s0, s0, s5
	s_addc_u32 s5, 0, s15
	v_add_co_u32 v9, s0, v9, s0
	s_delay_alu instid0(VALU_DEP_1) | instskip(SKIP_2) | instid1(SALU_CYCLE_1)
	s_cmp_lg_u32 s0, 0
	s_addc_u32 s5, s1, s5
	s_ashr_i32 s0, s13, 31
	s_add_u32 s22, s4, s0
	s_addc_u32 s23, s13, s0
	v_readfirstlane_b32 s13, v9
	s_mov_b32 s1, s0
	s_delay_alu instid0(SALU_CYCLE_1) | instskip(NEXT) | instid1(SALU_CYCLE_1)
	s_xor_b64 s[22:23], s[22:23], s[0:1]
	s_mul_i32 s15, s22, s5
	s_delay_alu instid0(VALU_DEP_1)
	s_mul_hi_u32 s21, s22, s13
	s_mul_hi_u32 s24, s22, s5
	s_add_u32 s15, s21, s15
	s_mul_i32 s25, s23, s13
	s_addc_u32 s21, 0, s24
	s_mul_hi_u32 s13, s23, s13
	s_mul_hi_u32 s24, s23, s5
	s_add_u32 s15, s15, s25
	s_addc_u32 s13, s21, s13
	s_mul_i32 s5, s23, s5
	s_addc_u32 s15, s24, 0
	s_add_u32 s5, s13, s5
	s_addc_u32 s13, 0, s15
	s_mul_i32 s21, s20, s5
	s_add_u32 s15, s5, 1
	v_sub_co_u32 v9, s21, s22, s21
	s_addc_u32 s22, s13, 0
	s_mul_i32 s25, s20, s13
	s_mul_hi_u32 s27, s20, s5
	s_delay_alu instid0(VALU_DEP_1)
	v_sub_co_u32 v10, s26, v9, s20
	s_add_u32 s24, s5, 2
	s_addc_u32 s28, s13, 0
	s_add_i32 s27, s27, s25
	s_cmp_lg_u32 s21, 0
	v_readfirstlane_b32 s21, v10
	s_subb_u32 s23, s23, s27
	s_cmp_lg_u32 s26, 0
	s_subb_u32 s25, s23, 0
	s_delay_alu instid0(VALU_DEP_1) | instskip(SKIP_4) | instid1(SALU_CYCLE_1)
	s_cmp_ge_u32 s21, s20
	s_cselect_b32 s21, -1, 0
	s_cmp_eq_u32 s25, 0
	v_readfirstlane_b32 s25, v9
	s_cselect_b32 s21, s21, -1
	s_cmp_lg_u32 s21, 0
	s_cselect_b32 s15, s24, s15
	s_cselect_b32 s21, s28, s22
	s_cmp_ge_u32 s25, s20
	s_cselect_b32 s22, -1, 0
	s_cmp_eq_u32 s23, 0
	s_cselect_b32 s22, s22, -1
	s_delay_alu instid0(SALU_CYCLE_1) | instskip(SKIP_4) | instid1(SALU_CYCLE_1)
	s_cmp_lg_u32 s22, 0
	s_cselect_b32 s23, s21, s13
	s_cselect_b32 s22, s15, s5
	s_mov_b32 s5, 0
	s_xor_b64 s[22:23], s[22:23], s[0:1]
	s_sub_u32 s0, s22, s0
.LBB22_11:                              ;   in Loop: Header=BB22_9 Depth=1
	s_and_not1_b32 vcc_lo, exec_lo, s5
	s_cbranch_vccnz .LBB22_13
; %bb.12:                               ;   in Loop: Header=BB22_9 Depth=1
	v_readfirstlane_b32 s0, v6
	s_delay_alu instid0(VALU_DEP_1) | instskip(NEXT) | instid1(SALU_CYCLE_1)
	s_mul_i32 s1, s6, s0
	s_mul_hi_u32 s1, s0, s1
	s_delay_alu instid0(SALU_CYCLE_1) | instskip(NEXT) | instid1(SALU_CYCLE_1)
	s_add_i32 s0, s0, s1
	s_mul_hi_u32 s0, s4, s0
	s_delay_alu instid0(SALU_CYCLE_1) | instskip(NEXT) | instid1(SALU_CYCLE_1)
	s_mul_i32 s1, s0, s20
	s_sub_i32 s1, s4, s1
	s_add_i32 s4, s0, 1
	s_sub_i32 s5, s1, s20
	s_cmp_ge_u32 s1, s20
	s_cselect_b32 s0, s4, s0
	s_cselect_b32 s1, s5, s1
	s_add_i32 s4, s0, 1
	s_cmp_ge_u32 s1, s20
	s_cselect_b32 s0, s4, s0
.LBB22_13:                              ;   in Loop: Header=BB22_9 Depth=1
	s_delay_alu instid0(SALU_CYCLE_1)
	s_cmp_lg_u32 s16, s0
	s_cbranch_scc0 .LBB22_17
; %bb.14:                               ;   in Loop: Header=BB22_9 Depth=1
	s_add_i32 s1, s14, s20
	s_mov_b32 s5, s12
	s_lshl_b32 s1, s1, 3
	s_mov_b32 s15, s16
	s_add_i32 s4, s1, s17
	s_mul_hi_u32 s1, s0, s8
	s_lshl_b64 s[4:5], s[4:5], 3
	s_delay_alu instid0(SALU_CYCLE_1) | instskip(SKIP_2) | instid1(SALU_CYCLE_1)
	s_add_u32 s4, s2, s4
	s_addc_u32 s5, s3, s5
	s_add_i32 s1, s1, s0
	s_lshr_b32 s1, s1, s9
	s_delay_alu instid0(SALU_CYCLE_1) | instskip(NEXT) | instid1(SALU_CYCLE_1)
	s_mul_i32 s13, s1, s10
	s_cmp_eq_u32 s13, s0
	s_cselect_b32 s13, -1, 0
	s_cmp_lt_u32 s1, s11
	s_cselect_b32 s1, -1, 0
	s_delay_alu instid0(SALU_CYCLE_1)
	s_or_b32 s1, s1, s13
	s_mov_b32 s13, -1
	s_and_b32 vcc_lo, exec_lo, s1
	s_mov_b32 s1, s14
	s_cbranch_vccnz .LBB22_16
; %bb.15:                               ;   in Loop: Header=BB22_9 Depth=1
	s_add_i32 s1, s14, -1
	s_mov_b32 s13, 0
	s_mov_b32 s15, s0
.LBB22_16:                              ;   in Loop: Header=BB22_9 Depth=1
	v_lshl_add_u32 v9, s14, 11, v0
	s_load_b64 s[4:5], s[4:5], 0x0
	s_delay_alu instid0(VALU_DEP_1) | instskip(NEXT) | instid1(VALU_DEP_1)
	v_ashrrev_i32_e32 v10, 31, v9
	v_lshlrev_b64 v[9:10], 2, v[9:10]
	s_delay_alu instid0(VALU_DEP_1) | instskip(NEXT) | instid1(VALU_DEP_2)
	v_add_co_u32 v9, vcc_lo, s18, v9
	v_add_co_ci_u32_e32 v10, vcc_lo, s19, v10, vcc_lo
	s_waitcnt lgkmcnt(0)
	v_max_f32_e64 v11, s4, s4
	global_load_b32 v10, v[9:10], off
	v_max_f32_e32 v9, v8, v8
	s_delay_alu instid0(VALU_DEP_1) | instskip(NEXT) | instid1(VALU_DEP_1)
	v_max_f32_e32 v9, v9, v11
	v_sub_f32_e32 v12, v8, v9
	s_delay_alu instid0(VALU_DEP_1) | instskip(NEXT) | instid1(VALU_DEP_1)
	v_dual_mul_f32 v14, 0x3fb8aa3b, v12 :: v_dual_sub_f32 v11, s4, v9
	v_rndne_f32_e32 v18, v14
	s_delay_alu instid0(VALU_DEP_2) | instskip(SKIP_2) | instid1(VALU_DEP_4)
	v_mul_f32_e32 v13, 0x3fb8aa3b, v11
	v_fma_f32 v17, 0x3fb8aa3b, v12, -v14
	v_cmp_ngt_f32_e32 vcc_lo, 0xc2ce8ed0, v11
	v_sub_f32_e32 v14, v14, v18
	s_delay_alu instid0(VALU_DEP_4) | instskip(SKIP_2) | instid1(VALU_DEP_3)
	v_fma_f32 v15, 0x3fb8aa3b, v11, -v13
	v_rndne_f32_e32 v16, v13
	v_fmac_f32_e32 v17, 0x32a5705f, v12
	v_fmac_f32_e32 v15, 0x32a5705f, v11
	s_delay_alu instid0(VALU_DEP_2) | instskip(NEXT) | instid1(VALU_DEP_1)
	v_dual_sub_f32 v13, v13, v16 :: v_dual_add_f32 v14, v14, v17
	v_add_f32_e32 v13, v13, v15
	s_delay_alu instid0(VALU_DEP_2) | instskip(SKIP_2) | instid1(VALU_DEP_3)
	v_exp_f32_e32 v14, v14
	v_cvt_i32_f32_e32 v15, v16
	v_cvt_i32_f32_e32 v16, v18
	v_exp_f32_e32 v13, v13
	s_waitcnt_depctr 0xfff
	v_ldexp_f32 v14, v14, v16
	v_ldexp_f32 v13, v13, v15
	s_delay_alu instid0(VALU_DEP_1) | instskip(SKIP_1) | instid1(VALU_DEP_4)
	v_cndmask_b32_e32 v13, 0, v13, vcc_lo
	v_cmp_ngt_f32_e32 vcc_lo, 0xc2ce8ed0, v12
	v_cndmask_b32_e32 v14, 0, v14, vcc_lo
	v_cmp_nlt_f32_e32 vcc_lo, 0x42b17218, v11
	s_delay_alu instid0(VALU_DEP_4) | instskip(SKIP_1) | instid1(VALU_DEP_4)
	v_cndmask_b32_e32 v13, 0x7f800000, v13, vcc_lo
	v_cmp_nlt_f32_e32 vcc_lo, 0x42b17218, v12
	v_cndmask_b32_e32 v14, 0x7f800000, v14, vcc_lo
	v_cmp_le_f32_e32 vcc_lo, 0xc1a00000, v11
	s_delay_alu instid0(VALU_DEP_4) | instskip(SKIP_1) | instid1(VALU_DEP_4)
	v_cndmask_b32_e32 v11, 0, v13, vcc_lo
	v_cmp_le_f32_e32 vcc_lo, 0xc1a00000, v12
	v_cndmask_b32_e32 v12, 0, v14, vcc_lo
	s_waitcnt vmcnt(0)
	s_delay_alu instid0(VALU_DEP_3) | instskip(NEXT) | instid1(VALU_DEP_1)
	v_mul_f32_e32 v10, v10, v11
	v_dual_mul_f32 v11, s5, v11 :: v_dual_fmac_f32 v10, v3, v12
	s_delay_alu instid0(VALU_DEP_1)
	v_fmac_f32_e32 v11, v7, v12
	s_cbranch_execz .LBB22_18
	s_branch .LBB22_19
.LBB22_17:                              ;   in Loop: Header=BB22_9 Depth=1
                                        ; implicit-def: $sgpr13
                                        ; implicit-def: $vgpr10
                                        ; implicit-def: $vgpr9
                                        ; implicit-def: $vgpr11
                                        ; implicit-def: $sgpr1
                                        ; implicit-def: $sgpr15
.LBB22_18:                              ;   in Loop: Header=BB22_9 Depth=1
	v_mov_b32_e32 v11, v7
	s_waitcnt vmcnt(0)
	v_dual_mov_b32 v9, v8 :: v_dual_mov_b32 v10, v3
	s_add_i32 s1, s14, -1
	s_mov_b32 s13, 0
	s_mov_b32 s15, s16
.LBB22_19:                              ;   in Loop: Header=BB22_9 Depth=1
	s_and_not1_b32 vcc_lo, exec_lo, s13
	s_cbranch_vccz .LBB22_23
; %bb.20:                               ;   in Loop: Header=BB22_9 Depth=1
	v_dual_mov_b32 v7, v11 :: v_dual_mov_b32 v8, v9
	s_waitcnt vmcnt(0)
	v_mov_b32_e32 v3, v10
	s_mov_b32 s16, s15
	s_mov_b32 s14, s1
	s_branch .LBB22_9
.LBB22_21:
                                        ; implicit-def: $sgpr16_sgpr17
	s_load_b128 s[8:11], s[0:1], 0x44
	s_branch .LBB22_2
.LBB22_22:
                                        ; implicit-def: $sgpr18_sgpr19
	s_branch .LBB22_5
.LBB22_23:
	v_div_scale_f32 v0, null, v11, v11, v10
	s_waitcnt vmcnt(0)
	s_delay_alu instid0(VALU_DEP_1) | instskip(SKIP_2) | instid1(VALU_DEP_1)
	v_rcp_f32_e32 v3, v0
	s_waitcnt_depctr 0xfff
	v_fma_f32 v4, -v0, v3, 1.0
	v_fmac_f32_e32 v3, v4, v3
	v_div_scale_f32 v4, vcc_lo, v10, v11, v10
	s_delay_alu instid0(VALU_DEP_1) | instskip(NEXT) | instid1(VALU_DEP_1)
	v_mul_f32_e32 v5, v4, v3
	v_fma_f32 v6, -v0, v5, v4
	s_delay_alu instid0(VALU_DEP_1) | instskip(NEXT) | instid1(VALU_DEP_1)
	v_fmac_f32_e32 v5, v6, v3
	v_fma_f32 v0, -v0, v5, v4
	s_delay_alu instid0(VALU_DEP_1) | instskip(NEXT) | instid1(VALU_DEP_1)
	v_div_fmas_f32 v0, v0, v3, v5
	v_div_fixup_f32 v0, v0, v11, v10
	global_store_b32 v[1:2], v0, off
.LBB22_24:
	s_nop 0
	s_sendmsg sendmsg(MSG_DEALLOC_VGPRS)
	s_endpgm
	.section	.rodata,"a",@progbits
	.p2align	6, 0x0
	.amdhsa_kernel _ZL33flash_attn_stream_k_fixup_generalILi256ELi2ELi4EEvPfPK15HIP_vector_typeIfLj2EEiiiiS1_IjLj3EES5_S5_S5_
		.amdhsa_group_segment_fixed_size 0
		.amdhsa_private_segment_fixed_size 0
		.amdhsa_kernarg_size 336
		.amdhsa_user_sgpr_count 13
		.amdhsa_user_sgpr_dispatch_ptr 0
		.amdhsa_user_sgpr_queue_ptr 0
		.amdhsa_user_sgpr_kernarg_segment_ptr 1
		.amdhsa_user_sgpr_dispatch_id 0
		.amdhsa_user_sgpr_private_segment_size 0
		.amdhsa_wavefront_size32 1
		.amdhsa_uses_dynamic_stack 0
		.amdhsa_enable_private_segment 0
		.amdhsa_system_sgpr_workgroup_id_x 1
		.amdhsa_system_sgpr_workgroup_id_y 1
		.amdhsa_system_sgpr_workgroup_id_z 1
		.amdhsa_system_sgpr_workgroup_info 0
		.amdhsa_system_vgpr_workitem_id 0
		.amdhsa_next_free_vgpr 19
		.amdhsa_next_free_sgpr 32
		.amdhsa_reserve_vcc 1
		.amdhsa_float_round_mode_32 0
		.amdhsa_float_round_mode_16_64 0
		.amdhsa_float_denorm_mode_32 3
		.amdhsa_float_denorm_mode_16_64 3
		.amdhsa_dx10_clamp 1
		.amdhsa_ieee_mode 1
		.amdhsa_fp16_overflow 0
		.amdhsa_workgroup_processor_mode 1
		.amdhsa_memory_ordered 1
		.amdhsa_forward_progress 0
		.amdhsa_shared_vgpr_count 0
		.amdhsa_exception_fp_ieee_invalid_op 0
		.amdhsa_exception_fp_denorm_src 0
		.amdhsa_exception_fp_ieee_div_zero 0
		.amdhsa_exception_fp_ieee_overflow 0
		.amdhsa_exception_fp_ieee_underflow 0
		.amdhsa_exception_fp_ieee_inexact 0
		.amdhsa_exception_int_div_zero 0
	.end_amdhsa_kernel
	.section	.text._ZL33flash_attn_stream_k_fixup_generalILi256ELi2ELi4EEvPfPK15HIP_vector_typeIfLj2EEiiiiS1_IjLj3EES5_S5_S5_,"axG",@progbits,_ZL33flash_attn_stream_k_fixup_generalILi256ELi2ELi4EEvPfPK15HIP_vector_typeIfLj2EEiiiiS1_IjLj3EES5_S5_S5_,comdat
.Lfunc_end22:
	.size	_ZL33flash_attn_stream_k_fixup_generalILi256ELi2ELi4EEvPfPK15HIP_vector_typeIfLj2EEiiiiS1_IjLj3EES5_S5_S5_, .Lfunc_end22-_ZL33flash_attn_stream_k_fixup_generalILi256ELi2ELi4EEvPfPK15HIP_vector_typeIfLj2EEiiiiS1_IjLj3EES5_S5_S5_
                                        ; -- End function
	.section	.AMDGPU.csdata,"",@progbits
; Kernel info:
; codeLenInByte = 3224
; NumSgprs: 34
; NumVgprs: 19
; ScratchSize: 0
; MemoryBound: 0
; FloatMode: 240
; IeeeMode: 1
; LDSByteSize: 0 bytes/workgroup (compile time only)
; SGPRBlocks: 4
; VGPRBlocks: 2
; NumSGPRsForWavesPerEU: 34
; NumVGPRsForWavesPerEU: 19
; Occupancy: 16
; WaveLimiterHint : 0
; COMPUTE_PGM_RSRC2:SCRATCH_EN: 0
; COMPUTE_PGM_RSRC2:USER_SGPR: 13
; COMPUTE_PGM_RSRC2:TRAP_HANDLER: 0
; COMPUTE_PGM_RSRC2:TGID_X_EN: 1
; COMPUTE_PGM_RSRC2:TGID_Y_EN: 1
; COMPUTE_PGM_RSRC2:TGID_Z_EN: 1
; COMPUTE_PGM_RSRC2:TIDIG_COMP_CNT: 0
	.section	.text._ZL15flash_attn_tileILi256ELi256ELi1ELi4ELb0EEvPKcS1_S1_S1_S1_PKiPfP15HIP_vector_typeIfLj2EEffffjfiS5_IjLj3EEiiiiiiiiiiiliiliiiiil,"axG",@progbits,_ZL15flash_attn_tileILi256ELi256ELi1ELi4ELb0EEvPKcS1_S1_S1_S1_PKiPfP15HIP_vector_typeIfLj2EEffffjfiS5_IjLj3EEiiiiiiiiiiiliiliiiiil,comdat
	.globl	_ZL15flash_attn_tileILi256ELi256ELi1ELi4ELb0EEvPKcS1_S1_S1_S1_PKiPfP15HIP_vector_typeIfLj2EEffffjfiS5_IjLj3EEiiiiiiiiiiiliiliiiiil ; -- Begin function _ZL15flash_attn_tileILi256ELi256ELi1ELi4ELb0EEvPKcS1_S1_S1_S1_PKiPfP15HIP_vector_typeIfLj2EEffffjfiS5_IjLj3EEiiiiiiiiiiiliiliiiiil
	.p2align	8
	.type	_ZL15flash_attn_tileILi256ELi256ELi1ELi4ELb0EEvPKcS1_S1_S1_S1_PKiPfP15HIP_vector_typeIfLj2EEffffjfiS5_IjLj3EEiiiiiiiiiiiliiliiiiil,@function
_ZL15flash_attn_tileILi256ELi256ELi1ELi4ELb0EEvPKcS1_S1_S1_S1_PKiPfP15HIP_vector_typeIfLj2EEffffjfiS5_IjLj3EEiiiiiiiiiiiliiliiiiil: ; @_ZL15flash_attn_tileILi256ELi256ELi1ELi4ELb0EEvPKcS1_S1_S1_S1_PKiPfP15HIP_vector_typeIfLj2EEffffjfiS5_IjLj3EEiiiiiiiiiiiliiliiiiil
; %bb.0:
	s_clause 0x1
	s_load_b128 s[8:11], s[0:1], 0x5c
	s_load_b64 s[34:35], s[0:1], 0x80
	s_mov_b64 s[36:37], 0
	s_waitcnt lgkmcnt(0)
	s_ashr_i32 s2, s11, 31
	s_delay_alu instid0(SALU_CYCLE_1) | instskip(NEXT) | instid1(SALU_CYCLE_1)
	s_lshr_b32 s2, s2, 30
	s_add_i32 s2, s11, s2
	s_delay_alu instid0(SALU_CYCLE_1) | instskip(NEXT) | instid1(SALU_CYCLE_1)
	s_ashr_i32 s2, s2, 2
	v_cvt_f32_u32_e32 v1, s2
	s_sub_i32 s4, 0, s2
	s_delay_alu instid0(VALU_DEP_1) | instskip(SKIP_2) | instid1(VALU_DEP_1)
	v_rcp_iflag_f32_e32 v1, v1
	s_waitcnt_depctr 0xfff
	v_mul_f32_e32 v1, 0x4f7ffffe, v1
	v_cvt_u32_f32_e32 v1, v1
	s_delay_alu instid0(VALU_DEP_1) | instskip(NEXT) | instid1(VALU_DEP_1)
	v_readfirstlane_b32 s3, v1
	s_mul_i32 s4, s4, s3
	s_delay_alu instid0(SALU_CYCLE_1) | instskip(NEXT) | instid1(SALU_CYCLE_1)
	s_mul_hi_u32 s4, s3, s4
	s_add_i32 s3, s3, s4
	s_delay_alu instid0(SALU_CYCLE_1) | instskip(NEXT) | instid1(SALU_CYCLE_1)
	s_mul_hi_u32 s3, s15, s3
	s_mul_i32 s4, s3, s2
	s_add_i32 s5, s3, 1
	s_sub_i32 s4, s15, s4
	s_delay_alu instid0(SALU_CYCLE_1)
	s_sub_i32 s6, s4, s2
	s_cmp_ge_u32 s4, s2
	s_cselect_b32 s3, s5, s3
	s_cselect_b32 s4, s6, s4
	s_add_i32 s5, s3, 1
	s_cmp_ge_u32 s4, s2
	s_cselect_b32 s33, s5, s3
	s_abs_i32 s2, s35
	s_abs_i32 s7, s11
	v_cvt_f32_u32_e32 v1, s2
	s_sub_i32 s4, 0, s2
	s_lshl_b32 s5, s15, 2
	s_mul_i32 s6, s33, s11
	s_delay_alu instid0(VALU_DEP_1) | instskip(SKIP_3) | instid1(VALU_DEP_1)
	v_rcp_iflag_f32_e32 v1, v1
	s_sub_i32 s15, s5, s6
	s_waitcnt_depctr 0xfff
	v_mul_f32_e32 v1, 0x4f7ffffe, v1
	v_cvt_u32_f32_e32 v1, v1
	s_delay_alu instid0(VALU_DEP_1) | instskip(NEXT) | instid1(VALU_DEP_1)
	v_readfirstlane_b32 s3, v1
	s_mul_i32 s4, s4, s3
	s_delay_alu instid0(SALU_CYCLE_1) | instskip(NEXT) | instid1(SALU_CYCLE_1)
	s_mul_hi_u32 s4, s3, s4
	s_add_i32 s3, s3, s4
	s_xor_b32 s4, s11, s35
	s_mul_hi_u32 s3, s7, s3
	s_ashr_i32 s4, s4, 31
	s_mul_i32 s5, s3, s2
	s_add_i32 s6, s3, 1
	s_sub_i32 s5, s7, s5
	s_delay_alu instid0(SALU_CYCLE_1)
	s_sub_i32 s7, s5, s2
	s_cmp_ge_u32 s5, s2
	s_cselect_b32 s3, s6, s3
	s_cselect_b32 s5, s7, s5
	s_add_i32 s6, s3, 1
	s_cmp_ge_u32 s5, s2
	s_cselect_b32 s2, s6, s3
	s_delay_alu instid0(SALU_CYCLE_1) | instskip(NEXT) | instid1(SALU_CYCLE_1)
	s_xor_b32 s2, s2, s4
	s_sub_i32 s35, s2, s4
	s_clause 0x1
	s_load_b512 s[16:31], s[0:1], 0x0
	s_load_b64 s[2:3], s[0:1], 0xb8
	s_abs_i32 s12, s35
	s_delay_alu instid0(SALU_CYCLE_1) | instskip(NEXT) | instid1(VALU_DEP_1)
	v_cvt_f32_u32_e32 v1, s12
	v_rcp_iflag_f32_e32 v1, v1
	s_waitcnt_depctr 0xfff
	v_mul_f32_e32 v1, 0x4f7ffffe, v1
	s_waitcnt lgkmcnt(0)
	s_cmp_eq_u64 s[22:23], 0
	s_delay_alu instid0(VALU_DEP_1) | instskip(NEXT) | instid1(VALU_DEP_1)
	v_cvt_u32_f32_e32 v1, v1
	v_readfirstlane_b32 s38, v1
	s_cbranch_scc1 .LBB23_2
; %bb.1:
	s_abs_i32 s2, s2
	s_abs_i32 s6, s33
	v_cvt_f32_u32_e32 v1, s2
	s_sub_i32 s5, 0, s2
	s_delay_alu instid0(VALU_DEP_1) | instskip(SKIP_2) | instid1(VALU_DEP_1)
	v_rcp_iflag_f32_e32 v1, v1
	s_waitcnt_depctr 0xfff
	v_mul_f32_e32 v1, 0x4f7ffffe, v1
	v_cvt_u32_f32_e32 v1, v1
	s_delay_alu instid0(VALU_DEP_1) | instskip(NEXT) | instid1(VALU_DEP_1)
	v_readfirstlane_b32 s4, v1
	s_mul_i32 s5, s5, s4
	s_delay_alu instid0(SALU_CYCLE_1) | instskip(NEXT) | instid1(SALU_CYCLE_1)
	s_mul_hi_u32 s5, s4, s5
	s_add_i32 s7, s4, s5
	s_load_b64 s[4:5], s[0:1], 0xc8
	s_mul_hi_u32 s7, s6, s7
	s_delay_alu instid0(SALU_CYCLE_1) | instskip(NEXT) | instid1(SALU_CYCLE_1)
	s_mul_i32 s7, s7, s2
	s_sub_i32 s6, s6, s7
	s_ashr_i32 s7, s33, 31
	s_sub_i32 s36, s6, s2
	s_cmp_ge_u32 s6, s2
	s_cselect_b32 s6, s36, s6
	s_delay_alu instid0(SALU_CYCLE_1) | instskip(SKIP_2) | instid1(SALU_CYCLE_1)
	s_sub_i32 s36, s6, s2
	s_cmp_ge_u32 s6, s2
	s_cselect_b32 s2, s36, s6
	s_xor_b32 s2, s2, s7
	s_delay_alu instid0(SALU_CYCLE_1)
	s_sub_i32 s2, s2, s7
	s_waitcnt lgkmcnt(0)
	s_mul_i32 s5, s2, s5
	s_mul_hi_u32 s6, s2, s4
	s_ashr_i32 s7, s2, 31
	s_add_i32 s5, s6, s5
	s_mul_i32 s7, s7, s4
	s_mul_i32 s2, s2, s4
	s_add_i32 s5, s5, s7
	s_add_u32 s36, s22, s2
	s_addc_u32 s37, s23, s5
.LBB23_2:
	v_bfe_u32 v2, v0, 10, 10
	s_load_b128 s[4:7], s[0:1], 0x70
	v_and_b32_e32 v32, 0x3ff, v0
	s_delay_alu instid0(VALU_DEP_2) | instskip(SKIP_1) | instid1(VALU_DEP_3)
	v_lshrrev_b32_e32 v1, 2, v2
	v_and_b32_e32 v69, 3, v2
	v_lshlrev_b32_e32 v11, 1, v32
	s_delay_alu instid0(VALU_DEP_3) | instskip(NEXT) | instid1(VALU_DEP_1)
	v_add_nc_u32_e32 v33, s13, v1
	v_mul_hi_u32 v1, s8, v33
	s_waitcnt lgkmcnt(0)
	s_mul_i32 s2, s33, s6
	s_mul_i32 s6, s15, s5
	s_delay_alu instid0(VALU_DEP_1)
	v_add_nc_u32_e32 v1, v33, v1
	s_ashr_i32 s7, s2, 31
	s_add_u32 s2, s16, s2
	s_addc_u32 s7, s17, s7
	s_ashr_i32 s8, s6, 31
	v_lshrrev_b32_e32 v1, s9, v1
	s_add_u32 s2, s2, s6
	s_addc_u32 s6, s7, s8
	s_ashr_i32 s7, s5, 31
	s_ashr_i32 s8, s4, 31
	v_mul_lo_u32 v1, v1, s10
	v_alignbit_b32 v5, s7, s5, 2
	v_alignbit_b32 v7, s8, s4, 2
	s_lshr_b32 s4, s7, 2
	s_mov_b32 s5, 0
	s_delay_alu instid0(VALU_DEP_2) | instskip(NEXT) | instid1(VALU_DEP_4)
	v_mad_u64_u32 v[3:4], null, v5, v69, 0
	v_sub_nc_u32_e32 v1, v33, v1
	s_delay_alu instid0(VALU_DEP_1) | instskip(NEXT) | instid1(VALU_DEP_1)
	v_mad_u64_u32 v[5:6], null, v7, v1, 0
	v_mad_u64_u32 v[7:8], null, s4, v69, v[4:5]
	s_lshr_b32 s4, s8, 2
	s_cmp_eq_u64 s[26:27], 0
	s_delay_alu instid0(VALU_DEP_1) | instskip(SKIP_1) | instid1(VALU_DEP_1)
	v_mad_u64_u32 v[8:9], null, s4, v1, v[6:7]
	v_mov_b32_e32 v4, v7
	v_lshlrev_b64 v[3:4], 2, v[3:4]
	s_delay_alu instid0(VALU_DEP_3) | instskip(NEXT) | instid1(VALU_DEP_2)
	v_mov_b32_e32 v6, v8
	v_add_co_u32 v0, vcc_lo, s2, v3
	s_delay_alu instid0(VALU_DEP_2) | instskip(NEXT) | instid1(VALU_DEP_4)
	v_lshlrev_b64 v[5:6], 2, v[5:6]
	v_add_co_ci_u32_e32 v3, vcc_lo, s6, v4, vcc_lo
	v_lshlrev_b32_e32 v4, 4, v32
	s_load_b32 s2, s[0:1], 0x40
	s_delay_alu instid0(VALU_DEP_3) | instskip(NEXT) | instid1(VALU_DEP_3)
	v_add_co_u32 v0, vcc_lo, v0, v5
	v_add_co_ci_u32_e32 v3, vcc_lo, v3, v6, vcc_lo
	s_delay_alu instid0(VALU_DEP_2) | instskip(NEXT) | instid1(VALU_DEP_2)
	v_add_co_u32 v7, vcc_lo, v0, v4
	v_add_co_ci_u32_e32 v8, vcc_lo, 0, v3, vcc_lo
	v_lshlrev_b32_e32 v0, 7, v2
	s_clause 0x1
	global_load_b128 v[3:6], v[7:8], off
	global_load_b128 v[7:10], v[7:8], off offset:512
	v_add_lshl_u32 v0, v11, v0, 2
	s_delay_alu instid0(VALU_DEP_1)
	v_add_nc_u32_e32 v0, 0x4000, v0
	s_waitcnt vmcnt(1) lgkmcnt(0)
	v_fma_mixlo_f16 v12, v5, s2, 0
	v_fma_mixlo_f16 v11, v3, s2, 0
	s_waitcnt vmcnt(0)
	v_fma_mixlo_f16 v14, v9, s2, 0
	v_fma_mixlo_f16 v13, v7, s2, 0
	v_fma_mixhi_f16 v12, v6, s2, 0
	v_fma_mixhi_f16 v11, v4, s2, 0
	s_delay_alu instid0(VALU_DEP_4) | instskip(NEXT) | instid1(VALU_DEP_4)
	v_fma_mixhi_f16 v14, v10, s2, 0
	v_fma_mixhi_f16 v13, v8, s2, 0
	ds_store_2addr_b64 v0, v[11:12], v[13:14] offset0:64 offset1:96
	s_waitcnt lgkmcnt(0)
	s_barrier
	buffer_gl0_inv
	s_cbranch_scc1 .LBB23_4
; %bb.3:
	s_load_b32 s2, s[0:1], 0xd0
	s_waitcnt lgkmcnt(0)
	s_mul_i32 s2, s2, s33
	s_delay_alu instid0(SALU_CYCLE_1) | instskip(NEXT) | instid1(SALU_CYCLE_1)
	s_add_i32 s4, s2, s13
	s_lshl_b64 s[4:5], s[4:5], 2
	s_delay_alu instid0(SALU_CYCLE_1)
	s_add_u32 s4, s26, s4
	s_addc_u32 s5, s27, s5
	s_load_b32 s34, s[4:5], 0x0
.LBB23_4:
	v_lshlrev_b32_e32 v68, 2, v32
	v_mbcnt_lo_u32_b32 v70, -1, 0
	s_lshl_b32 s9, s14, 5
	s_waitcnt lgkmcnt(0)
	s_cmp_lt_i32 s9, s34
	s_cbranch_scc1 .LBB23_6
; %bb.5:
	v_mbcnt_lo_u32_b32 v0, -1, 0
	v_mov_b32_e32 v72, 32
	s_mov_b32 s2, 0
	s_mov_b32 s4, 0xfeffffff
	s_delay_alu instid0(VALU_DEP_2)
	v_xor_b32_e32 v80, 16, v0
	v_xor_b32_e32 v78, 8, v0
	v_xor_b32_e32 v76, 4, v0
	v_xor_b32_e32 v75, 2, v0
	v_xor_b32_e32 v73, 1, v0
	s_branch .LBB23_7
.LBB23_6:
	s_mov_b32 s2, -1
                                        ; implicit-def: $sgpr4
                                        ; implicit-def: $vgpr0
                                        ; implicit-def: $vgpr72
                                        ; implicit-def: $vgpr80
                                        ; implicit-def: $vgpr78
                                        ; implicit-def: $vgpr76
                                        ; implicit-def: $vgpr75
                                        ; implicit-def: $vgpr73
.LBB23_7:
	s_delay_alu instid0(SALU_CYCLE_1) | instskip(SKIP_2) | instid1(VALU_DEP_3)
	v_cndmask_b32_e64 v3, 0, 1, s2
	v_dual_mov_b32 v90, s2 :: v_dual_mov_b32 v91, s2
	v_dual_mov_b32 v34, s4 :: v_dual_mov_b32 v109, s2
	v_cmp_ne_u32_e32 vcc_lo, 1, v3
	v_mov_b32_e32 v92, s2
	v_mov_b32_e32 v110, s2
	s_cbranch_vccnz .LBB23_11
; %bb.8:
	s_clause 0x1
	s_load_b128 s[4:7], s[0:1], 0x98
	s_load_b64 s[22:23], s[0:1], 0x8c
	s_sub_i32 s2, 0, s12
	s_abs_i32 s8, s15
	s_mul_i32 s2, s2, s38
	s_ashr_i32 s13, s15, 31
	s_mul_hi_u32 s2, s38, s2
	s_ashr_i32 s35, s35, 31
	s_add_i32 s38, s38, s2
	s_ashr_i32 s2, s3, 1
	s_mul_hi_u32 s3, s8, s38
	s_ashr_i32 s38, s33, 31
	s_load_b64 s[26:27], s[0:1], 0xa8
	s_mul_i32 s39, s3, s12
	v_dual_mov_b32 v72, 32 :: v_dual_lshlrev_b32 v71, 2, v68
	v_dual_mov_b32 v109, 0 :: v_dual_lshlrev_b32 v4, 9, v2
	v_mad_u64_u32 v[35:36], null, v1, s2, v[32:33]
	s_waitcnt lgkmcnt(0)
	s_mul_i32 s5, s33, s5
	s_mul_hi_u32 s40, s33, s4
	s_mul_i32 s41, s38, s4
	s_add_i32 s5, s40, s5
	s_mul_i32 s4, s33, s4
	s_ashr_i32 s16, s6, 2
	s_ashr_i32 s17, s22, 2
	s_add_i32 s5, s5, s41
	s_add_u32 s4, s18, s4
	s_addc_u32 s5, s19, s5
	s_sub_i32 s8, s8, s39
	s_xor_b32 s13, s13, s35
	s_add_i32 s18, s3, 1
	s_sub_i32 s19, s8, s12
	s_cmp_ge_u32 s8, s12
	s_mul_i32 s38, s38, s26
	s_cselect_b32 s3, s18, s3
	s_cselect_b32 s8, s19, s8
	s_add_i32 s18, s3, 1
	s_cmp_ge_u32 s8, s12
	s_mul_i32 s8, s33, s27
	s_cselect_b32 s3, s18, s3
	s_mul_hi_u32 s12, s33, s26
	s_xor_b32 s3, s3, s13
	v_mul_lo_u32 v3, s17, v2
	s_sub_i32 s3, s3, s13
	v_mul_lo_u32 v0, s16, v2
	s_mul_i32 s18, s3, s23
	s_mul_i32 s13, s33, s26
	s_ashr_i32 s19, s18, 31
	s_add_u32 s18, s4, s18
	s_addc_u32 s19, s5, s19
	s_add_i32 s4, s12, s8
	s_mul_i32 s3, s3, s7
	s_add_i32 s4, s4, s38
	s_add_u32 s5, s20, s13
	s_addc_u32 s4, s21, s4
	s_ashr_i32 s7, s3, 31
	s_add_u32 s20, s5, s3
	s_addc_u32 s21, s4, s7
	s_and_b32 s3, s22, -4
	s_and_b32 s4, s6, -4
	v_dual_mov_b32 v34, 0xfeffffff :: v_dual_add_nc_u32 v5, s3, v3
	v_dual_mov_b32 v110, 0 :: v_dual_add_nc_u32 v13, s4, v0
	s_delay_alu instid0(VALU_DEP_2) | instskip(SKIP_1) | instid1(VALU_DEP_3)
	v_dual_mov_b32 v90, 0 :: v_dual_add_nc_u32 v7, s3, v5
	v_dual_mov_b32 v92, 0 :: v_dual_add_nc_u32 v81, 0x4200, v4
	v_add_nc_u32_e32 v17, s4, v13
	v_dual_mov_b32 v91, 0 :: v_dual_add_nc_u32 v82, v4, v71
	s_delay_alu instid0(VALU_DEP_4) | instskip(SKIP_1) | instid1(VALU_DEP_4)
	v_add_nc_u32_e32 v9, s3, v7
	v_ashrrev_i32_e32 v4, 31, v3
	v_add_nc_u32_e32 v21, s4, v17
	v_ashrrev_i32_e32 v6, 31, v5
	v_ashrrev_i32_e32 v8, 31, v7
	v_add_nc_u32_e32 v11, s3, v9
	v_ashrrev_i32_e32 v10, 31, v9
	v_add_nc_u32_e32 v25, s4, v21
	v_ashrrev_i32_e32 v1, 31, v0
	v_ashrrev_i32_e32 v14, 31, v13
	;; [unrolled: 5-line block ×4, first 2 shown]
	v_add_nc_u32_e32 v23, s3, v19
	v_ashrrev_i32_e32 v20, 31, v19
	v_add_nc_u32_e32 v66, s4, v29
	v_ashrrev_i32_e32 v30, 31, v29
	v_lshl_add_u32 v77, v2, 6, 0x4a00
	v_ashrrev_i32_e32 v24, 31, v23
	v_mad_u32_u24 v79, 0x210, v2, v71
	v_ashrrev_i32_e32 v67, 31, v66
	v_lshlrev_b32_e32 v101, 3, v32
	v_lshlrev_b64 v[36:37], 2, v[3:4]
	v_lshlrev_b64 v[38:39], 2, v[5:6]
	v_lshlrev_b64 v[40:41], 2, v[7:8]
	v_lshlrev_b64 v[42:43], 2, v[9:10]
	v_lshlrev_b64 v[44:45], 2, v[11:12]
	v_lshlrev_b64 v[46:47], 2, v[15:16]
	v_lshlrev_b64 v[48:49], 2, v[19:20]
	v_lshlrev_b64 v[50:51], 2, v[23:24]
	v_lshlrev_b64 v[52:53], 2, v[0:1]
	v_lshlrev_b64 v[54:55], 2, v[13:14]
	v_lshlrev_b64 v[56:57], 2, v[17:18]
	v_lshlrev_b64 v[58:59], 2, v[21:22]
	v_lshlrev_b64 v[60:61], 2, v[25:26]
	v_lshlrev_b64 v[62:63], 2, v[27:28]
	v_lshlrev_b64 v[64:65], 2, v[29:30]
	v_lshlrev_b64 v[66:67], 2, v[66:67]
	v_mul_u32_u24_e32 v74, 0x210, v32
	v_add_nc_u32_e32 v83, 0x840, v79
	v_add_nc_u32_e32 v84, 0x1080, v79
	;; [unrolled: 1-line block ×7, first 2 shown]
	v_lshl_add_u32 v93, v32, 1, v77
	v_add_nc_u32_e32 v94, 0x800, v82
	v_add_nc_u32_e32 v95, 0x1000, v82
	;; [unrolled: 1-line block ×7, first 2 shown]
	v_xor_b32_e32 v80, 16, v70
	v_xor_b32_e32 v78, 8, v70
	;; [unrolled: 1-line block ×5, first 2 shown]
	v_add_nc_u32_e32 v102, 0x800, v101
	v_add_nc_u32_e32 v103, 0x1000, v101
	;; [unrolled: 1-line block ×7, first 2 shown]
	s_add_u32 s12, s0, 0xd0
	s_addc_u32 s13, s1, 0
.LBB23_9:                               ; =>This Inner Loop Header: Depth=1
	s_mul_hi_i32 s3, s9, s17
	s_mul_i32 s2, s9, s17
	v_mov_b32_e32 v113, 0
	s_lshl_b64 s[2:3], s[2:3], 2
	v_add_nc_u32_e32 v111, s9, v35
	s_add_u32 s8, s18, s2
	s_addc_u32 s22, s19, s3
	v_add_co_u32 v0, vcc_lo, s8, v38
	v_add_co_u32 v1, s2, s8, v40
	v_add_co_u32 v2, s3, s8, v42
	;; [unrolled: 1-line block ×7, first 2 shown]
	s_delay_alu instid0(VALU_DEP_1)
	v_add_co_ci_u32_e64 v10, s8, s22, v37, s8
	v_add_co_ci_u32_e32 v11, vcc_lo, s22, v39, vcc_lo
	v_add_co_ci_u32_e64 v13, vcc_lo, s22, v41, s2
	v_add_co_ci_u32_e64 v14, vcc_lo, s22, v43, s3
	;; [unrolled: 1-line block ×6, first 2 shown]
	v_add_co_u32 v4, vcc_lo, v0, v71
	v_add_co_u32 v0, s8, v9, v71
	v_add_co_u32 v8, s2, v1, v71
	v_add_co_ci_u32_e64 v1, s8, 0, v10, s8
	v_add_co_u32 v12, s3, v2, v71
	v_add_co_u32 v20, s5, v5, v71
	v_add_co_ci_u32_e32 v5, vcc_lo, 0, v11, vcc_lo
	v_add_co_u32 v16, s4, v3, v71
	v_add_co_u32 v24, s6, v6, v71
	v_add_co_u32 v28, s7, v7, v71
	v_add_co_ci_u32_e64 v9, vcc_lo, 0, v13, s2
	v_add_co_ci_u32_e64 v13, vcc_lo, 0, v14, s3
	;; [unrolled: 1-line block ×6, first 2 shown]
	s_clause 0x7
	global_load_b128 v[0:3], v[0:1], off
	global_load_b128 v[4:7], v[4:5], off
	;; [unrolled: 1-line block ×8, first 2 shown]
	v_ashrrev_i32_e32 v112, 31, v111
	s_mul_hi_i32 s3, s9, s16
	s_mul_i32 s2, s9, s16
	s_waitcnt vmcnt(7)
	ds_store_b128 v79, v[0:3]
	s_waitcnt vmcnt(6)
	ds_store_b128 v83, v[4:7]
	;; [unrolled: 2-line block ×8, first 2 shown]
	s_waitcnt lgkmcnt(0)
	s_barrier
	buffer_gl0_inv
	ds_load_b128 v[0:3], v74
	ds_load_b128 v[4:7], v81
	s_waitcnt lgkmcnt(0)
	;;#ASMSTART
	v_dot2_f32_f16 v113, v0, v4, v113
	;;#ASMEND
	;;#ASMSTART
	v_dot2_f32_f16 v113, v1, v5, v113
	;;#ASMEND
	;;#ASMSTART
	v_dot2_f32_f16 v113, v2, v6, v113
	;;#ASMEND
	;;#ASMSTART
	v_dot2_f32_f16 v113, v3, v7, v113
	;;#ASMEND
	ds_load_b128 v[0:3], v74 offset:16
	ds_load_b128 v[4:7], v81 offset:16
	s_waitcnt lgkmcnt(0)
	;;#ASMSTART
	v_dot2_f32_f16 v113, v0, v4, v113
	;;#ASMEND
	;;#ASMSTART
	v_dot2_f32_f16 v113, v1, v5, v113
	;;#ASMEND
	;;#ASMSTART
	v_dot2_f32_f16 v113, v2, v6, v113
	;;#ASMEND
	;;#ASMSTART
	v_dot2_f32_f16 v113, v3, v7, v113
	;;#ASMEND
	ds_load_b128 v[0:3], v74 offset:32
	ds_load_b128 v[4:7], v81 offset:32
	;; [unrolled: 15-line block ×31, first 2 shown]
	v_lshlrev_b64 v[111:112], 1, v[111:112]
	s_waitcnt lgkmcnt(0)
	;;#ASMSTART
	v_dot2_f32_f16 v113, v0, v4, v113
	;;#ASMEND
	s_delay_alu instid0(VALU_DEP_1) | instskip(NEXT) | instid1(VALU_DEP_2)
	v_add_co_u32 v111, vcc_lo, s36, v111
	v_add_co_ci_u32_e32 v112, vcc_lo, s37, v112, vcc_lo
	;;#ASMSTART
	v_dot2_f32_f16 v113, v1, v5, v113
	;;#ASMEND
	;;#ASMSTART
	v_dot2_f32_f16 v113, v2, v6, v113
	;;#ASMEND
	;;#ASMSTART
	v_dot2_f32_f16 v113, v3, v7, v113
	;;#ASMEND
	flat_load_u16 v111, v[111:112]
	v_mov_b32_e32 v112, v34
	s_lshl_b64 s[2:3], s[2:3], 2
	s_waitcnt vmcnt(0) lgkmcnt(0)
	s_add_u32 s8, s20, s2
	s_addc_u32 s22, s21, s3
	v_add_co_u32 v0, vcc_lo, s8, v54
	v_add_co_u32 v1, s2, s8, v56
	v_add_co_u32 v2, s3, s8, v58
	;; [unrolled: 1-line block ×7, first 2 shown]
	s_delay_alu instid0(VALU_DEP_1)
	v_add_co_ci_u32_e64 v10, s8, s22, v53, s8
	v_add_co_ci_u32_e32 v11, vcc_lo, s22, v55, vcc_lo
	v_add_co_ci_u32_e64 v13, vcc_lo, s22, v57, s2
	v_add_co_ci_u32_e64 v14, vcc_lo, s22, v59, s3
	;; [unrolled: 1-line block ×6, first 2 shown]
	v_add_co_u32 v4, vcc_lo, v0, v71
	v_add_co_u32 v0, s8, v9, v71
	v_add_co_u32 v8, s2, v1, v71
	v_add_co_ci_u32_e64 v1, s8, 0, v10, s8
	v_add_co_u32 v12, s3, v2, v71
	v_add_co_u32 v20, s5, v5, v71
	v_add_co_ci_u32_e32 v5, vcc_lo, 0, v11, vcc_lo
	v_add_co_u32 v16, s4, v3, v71
	v_add_co_u32 v24, s6, v6, v71
	;; [unrolled: 1-line block ×3, first 2 shown]
	v_add_co_ci_u32_e64 v9, vcc_lo, 0, v13, s2
	v_add_co_ci_u32_e64 v13, vcc_lo, 0, v14, s3
	;; [unrolled: 1-line block ×6, first 2 shown]
	s_barrier
	buffer_gl0_inv
	s_clause 0x7
	global_load_b128 v[0:3], v[0:1], off
	global_load_b128 v[4:7], v[4:5], off
	;; [unrolled: 1-line block ×8, first 2 shown]
	v_cmp_gt_i32_e32 vcc_lo, 32, v80
	v_max_f32_e32 v118, v112, v112
	v_cndmask_b32_e32 v34, v70, v80, vcc_lo
	v_cmp_gt_i32_e32 vcc_lo, 32, v78
	s_delay_alu instid0(VALU_DEP_2) | instskip(SKIP_4) | instid1(VALU_DEP_2)
	v_lshlrev_b32_e32 v34, 2, v34
	v_cndmask_b32_e32 v114, v70, v78, vcc_lo
	v_cmp_gt_i32_e32 vcc_lo, 32, v76
	v_cndmask_b32_e32 v115, v70, v76, vcc_lo
	v_cmp_gt_i32_e32 vcc_lo, 32, v75
	v_lshlrev_b32_e32 v115, 2, v115
	v_cndmask_b32_e32 v116, v70, v75, vcc_lo
	v_cmp_gt_i32_e32 vcc_lo, 32, v73
	v_cndmask_b32_e32 v117, v70, v73, vcc_lo
	s_delay_alu instid0(VALU_DEP_1) | instskip(SKIP_1) | instid1(VALU_DEP_1)
	v_lshlrev_b32_e32 v117, 2, v117
	v_cvt_f32_f16_e32 v111, v111
	v_dual_add_f32 v111, v113, v111 :: v_dual_lshlrev_b32 v114, 2, v114
	s_delay_alu instid0(VALU_DEP_1) | instskip(NEXT) | instid1(VALU_DEP_1)
	v_dual_add_f32 v113, 0x40051340, v111 :: v_dual_lshlrev_b32 v116, 2, v116
	v_max_f32_e32 v113, v118, v113
	ds_bpermute_b32 v34, v34, v113
	s_waitcnt lgkmcnt(0)
	v_max_f32_e32 v34, v34, v34
	s_delay_alu instid0(VALU_DEP_1) | instskip(SKIP_3) | instid1(VALU_DEP_1)
	v_max_f32_e32 v34, v113, v34
	ds_bpermute_b32 v113, v114, v34
	s_waitcnt lgkmcnt(0)
	v_max_f32_e32 v113, v113, v113
	v_max_f32_e32 v34, v34, v113
	ds_bpermute_b32 v113, v115, v34
	s_waitcnt lgkmcnt(0)
	v_max_f32_e32 v113, v113, v113
	s_delay_alu instid0(VALU_DEP_1) | instskip(SKIP_3) | instid1(VALU_DEP_1)
	v_max_f32_e32 v34, v34, v113
	ds_bpermute_b32 v113, v116, v34
	s_waitcnt lgkmcnt(0)
	v_max_f32_e32 v113, v113, v113
	v_max_f32_e32 v34, v34, v113
	ds_bpermute_b32 v113, v117, v34
	s_waitcnt lgkmcnt(0)
	v_max_f32_e32 v113, v113, v113
	s_delay_alu instid0(VALU_DEP_1) | instskip(NEXT) | instid1(VALU_DEP_1)
	v_max_f32_e32 v34, v34, v113
	v_sub_f32_e32 v112, v112, v34
	s_delay_alu instid0(VALU_DEP_1) | instskip(SKIP_1) | instid1(VALU_DEP_2)
	v_mul_f32_e32 v113, 0x3fb8aa3b, v112
	v_cmp_ngt_f32_e64 s2, 0xc2ce8ed0, v112
	v_fma_f32 v115, 0x3fb8aa3b, v112, -v113
	v_rndne_f32_e32 v116, v113
	s_delay_alu instid0(VALU_DEP_2) | instskip(NEXT) | instid1(VALU_DEP_2)
	v_fmac_f32_e32 v115, 0x32a5705f, v112
	v_sub_f32_e32 v113, v113, v116
	v_cvt_i32_f32_e32 v116, v116
	s_delay_alu instid0(VALU_DEP_2) | instskip(SKIP_1) | instid1(VALU_DEP_2)
	v_add_f32_e32 v113, v113, v115
	v_sub_f32_e32 v111, v111, v34
	v_exp_f32_e32 v113, v113
	s_delay_alu instid0(VALU_DEP_1) | instskip(NEXT) | instid1(VALU_DEP_1)
	v_mul_f32_e32 v114, 0x3fb8aa3b, v111
	v_fma_f32 v117, 0x3fb8aa3b, v111, -v114
	v_rndne_f32_e32 v118, v114
	s_waitcnt_depctr 0xfff
	v_ldexp_f32 v113, v113, v116
	v_dual_fmac_f32 v117, 0x32a5705f, v111 :: v_dual_sub_f32 v114, v114, v118
	v_cvt_i32_f32_e32 v118, v118
	s_delay_alu instid0(VALU_DEP_3) | instskip(SKIP_1) | instid1(VALU_DEP_4)
	v_cndmask_b32_e64 v113, 0, v113, s2
	v_cmp_nlt_f32_e64 s2, 0x42b17218, v112
	v_add_f32_e32 v114, v114, v117
	v_cmp_ngt_f32_e32 vcc_lo, 0xc2ce8ed0, v111
	s_delay_alu instid0(VALU_DEP_3) | instskip(NEXT) | instid1(VALU_DEP_3)
	v_cndmask_b32_e64 v221, 0x7f800000, v113, s2
	v_exp_f32_e32 v114, v114
	s_delay_alu instid0(VALU_DEP_1) | instskip(NEXT) | instid1(VALU_DEP_1)
	v_cvt_f16_f32_e64 v223, v221
	v_pk_mul_f16 v224, v223, v110 op_sel_hi:[0,1]
	s_waitcnt_depctr 0xfff
	v_ldexp_f32 v114, v114, v118
	v_pk_mul_f16 v225, v223, v109 op_sel_hi:[0,1]
	s_delay_alu instid0(VALU_DEP_2) | instskip(SKIP_1) | instid1(VALU_DEP_2)
	v_cndmask_b32_e32 v114, 0, v114, vcc_lo
	v_cmp_nlt_f32_e32 vcc_lo, 0x42b17218, v111
	v_cndmask_b32_e32 v222, 0x7f800000, v114, vcc_lo
	s_delay_alu instid0(VALU_DEP_1)
	v_cvt_f16_f32_e64 v111, v222
	ds_store_b16 v93, v111
	s_waitcnt vmcnt(7)
	ds_store_b128 v82, v[0:3]
	s_waitcnt vmcnt(6)
	ds_store_b128 v94, v[4:7]
	;; [unrolled: 2-line block ×8, first 2 shown]
	s_waitcnt lgkmcnt(0)
	s_barrier
	buffer_gl0_inv
	ds_load_2addr_b64 v[0:3], v101 offset1:32
	ds_load_b128 v[4:7], v77
	ds_load_b128 v[8:11], v77 offset:16
	ds_load_b128 v[12:15], v77 offset:32
	;; [unrolled: 1-line block ×3, first 2 shown]
	ds_load_2addr_b64 v[20:23], v101 offset0:64 offset1:96
	ds_load_2addr_b64 v[24:27], v101 offset0:128 offset1:160
	ds_load_2addr_b64 v[28:31], v101 offset0:192 offset1:224
	ds_load_2addr_b64 v[109:112], v102 offset1:32
	ds_load_2addr_b64 v[113:116], v102 offset0:64 offset1:96
	ds_load_2addr_b64 v[117:120], v102 offset0:128 offset1:160
	ds_load_2addr_b64 v[121:124], v102 offset0:192 offset1:224
	ds_load_2addr_b64 v[125:128], v103 offset1:32
	;; [unrolled: 4-line block ×7, first 2 shown]
	ds_load_2addr_b64 v[209:212], v108 offset0:64 offset1:96
	ds_load_2addr_b64 v[213:216], v108 offset0:128 offset1:160
	;; [unrolled: 1-line block ×3, first 2 shown]
	s_waitcnt lgkmcnt(34)
	v_pk_mul_f16 v0, v0, v4 op_sel_hi:[1,0]
	v_pk_mul_f16 v1, v1, v4 op_sel_hi:[1,0]
	v_pk_fma_f16 v2, v2, v4, v224 op_sel_hi:[1,0,1]
	v_pk_fma_f16 v3, v3, v4, v225 op_sel_hi:[1,0,1]
	s_waitcnt lgkmcnt(0)
	v_pk_fma_f16 v0, v90, v223, v0 op_sel_hi:[1,0,1]
	v_pk_fma_f16 v1, v92, v223, v1 op_sel_hi:[1,0,1]
	v_pk_fma_f16 v2, v22, v4, v2 op_sel:[0,1,0]
	v_pk_fma_f16 v3, v23, v4, v3 op_sel:[0,1,0]
	s_barrier
	v_pk_fma_f16 v0, v20, v4, v0 op_sel:[0,1,0]
	v_pk_fma_f16 v1, v21, v4, v1 op_sel:[0,1,0]
	v_pk_fma_f16 v2, v26, v5, v2 op_sel_hi:[1,0,1]
	v_pk_fma_f16 v3, v27, v5, v3 op_sel_hi:[1,0,1]
	buffer_gl0_inv
	v_pk_fma_f16 v0, v24, v5, v0 op_sel_hi:[1,0,1]
	v_pk_fma_f16 v1, v25, v5, v1 op_sel_hi:[1,0,1]
	v_pk_fma_f16 v2, v30, v5, v2 op_sel:[0,1,0]
	v_pk_fma_f16 v3, v31, v5, v3 op_sel:[0,1,0]
	s_load_b32 s2, s[12:13], 0x4
	v_pk_fma_f16 v0, v28, v5, v0 op_sel:[0,1,0]
	v_pk_fma_f16 v1, v29, v5, v1 op_sel:[0,1,0]
	v_pk_fma_f16 v2, v111, v6, v2 op_sel_hi:[1,0,1]
	v_pk_fma_f16 v3, v112, v6, v3 op_sel_hi:[1,0,1]
	v_fma_f32 v91, v91, v221, v222
	v_pk_fma_f16 v0, v109, v6, v0 op_sel_hi:[1,0,1]
	v_pk_fma_f16 v1, v110, v6, v1 op_sel_hi:[1,0,1]
	v_pk_fma_f16 v2, v115, v6, v2 op_sel:[0,1,0]
	v_pk_fma_f16 v3, v116, v6, v3 op_sel:[0,1,0]
	s_delay_alu instid0(VALU_DEP_4) | instskip(NEXT) | instid1(VALU_DEP_4)
	v_pk_fma_f16 v0, v113, v6, v0 op_sel:[0,1,0]
	v_pk_fma_f16 v1, v114, v6, v1 op_sel:[0,1,0]
	s_delay_alu instid0(VALU_DEP_4) | instskip(NEXT) | instid1(VALU_DEP_4)
	v_pk_fma_f16 v2, v119, v7, v2 op_sel_hi:[1,0,1]
	v_pk_fma_f16 v3, v120, v7, v3 op_sel_hi:[1,0,1]
	s_delay_alu instid0(VALU_DEP_4) | instskip(NEXT) | instid1(VALU_DEP_4)
	v_pk_fma_f16 v0, v117, v7, v0 op_sel_hi:[1,0,1]
	v_pk_fma_f16 v1, v118, v7, v1 op_sel_hi:[1,0,1]
	s_delay_alu instid0(VALU_DEP_4) | instskip(NEXT) | instid1(VALU_DEP_4)
	v_pk_fma_f16 v2, v123, v7, v2 op_sel:[0,1,0]
	v_pk_fma_f16 v3, v124, v7, v3 op_sel:[0,1,0]
	s_waitcnt lgkmcnt(0)
	s_lshl_b32 s2, s2, 5
	v_pk_fma_f16 v0, v121, v7, v0 op_sel:[0,1,0]
	v_pk_fma_f16 v1, v122, v7, v1 op_sel:[0,1,0]
	v_pk_fma_f16 v2, v127, v8, v2 op_sel_hi:[1,0,1]
	v_pk_fma_f16 v3, v128, v8, v3 op_sel_hi:[1,0,1]
	s_add_i32 s9, s2, s9
	v_pk_fma_f16 v0, v125, v8, v0 op_sel_hi:[1,0,1]
	v_pk_fma_f16 v1, v126, v8, v1 op_sel_hi:[1,0,1]
	v_pk_fma_f16 v2, v131, v8, v2 op_sel:[0,1,0]
	v_pk_fma_f16 v3, v132, v8, v3 op_sel:[0,1,0]
	s_cmp_lt_i32 s9, s34
	v_pk_fma_f16 v0, v129, v8, v0 op_sel:[0,1,0]
	v_pk_fma_f16 v1, v130, v8, v1 op_sel:[0,1,0]
	v_pk_fma_f16 v2, v135, v9, v2 op_sel_hi:[1,0,1]
	v_pk_fma_f16 v3, v136, v9, v3 op_sel_hi:[1,0,1]
	s_delay_alu instid0(VALU_DEP_4) | instskip(NEXT) | instid1(VALU_DEP_4)
	v_pk_fma_f16 v0, v133, v9, v0 op_sel_hi:[1,0,1]
	v_pk_fma_f16 v1, v134, v9, v1 op_sel_hi:[1,0,1]
	s_delay_alu instid0(VALU_DEP_4) | instskip(NEXT) | instid1(VALU_DEP_4)
	v_pk_fma_f16 v2, v139, v9, v2 op_sel:[0,1,0]
	v_pk_fma_f16 v3, v140, v9, v3 op_sel:[0,1,0]
	s_delay_alu instid0(VALU_DEP_4) | instskip(NEXT) | instid1(VALU_DEP_4)
	v_pk_fma_f16 v0, v137, v9, v0 op_sel:[0,1,0]
	v_pk_fma_f16 v1, v138, v9, v1 op_sel:[0,1,0]
	s_delay_alu instid0(VALU_DEP_4) | instskip(NEXT) | instid1(VALU_DEP_4)
	v_pk_fma_f16 v2, v143, v10, v2 op_sel_hi:[1,0,1]
	v_pk_fma_f16 v3, v144, v10, v3 op_sel_hi:[1,0,1]
	s_delay_alu instid0(VALU_DEP_4) | instskip(NEXT) | instid1(VALU_DEP_4)
	v_pk_fma_f16 v0, v141, v10, v0 op_sel_hi:[1,0,1]
	v_pk_fma_f16 v1, v142, v10, v1 op_sel_hi:[1,0,1]
	s_delay_alu instid0(VALU_DEP_4) | instskip(NEXT) | instid1(VALU_DEP_4)
	v_pk_fma_f16 v2, v147, v10, v2 op_sel:[0,1,0]
	v_pk_fma_f16 v3, v148, v10, v3 op_sel:[0,1,0]
	s_delay_alu instid0(VALU_DEP_4) | instskip(NEXT) | instid1(VALU_DEP_4)
	v_pk_fma_f16 v0, v145, v10, v0 op_sel:[0,1,0]
	v_pk_fma_f16 v1, v146, v10, v1 op_sel:[0,1,0]
	s_delay_alu instid0(VALU_DEP_4) | instskip(NEXT) | instid1(VALU_DEP_4)
	;; [unrolled: 12-line block ×10, first 2 shown]
	v_pk_fma_f16 v2, v215, v19, v2 op_sel_hi:[1,0,1]
	v_pk_fma_f16 v3, v216, v19, v3 op_sel_hi:[1,0,1]
	s_delay_alu instid0(VALU_DEP_4) | instskip(NEXT) | instid1(VALU_DEP_4)
	v_pk_fma_f16 v0, v213, v19, v0 op_sel_hi:[1,0,1]
	v_pk_fma_f16 v1, v214, v19, v1 op_sel_hi:[1,0,1]
	s_delay_alu instid0(VALU_DEP_4) | instskip(NEXT) | instid1(VALU_DEP_4)
	v_pk_fma_f16 v110, v219, v19, v2 op_sel:[0,1,0]
	v_pk_fma_f16 v109, v220, v19, v3 op_sel:[0,1,0]
	s_delay_alu instid0(VALU_DEP_4) | instskip(NEXT) | instid1(VALU_DEP_4)
	v_pk_fma_f16 v90, v217, v19, v0 op_sel:[0,1,0]
	v_pk_fma_f16 v92, v218, v19, v1 op_sel:[0,1,0]
	s_cbranch_scc1 .LBB23_9
; %bb.10:
	v_mov_b32_e32 v0, v70
.LBB23_11:
	v_cmp_lt_i32_e32 vcc_lo, v80, v72
	s_cmp_eq_u64 s[24:25], 0
	s_cselect_b32 s2, -1, 0
	s_cmp_lg_u32 s14, 0
	v_cndmask_b32_e32 v1, v0, v80, vcc_lo
	v_cmp_lt_i32_e32 vcc_lo, v78, v72
	s_cselect_b32 s3, -1, 0
	s_delay_alu instid0(SALU_CYCLE_1) | instskip(SKIP_2) | instid1(VALU_DEP_2)
	s_or_b32 s2, s3, s2
	v_cndmask_b32_e32 v2, v0, v78, vcc_lo
	v_cmp_lt_i32_e32 vcc_lo, v76, v72
	v_lshlrev_b32_e32 v2, 2, v2
	v_lshlrev_b32_e32 v1, 2, v1
	v_cndmask_b32_e32 v3, v0, v76, vcc_lo
	v_cmp_lt_i32_e32 vcc_lo, v75, v72
	ds_bpermute_b32 v1, v1, v91
	v_lshlrev_b32_e32 v3, 2, v3
	s_waitcnt lgkmcnt(0)
	v_add_f32_e32 v1, v91, v1
	ds_bpermute_b32 v2, v2, v1
	s_waitcnt lgkmcnt(0)
	v_add_f32_e32 v1, v1, v2
	ds_bpermute_b32 v2, v3, v1
	v_cndmask_b32_e32 v3, v0, v75, vcc_lo
	v_cmp_lt_i32_e32 vcc_lo, v73, v72
	s_delay_alu instid0(VALU_DEP_2) | instskip(SKIP_2) | instid1(VALU_DEP_1)
	v_dual_cndmask_b32 v0, v0, v73 :: v_dual_lshlrev_b32 v3, 2, v3
	s_and_b32 vcc_lo, exec_lo, s2
	s_waitcnt lgkmcnt(0)
	v_dual_add_f32 v1, v1, v2 :: v_dual_lshlrev_b32 v0, 2, v0
	ds_bpermute_b32 v2, v3, v1
	s_waitcnt lgkmcnt(0)
	v_add_f32_e32 v1, v1, v2
	ds_bpermute_b32 v2, v0, v1
	s_waitcnt lgkmcnt(0)
	v_dual_add_f32 v35, v1, v2 :: v_dual_add_nc_u32 v0, s15, v69
	s_cbranch_vccnz .LBB23_13
; %bb.12:
	s_delay_alu instid0(VALU_DEP_1) | instskip(NEXT) | instid1(VALU_DEP_1)
	v_ashrrev_i32_e32 v1, 31, v0
	v_lshlrev_b64 v[1:2], 2, v[0:1]
	s_delay_alu instid0(VALU_DEP_1) | instskip(NEXT) | instid1(VALU_DEP_2)
	v_add_co_u32 v1, vcc_lo, s24, v1
	v_add_co_ci_u32_e32 v2, vcc_lo, s25, v2, vcc_lo
	global_load_b32 v1, v[1:2], off
	s_waitcnt vmcnt(0)
	v_dual_max_f32 v2, v34, v34 :: v_dual_max_f32 v3, v1, v1
	s_delay_alu instid0(VALU_DEP_1) | instskip(NEXT) | instid1(VALU_DEP_1)
	v_max_f32_e32 v2, v2, v3
	v_sub_f32_e32 v1, v1, v2
	s_delay_alu instid0(VALU_DEP_1) | instskip(SKIP_2) | instid1(VALU_DEP_3)
	v_mul_f32_e32 v5, 0x3fb8aa3b, v1
	v_sub_f32_e32 v3, v34, v2
	v_mov_b32_e32 v34, v2
	v_rndne_f32_e32 v9, v5
	s_delay_alu instid0(VALU_DEP_3) | instskip(SKIP_1) | instid1(VALU_DEP_3)
	v_mul_f32_e32 v4, 0x3fb8aa3b, v3
	v_fma_f32 v8, 0x3fb8aa3b, v1, -v5
	v_sub_f32_e32 v5, v5, v9
	s_delay_alu instid0(VALU_DEP_3) | instskip(SKIP_1) | instid1(VALU_DEP_4)
	v_fma_f32 v6, 0x3fb8aa3b, v3, -v4
	v_rndne_f32_e32 v7, v4
	v_fmac_f32_e32 v8, 0x32a5705f, v1
	s_delay_alu instid0(VALU_DEP_2) | instskip(NEXT) | instid1(VALU_DEP_2)
	v_sub_f32_e32 v4, v4, v7
	v_dual_fmac_f32 v6, 0x32a5705f, v3 :: v_dual_add_f32 v5, v5, v8
	v_cmp_ngt_f32_e32 vcc_lo, 0xc2ce8ed0, v3
	s_delay_alu instid0(VALU_DEP_2) | instskip(NEXT) | instid1(VALU_DEP_3)
	v_add_f32_e32 v4, v4, v6
	v_exp_f32_e32 v5, v5
	v_cvt_i32_f32_e32 v6, v7
	v_cvt_i32_f32_e32 v7, v9
	s_delay_alu instid0(VALU_DEP_3) | instskip(SKIP_3) | instid1(VALU_DEP_1)
	v_exp_f32_e32 v4, v4
	s_waitcnt_depctr 0xfff
	v_ldexp_f32 v5, v5, v7
	v_ldexp_f32 v4, v4, v6
	v_cndmask_b32_e32 v4, 0, v4, vcc_lo
	v_cmp_ngt_f32_e32 vcc_lo, 0xc2ce8ed0, v1
	s_delay_alu instid0(VALU_DEP_4) | instskip(SKIP_1) | instid1(VALU_DEP_4)
	v_cndmask_b32_e32 v5, 0, v5, vcc_lo
	v_cmp_nlt_f32_e32 vcc_lo, 0x42b17218, v3
	v_cndmask_b32_e32 v3, 0x7f800000, v4, vcc_lo
	v_cmp_nlt_f32_e32 vcc_lo, 0x42b17218, v1
	s_delay_alu instid0(VALU_DEP_2) | instskip(SKIP_1) | instid1(VALU_DEP_2)
	v_cvt_f16_f32_e32 v4, v3
	v_cndmask_b32_e32 v1, 0x7f800000, v5, vcc_lo
	v_pk_mul_f16 v90, v4, v90 op_sel_hi:[0,1]
	s_delay_alu instid0(VALU_DEP_2) | instskip(SKIP_3) | instid1(VALU_DEP_4)
	v_fmac_f32_e32 v1, v35, v3
	v_pk_mul_f16 v92, v4, v92 op_sel_hi:[0,1]
	v_pk_mul_f16 v110, v4, v110 op_sel_hi:[0,1]
	;; [unrolled: 1-line block ×3, first 2 shown]
	v_mov_b32_e32 v35, v1
.LBB23_13:
	s_delay_alu instid0(VALU_DEP_1) | instskip(SKIP_2) | instid1(VALU_DEP_2)
	v_div_scale_f32 v4, null, v35, v35, 1.0
	s_load_b32 s1, s[0:1], 0xd4
	v_mad_u64_u32 v[1:2], null, s33, s10, v[33:34]
	v_rcp_f32_e32 v5, v4
	v_div_scale_f32 v7, vcc_lo, 1.0, v35, 1.0
	v_lshrrev_b32_e32 v8, 16, v90
	v_lshrrev_b32_e32 v10, 16, v109
	;; [unrolled: 1-line block ×3, first 2 shown]
	v_mad_u64_u32 v[2:3], null, v1, s11, v[0:1]
	v_lshrrev_b32_e32 v3, 16, v92
	v_cvt_f32_f16_e32 v8, v8
	s_delay_alu instid0(TRANS32_DEP_1)
	v_fma_f32 v6, -v4, v5, 1.0
	v_cvt_f32_f16_e32 v13, v90
	v_cvt_f32_f16_e32 v14, v109
	;; [unrolled: 1-line block ×4, first 2 shown]
	v_fmac_f32_e32 v5, v6, v5
	v_cvt_f32_f16_e32 v6, v92
	s_waitcnt lgkmcnt(0)
	v_mad_u64_u32 v[0:1], null, s1, v2, s[14:15]
	s_delay_alu instid0(VALU_DEP_3)
	v_dual_mov_b32 v2, 0 :: v_dual_mul_f32 v9, v7, v5
	s_cmp_lg_u32 s1, 1
	v_cvt_f32_f16_e32 v17, v11
	s_cselect_b32 s1, -1, 0
	v_cmp_eq_u32_e64 s0, 0, v32
	v_fma_f32 v1, -v4, v9, v7
	s_delay_alu instid0(VALU_DEP_2) | instskip(NEXT) | instid1(VALU_DEP_1)
	s_and_b32 s0, s0, s1
	v_fmac_f32_e32 v9, v1, v5
	v_lshl_add_u32 v1, v0, 8, v68
	s_delay_alu instid0(VALU_DEP_2) | instskip(NEXT) | instid1(VALU_DEP_2)
	v_fma_f32 v7, -v4, v9, v7
	v_lshlrev_b64 v[3:4], 2, v[1:2]
	s_delay_alu instid0(VALU_DEP_2) | instskip(SKIP_1) | instid1(VALU_DEP_3)
	v_div_fmas_f32 v5, v7, v5, v9
	v_cvt_f32_f16_e32 v7, v10
	v_add_co_u32 v9, vcc_lo, s28, v3
	s_delay_alu instid0(VALU_DEP_4) | instskip(NEXT) | instid1(VALU_DEP_4)
	v_add_co_ci_u32_e32 v10, vcc_lo, s29, v4, vcc_lo
	v_div_fixup_f32 v5, v5, v35, 1.0
	s_delay_alu instid0(VALU_DEP_1) | instskip(NEXT) | instid1(VALU_DEP_1)
	v_cndmask_b32_e64 v5, v5, 1.0, s1
	v_dual_mul_f32 v4, v5, v16 :: v_dual_add_nc_u32 v1, 0x80, v1
	s_delay_alu instid0(VALU_DEP_1) | instskip(SKIP_2) | instid1(VALU_DEP_3)
	v_lshlrev_b64 v[1:2], 2, v[1:2]
	v_mul_f32_e32 v3, v5, v6
	v_mul_f32_e32 v6, v5, v17
	v_add_co_u32 v11, vcc_lo, s28, v1
	s_delay_alu instid0(VALU_DEP_4)
	v_add_co_ci_u32_e32 v12, vcc_lo, s29, v2, vcc_lo
	v_mul_f32_e32 v2, v5, v8
	v_mul_f32_e32 v1, v5, v13
	;; [unrolled: 1-line block ×5, first 2 shown]
	s_clause 0x1
	global_store_b128 v[9:10], v[1:4], off
	global_store_b128 v[11:12], v[5:8], off
	s_and_saveexec_b32 s1, s0
	s_cbranch_execz .LBB23_15
; %bb.14:
	v_ashrrev_i32_e32 v1, 31, v0
	s_delay_alu instid0(VALU_DEP_1) | instskip(NEXT) | instid1(VALU_DEP_1)
	v_lshlrev_b64 v[0:1], 3, v[0:1]
	v_add_co_u32 v0, vcc_lo, s30, v0
	s_delay_alu instid0(VALU_DEP_2)
	v_add_co_ci_u32_e32 v1, vcc_lo, s31, v1, vcc_lo
	global_store_b64 v[0:1], v[34:35], off
.LBB23_15:
	s_nop 0
	s_sendmsg sendmsg(MSG_DEALLOC_VGPRS)
	s_endpgm
	.section	.rodata,"a",@progbits
	.p2align	6, 0x0
	.amdhsa_kernel _ZL15flash_attn_tileILi256ELi256ELi1ELi4ELb0EEvPKcS1_S1_S1_S1_PKiPfP15HIP_vector_typeIfLj2EEffffjfiS5_IjLj3EEiiiiiiiiiiiliiliiiiil
		.amdhsa_group_segment_fixed_size 19200
		.amdhsa_private_segment_fixed_size 0
		.amdhsa_kernarg_size 464
		.amdhsa_user_sgpr_count 13
		.amdhsa_user_sgpr_dispatch_ptr 0
		.amdhsa_user_sgpr_queue_ptr 0
		.amdhsa_user_sgpr_kernarg_segment_ptr 1
		.amdhsa_user_sgpr_dispatch_id 0
		.amdhsa_user_sgpr_private_segment_size 0
		.amdhsa_wavefront_size32 1
		.amdhsa_uses_dynamic_stack 0
		.amdhsa_enable_private_segment 0
		.amdhsa_system_sgpr_workgroup_id_x 1
		.amdhsa_system_sgpr_workgroup_id_y 1
		.amdhsa_system_sgpr_workgroup_id_z 1
		.amdhsa_system_sgpr_workgroup_info 0
		.amdhsa_system_vgpr_workitem_id 1
		.amdhsa_next_free_vgpr 226
		.amdhsa_next_free_sgpr 42
		.amdhsa_reserve_vcc 1
		.amdhsa_float_round_mode_32 0
		.amdhsa_float_round_mode_16_64 0
		.amdhsa_float_denorm_mode_32 3
		.amdhsa_float_denorm_mode_16_64 3
		.amdhsa_dx10_clamp 1
		.amdhsa_ieee_mode 1
		.amdhsa_fp16_overflow 0
		.amdhsa_workgroup_processor_mode 1
		.amdhsa_memory_ordered 1
		.amdhsa_forward_progress 0
		.amdhsa_shared_vgpr_count 0
		.amdhsa_exception_fp_ieee_invalid_op 0
		.amdhsa_exception_fp_denorm_src 0
		.amdhsa_exception_fp_ieee_div_zero 0
		.amdhsa_exception_fp_ieee_overflow 0
		.amdhsa_exception_fp_ieee_underflow 0
		.amdhsa_exception_fp_ieee_inexact 0
		.amdhsa_exception_int_div_zero 0
	.end_amdhsa_kernel
	.section	.text._ZL15flash_attn_tileILi256ELi256ELi1ELi4ELb0EEvPKcS1_S1_S1_S1_PKiPfP15HIP_vector_typeIfLj2EEffffjfiS5_IjLj3EEiiiiiiiiiiiliiliiiiil,"axG",@progbits,_ZL15flash_attn_tileILi256ELi256ELi1ELi4ELb0EEvPKcS1_S1_S1_S1_PKiPfP15HIP_vector_typeIfLj2EEffffjfiS5_IjLj3EEiiiiiiiiiiiliiliiiiil,comdat
.Lfunc_end23:
	.size	_ZL15flash_attn_tileILi256ELi256ELi1ELi4ELb0EEvPKcS1_S1_S1_S1_PKiPfP15HIP_vector_typeIfLj2EEffffjfiS5_IjLj3EEiiiiiiiiiiiliiliiiiil, .Lfunc_end23-_ZL15flash_attn_tileILi256ELi256ELi1ELi4ELb0EEvPKcS1_S1_S1_S1_PKiPfP15HIP_vector_typeIfLj2EEffffjfiS5_IjLj3EEiiiiiiiiiiiliiliiiiil
                                        ; -- End function
	.section	.AMDGPU.csdata,"",@progbits
; Kernel info:
; codeLenInByte = 9100
; NumSgprs: 44
; NumVgprs: 226
; ScratchSize: 0
; MemoryBound: 0
; FloatMode: 240
; IeeeMode: 1
; LDSByteSize: 19200 bytes/workgroup (compile time only)
; SGPRBlocks: 5
; VGPRBlocks: 28
; NumSGPRsForWavesPerEU: 44
; NumVGPRsForWavesPerEU: 226
; Occupancy: 6
; WaveLimiterHint : 1
; COMPUTE_PGM_RSRC2:SCRATCH_EN: 0
; COMPUTE_PGM_RSRC2:USER_SGPR: 13
; COMPUTE_PGM_RSRC2:TRAP_HANDLER: 0
; COMPUTE_PGM_RSRC2:TGID_X_EN: 1
; COMPUTE_PGM_RSRC2:TGID_Y_EN: 1
; COMPUTE_PGM_RSRC2:TGID_Z_EN: 1
; COMPUTE_PGM_RSRC2:TIDIG_COMP_CNT: 1
	.section	.text._ZL33flash_attn_stream_k_fixup_uniformILi256ELi1ELi4EEvPfPK15HIP_vector_typeIfLj2EEiiiiiiS1_IjLj3EES5_S5_,"axG",@progbits,_ZL33flash_attn_stream_k_fixup_uniformILi256ELi1ELi4EEvPfPK15HIP_vector_typeIfLj2EEiiiiiiS1_IjLj3EES5_S5_,comdat
	.globl	_ZL33flash_attn_stream_k_fixup_uniformILi256ELi1ELi4EEvPfPK15HIP_vector_typeIfLj2EEiiiiiiS1_IjLj3EES5_S5_ ; -- Begin function _ZL33flash_attn_stream_k_fixup_uniformILi256ELi1ELi4EEvPfPK15HIP_vector_typeIfLj2EEiiiiiiS1_IjLj3EES5_S5_
	.p2align	8
	.type	_ZL33flash_attn_stream_k_fixup_uniformILi256ELi1ELi4EEvPfPK15HIP_vector_typeIfLj2EEiiiiiiS1_IjLj3EES5_S5_,@function
_ZL33flash_attn_stream_k_fixup_uniformILi256ELi1ELi4EEvPfPK15HIP_vector_typeIfLj2EEiiiiiiS1_IjLj3EES5_S5_: ; @_ZL33flash_attn_stream_k_fixup_uniformILi256ELi1ELi4EEvPfPK15HIP_vector_typeIfLj2EEiiiiiiS1_IjLj3EES5_S5_
; %bb.0:
	s_clause 0x1
	s_load_b256 s[4:11], s[0:1], 0x1c
	s_load_b128 s[16:19], s[0:1], 0x3c
	s_waitcnt lgkmcnt(0)
	s_mul_hi_u32 s2, s7, s13
	s_delay_alu instid0(SALU_CYCLE_1) | instskip(NEXT) | instid1(SALU_CYCLE_1)
	s_add_i32 s2, s13, s2
	s_lshr_b32 s7, s2, s8
	s_delay_alu instid0(SALU_CYCLE_1) | instskip(SKIP_2) | instid1(SALU_CYCLE_1)
	s_mul_i32 s2, s7, s9
	s_load_b64 s[8:9], s[0:1], 0x10
	s_sub_i32 s2, s13, s2
	s_mul_hi_u32 s3, s2, s10
	s_delay_alu instid0(SALU_CYCLE_1) | instskip(NEXT) | instid1(SALU_CYCLE_1)
	s_add_i32 s3, s2, s3
	s_lshr_b32 s10, s3, s11
	s_delay_alu instid0(SALU_CYCLE_1) | instskip(NEXT) | instid1(SALU_CYCLE_1)
	s_mul_i32 s3, s10, s16
	s_sub_i32 s2, s2, s3
	s_delay_alu instid0(SALU_CYCLE_1) | instskip(NEXT) | instid1(SALU_CYCLE_1)
	s_mul_hi_u32 s3, s2, s17
	s_add_i32 s3, s2, s3
	s_delay_alu instid0(SALU_CYCLE_1) | instskip(NEXT) | instid1(SALU_CYCLE_1)
	s_lshr_b32 s3, s3, s18
	s_mul_i32 s11, s3, s19
	s_lshl_b32 s12, s3, 2
	s_sub_i32 s11, s2, s11
	s_delay_alu instid0(SALU_CYCLE_1) | instskip(SKIP_4) | instid1(SALU_CYCLE_1)
	s_add_i32 s11, s11, s14
	s_waitcnt lgkmcnt(0)
	s_cmp_lt_i32 s11, s8
	s_cselect_b32 s2, -1, 0
	s_add_i32 s12, s12, s15
	s_cmp_lt_i32 s12, s5
	s_cselect_b32 s3, -1, 0
	s_delay_alu instid0(SALU_CYCLE_1) | instskip(NEXT) | instid1(SALU_CYCLE_1)
	s_and_b32 s2, s2, s3
	s_and_not1_b32 vcc_lo, exec_lo, s2
	s_cbranch_vccnz .LBB24_6
; %bb.1:
	s_mul_i32 s7, s7, s8
	s_mul_i32 s10, s10, s5
	s_add_i32 s5, s11, s7
	s_load_b128 s[0:3], s[0:1], 0x0
	s_add_i32 s7, s12, s10
	s_mul_i32 s5, s5, s9
	s_delay_alu instid0(SALU_CYCLE_1) | instskip(SKIP_3) | instid1(VALU_DEP_1)
	s_add_i32 s7, s7, s5
	s_mul_i32 s5, s13, s6
	v_lshl_or_b32 v1, s7, 8, v0
	s_add_i32 s9, s5, s6
	v_ashrrev_i32_e32 v2, 31, v1
	s_delay_alu instid0(VALU_DEP_1) | instskip(SKIP_1) | instid1(VALU_DEP_1)
	v_lshlrev_b64 v[1:2], 2, v[1:2]
	s_waitcnt lgkmcnt(0)
	v_add_co_u32 v1, vcc_lo, s0, v1
	s_delay_alu instid0(VALU_DEP_2) | instskip(SKIP_1) | instid1(SALU_CYCLE_1)
	v_add_co_ci_u32_e32 v2, vcc_lo, s1, v2, vcc_lo
	s_add_i32 s0, s14, s9
	s_lshl_b32 s0, s0, 2
	global_load_b32 v5, v[1:2], off
	s_add_i32 s0, s0, s15
	s_delay_alu instid0(SALU_CYCLE_1) | instskip(NEXT) | instid1(SALU_CYCLE_1)
	s_add_i32 s0, s0, -4
	s_ashr_i32 s1, s0, 31
	s_delay_alu instid0(SALU_CYCLE_1) | instskip(NEXT) | instid1(SALU_CYCLE_1)
	s_lshl_b64 s[0:1], s[0:1], 3
	s_add_u32 s0, s2, s0
	s_addc_u32 s1, s3, s1
	s_add_i32 s7, s9, -2
	s_load_b32 s10, s[0:1], 0x4
	s_cmp_lt_i32 s7, s5
	s_cbranch_scc1 .LBB24_4
; %bb.2:
	s_lshl_b32 s16, s4, 4
	s_load_b32 s11, s[0:1], 0x0
	s_ashr_i32 s17, s16, 31
	s_delay_alu instid0(SALU_CYCLE_1) | instskip(NEXT) | instid1(SALU_CYCLE_1)
	s_lshl_b64 s[0:1], s[16:17], 2
	s_add_u32 s7, s2, s0
	s_addc_u32 s8, s3, s1
	s_add_i32 s13, s13, 1
	s_lshl_b32 s0, s15, 8
	s_lshl_b32 s1, s14, 10
	s_mul_i32 s6, s6, s13
	s_add_i32 s0, s0, s1
	s_lshl_b32 s1, s6, 10
	s_delay_alu instid0(SALU_CYCLE_1)
	s_add_i32 s0, s0, s1
	s_add_i32 s1, s14, s4
	v_or_b32_e32 v0, s0, v0
	s_add_i32 s1, s1, s9
	s_waitcnt lgkmcnt(0)
	v_mov_b32_e32 v6, s10
	s_lshl_b32 s0, s1, 2
	s_add_i32 s4, s9, -1
	v_dual_mov_b32 v0, s11 :: v_dual_add_nc_u32 v3, 0xfffff800, v0
	s_add_i32 s0, s15, s0
	s_delay_alu instid0(SALU_CYCLE_1)
	s_add_i32 s0, s0, -8
.LBB24_3:                               ; =>This Inner Loop Header: Depth=1
	s_delay_alu instid0(VALU_DEP_1) | instskip(SKIP_1) | instid1(SALU_CYCLE_1)
	v_ashrrev_i32_e32 v4, 31, v3
	s_ashr_i32 s1, s0, 31
	s_lshl_b64 s[10:11], s[0:1], 3
	s_delay_alu instid0(SALU_CYCLE_1) | instskip(NEXT) | instid1(VALU_DEP_1)
	s_add_u32 s10, s2, s10
	v_lshlrev_b64 v[7:8], 2, v[3:4]
	s_addc_u32 s11, s3, s11
	s_add_i32 s4, s4, -1
	s_add_i32 s0, s0, -4
	s_cmp_le_i32 s4, s5
	s_load_b64 s[10:11], s[10:11], 0x0
	v_add_co_u32 v7, vcc_lo, s7, v7
	v_add_co_ci_u32_e32 v8, vcc_lo, s8, v8, vcc_lo
	global_load_b32 v4, v[7:8], off
	v_max_f32_e32 v7, v0, v0
	s_waitcnt lgkmcnt(0)
	v_max_f32_e64 v8, s10, s10
	s_delay_alu instid0(VALU_DEP_1) | instskip(NEXT) | instid1(VALU_DEP_1)
	v_max_f32_e32 v7, v7, v8
	v_sub_f32_e32 v8, s10, v7
	s_delay_alu instid0(VALU_DEP_1) | instskip(NEXT) | instid1(VALU_DEP_1)
	v_dual_sub_f32 v0, v0, v7 :: v_dual_mul_f32 v9, 0x3fb8aa3b, v8
	v_fma_f32 v10, 0x3fb8aa3b, v8, -v9
	v_rndne_f32_e32 v11, v9
	s_delay_alu instid0(VALU_DEP_3) | instskip(NEXT) | instid1(VALU_DEP_2)
	v_mul_f32_e32 v12, 0x3fb8aa3b, v0
	v_dual_fmac_f32 v10, 0x32a5705f, v8 :: v_dual_sub_f32 v9, v9, v11
	v_cvt_i32_f32_e32 v11, v11
	s_delay_alu instid0(VALU_DEP_3) | instskip(SKIP_1) | instid1(VALU_DEP_4)
	v_fma_f32 v13, 0x3fb8aa3b, v0, -v12
	v_rndne_f32_e32 v14, v12
	v_add_f32_e32 v9, v9, v10
	v_cmp_ngt_f32_e32 vcc_lo, 0xc2ce8ed0, v8
	s_delay_alu instid0(VALU_DEP_3) | instskip(NEXT) | instid1(VALU_DEP_3)
	v_sub_f32_e32 v10, v12, v14
	v_exp_f32_e32 v9, v9
	s_waitcnt_depctr 0xfff
	v_ldexp_f32 v9, v9, v11
	v_cvt_i32_f32_e32 v11, v14
	s_delay_alu instid0(VALU_DEP_2) | instskip(SKIP_1) | instid1(VALU_DEP_2)
	v_cndmask_b32_e32 v9, 0, v9, vcc_lo
	v_cmp_nlt_f32_e32 vcc_lo, 0x42b17218, v8
	v_cndmask_b32_e32 v9, 0x7f800000, v9, vcc_lo
	v_cmp_ngt_f32_e32 vcc_lo, 0xc2ce8ed0, v0
	v_fmac_f32_e32 v13, 0x32a5705f, v0
	s_delay_alu instid0(VALU_DEP_1) | instskip(NEXT) | instid1(VALU_DEP_1)
	v_add_f32_e32 v10, v10, v13
	v_exp_f32_e32 v10, v10
	s_waitcnt_depctr 0xfff
	v_ldexp_f32 v10, v10, v11
	s_delay_alu instid0(VALU_DEP_1)
	v_dual_mov_b32 v11, v6 :: v_dual_cndmask_b32 v10, 0, v10
	v_cmp_le_f32_e32 vcc_lo, 0xc1a00000, v8
	s_waitcnt vmcnt(1)
	v_dual_cndmask_b32 v8, 0, v9 :: v_dual_mov_b32 v9, v5
	v_cmp_nlt_f32_e32 vcc_lo, 0x42b17218, v0
	v_cndmask_b32_e32 v5, 0x7f800000, v10, vcc_lo
	s_delay_alu instid0(VALU_DEP_3) | instskip(SKIP_2) | instid1(VALU_DEP_3)
	v_mul_f32_e32 v10, s11, v8
	v_cmp_le_f32_e32 vcc_lo, 0xc1a00000, v0
	v_mov_b32_e32 v0, v7
	v_mov_b32_e32 v6, v10
	s_waitcnt vmcnt(0)
	v_dual_cndmask_b32 v12, 0, v5 :: v_dual_mul_f32 v5, v4, v8
	s_delay_alu instid0(VALU_DEP_1) | instskip(NEXT) | instid1(VALU_DEP_2)
	v_dual_fmac_f32 v6, v11, v12 :: v_dual_add_nc_u32 v3, 0xfffffc00, v3
	v_fmac_f32_e32 v5, v9, v12
	s_cbranch_scc0 .LBB24_3
	s_branch .LBB24_5
.LBB24_4:
	s_waitcnt lgkmcnt(0)
	v_mov_b32_e32 v6, s10
.LBB24_5:
	s_waitcnt vmcnt(0)
	s_delay_alu instid0(VALU_DEP_1) | instskip(NEXT) | instid1(VALU_DEP_1)
	v_div_scale_f32 v0, null, v6, v6, v5
	v_rcp_f32_e32 v3, v0
	s_waitcnt_depctr 0xfff
	v_fma_f32 v4, -v0, v3, 1.0
	s_delay_alu instid0(VALU_DEP_1) | instskip(SKIP_1) | instid1(VALU_DEP_1)
	v_fmac_f32_e32 v3, v4, v3
	v_div_scale_f32 v4, vcc_lo, v5, v6, v5
	v_mul_f32_e32 v7, v4, v3
	s_delay_alu instid0(VALU_DEP_1) | instskip(NEXT) | instid1(VALU_DEP_1)
	v_fma_f32 v8, -v0, v7, v4
	v_fmac_f32_e32 v7, v8, v3
	s_delay_alu instid0(VALU_DEP_1) | instskip(NEXT) | instid1(VALU_DEP_1)
	v_fma_f32 v0, -v0, v7, v4
	v_div_fmas_f32 v0, v0, v3, v7
	s_delay_alu instid0(VALU_DEP_1)
	v_div_fixup_f32 v0, v0, v6, v5
	global_store_b32 v[1:2], v0, off
.LBB24_6:
	s_nop 0
	s_sendmsg sendmsg(MSG_DEALLOC_VGPRS)
	s_endpgm
	.section	.rodata,"a",@progbits
	.p2align	6, 0x0
	.amdhsa_kernel _ZL33flash_attn_stream_k_fixup_uniformILi256ELi1ELi4EEvPfPK15HIP_vector_typeIfLj2EEiiiiiiS1_IjLj3EES5_S5_
		.amdhsa_group_segment_fixed_size 0
		.amdhsa_private_segment_fixed_size 0
		.amdhsa_kernarg_size 76
		.amdhsa_user_sgpr_count 13
		.amdhsa_user_sgpr_dispatch_ptr 0
		.amdhsa_user_sgpr_queue_ptr 0
		.amdhsa_user_sgpr_kernarg_segment_ptr 1
		.amdhsa_user_sgpr_dispatch_id 0
		.amdhsa_user_sgpr_private_segment_size 0
		.amdhsa_wavefront_size32 1
		.amdhsa_uses_dynamic_stack 0
		.amdhsa_enable_private_segment 0
		.amdhsa_system_sgpr_workgroup_id_x 1
		.amdhsa_system_sgpr_workgroup_id_y 1
		.amdhsa_system_sgpr_workgroup_id_z 1
		.amdhsa_system_sgpr_workgroup_info 0
		.amdhsa_system_vgpr_workitem_id 0
		.amdhsa_next_free_vgpr 15
		.amdhsa_next_free_sgpr 20
		.amdhsa_reserve_vcc 1
		.amdhsa_float_round_mode_32 0
		.amdhsa_float_round_mode_16_64 0
		.amdhsa_float_denorm_mode_32 3
		.amdhsa_float_denorm_mode_16_64 3
		.amdhsa_dx10_clamp 1
		.amdhsa_ieee_mode 1
		.amdhsa_fp16_overflow 0
		.amdhsa_workgroup_processor_mode 1
		.amdhsa_memory_ordered 1
		.amdhsa_forward_progress 0
		.amdhsa_shared_vgpr_count 0
		.amdhsa_exception_fp_ieee_invalid_op 0
		.amdhsa_exception_fp_denorm_src 0
		.amdhsa_exception_fp_ieee_div_zero 0
		.amdhsa_exception_fp_ieee_overflow 0
		.amdhsa_exception_fp_ieee_underflow 0
		.amdhsa_exception_fp_ieee_inexact 0
		.amdhsa_exception_int_div_zero 0
	.end_amdhsa_kernel
	.section	.text._ZL33flash_attn_stream_k_fixup_uniformILi256ELi1ELi4EEvPfPK15HIP_vector_typeIfLj2EEiiiiiiS1_IjLj3EES5_S5_,"axG",@progbits,_ZL33flash_attn_stream_k_fixup_uniformILi256ELi1ELi4EEvPfPK15HIP_vector_typeIfLj2EEiiiiiiS1_IjLj3EES5_S5_,comdat
.Lfunc_end24:
	.size	_ZL33flash_attn_stream_k_fixup_uniformILi256ELi1ELi4EEvPfPK15HIP_vector_typeIfLj2EEiiiiiiS1_IjLj3EES5_S5_, .Lfunc_end24-_ZL33flash_attn_stream_k_fixup_uniformILi256ELi1ELi4EEvPfPK15HIP_vector_typeIfLj2EEiiiiiiS1_IjLj3EES5_S5_
                                        ; -- End function
	.section	.AMDGPU.csdata,"",@progbits
; Kernel info:
; codeLenInByte = 968
; NumSgprs: 22
; NumVgprs: 15
; ScratchSize: 0
; MemoryBound: 0
; FloatMode: 240
; IeeeMode: 1
; LDSByteSize: 0 bytes/workgroup (compile time only)
; SGPRBlocks: 2
; VGPRBlocks: 1
; NumSGPRsForWavesPerEU: 22
; NumVGPRsForWavesPerEU: 15
; Occupancy: 16
; WaveLimiterHint : 0
; COMPUTE_PGM_RSRC2:SCRATCH_EN: 0
; COMPUTE_PGM_RSRC2:USER_SGPR: 13
; COMPUTE_PGM_RSRC2:TRAP_HANDLER: 0
; COMPUTE_PGM_RSRC2:TGID_X_EN: 1
; COMPUTE_PGM_RSRC2:TGID_Y_EN: 1
; COMPUTE_PGM_RSRC2:TGID_Z_EN: 1
; COMPUTE_PGM_RSRC2:TIDIG_COMP_CNT: 0
	.section	.text._ZL33flash_attn_stream_k_fixup_generalILi256ELi1ELi4EEvPfPK15HIP_vector_typeIfLj2EEiiiiS1_IjLj3EES5_S5_S5_,"axG",@progbits,_ZL33flash_attn_stream_k_fixup_generalILi256ELi1ELi4EEvPfPK15HIP_vector_typeIfLj2EEiiiiS1_IjLj3EES5_S5_S5_,comdat
	.globl	_ZL33flash_attn_stream_k_fixup_generalILi256ELi1ELi4EEvPfPK15HIP_vector_typeIfLj2EEiiiiS1_IjLj3EES5_S5_S5_ ; -- Begin function _ZL33flash_attn_stream_k_fixup_generalILi256ELi1ELi4EEvPfPK15HIP_vector_typeIfLj2EEiiiiS1_IjLj3EES5_S5_S5_
	.p2align	8
	.type	_ZL33flash_attn_stream_k_fixup_generalILi256ELi1ELi4EEvPfPK15HIP_vector_typeIfLj2EEiiiiS1_IjLj3EES5_S5_S5_,@function
_ZL33flash_attn_stream_k_fixup_generalILi256ELi1ELi4EEvPfPK15HIP_vector_typeIfLj2EEiiiiS1_IjLj3EES5_S5_S5_: ; @_ZL33flash_attn_stream_k_fixup_generalILi256ELi1ELi4EEvPfPK15HIP_vector_typeIfLj2EEiiiiS1_IjLj3EES5_S5_S5_
; %bb.0:
	s_clause 0x1
	s_load_b128 s[4:7], s[0:1], 0x10
	s_load_b32 s20, s[0:1], 0x50
	s_mov_b32 s2, 0
	s_waitcnt lgkmcnt(0)
	s_mul_hi_i32 s3, s7, s13
	s_mul_i32 s12, s7, s13
	s_cmp_lg_u64 s[2:3], 0
	s_cbranch_scc0 .LBB25_21
; %bb.1:
	v_cvt_f32_ubyte0_e32 v1, 0
	v_cvt_f32_u32_e32 v2, s20
	s_sub_u32 s10, 0, s20
	s_subb_u32 s11, 0, 0
	s_delay_alu instid0(VALU_DEP_1) | instskip(NEXT) | instid1(VALU_DEP_1)
	v_fmamk_f32 v1, v1, 0x4f800000, v2
	v_rcp_f32_e32 v1, v1
	s_waitcnt_depctr 0xfff
	v_mul_f32_e32 v1, 0x5f7ffffc, v1
	s_delay_alu instid0(VALU_DEP_1) | instskip(NEXT) | instid1(VALU_DEP_1)
	v_mul_f32_e32 v2, 0x2f800000, v1
	v_trunc_f32_e32 v2, v2
	s_delay_alu instid0(VALU_DEP_1) | instskip(SKIP_1) | instid1(VALU_DEP_2)
	v_fmamk_f32 v1, v2, 0xcf800000, v1
	v_cvt_u32_f32_e32 v2, v2
	v_cvt_u32_f32_e32 v1, v1
	s_delay_alu instid0(VALU_DEP_2) | instskip(NEXT) | instid1(VALU_DEP_2)
	v_readfirstlane_b32 s8, v2
	v_readfirstlane_b32 s9, v1
	s_delay_alu instid0(VALU_DEP_2) | instskip(NEXT) | instid1(VALU_DEP_1)
	s_mul_i32 s16, s10, s8
	s_mul_hi_u32 s18, s10, s9
	s_mul_i32 s17, s11, s9
	s_add_i32 s16, s18, s16
	s_mul_i32 s19, s10, s9
	s_add_i32 s16, s16, s17
	s_mul_hi_u32 s18, s9, s19
	s_mul_hi_u32 s21, s8, s19
	s_mul_i32 s17, s8, s19
	s_mul_hi_u32 s19, s9, s16
	s_mul_i32 s9, s9, s16
	s_mul_hi_u32 s22, s8, s16
	s_add_u32 s9, s18, s9
	s_addc_u32 s18, 0, s19
	s_add_u32 s9, s9, s17
	s_mul_i32 s16, s8, s16
	s_addc_u32 s9, s18, s21
	s_addc_u32 s17, s22, 0
	s_add_u32 s9, s9, s16
	s_addc_u32 s16, 0, s17
	v_add_co_u32 v1, s9, v1, s9
	s_delay_alu instid0(VALU_DEP_1) | instskip(SKIP_1) | instid1(VALU_DEP_1)
	s_cmp_lg_u32 s9, 0
	s_addc_u32 s8, s8, s16
	v_readfirstlane_b32 s9, v1
	s_mul_i32 s16, s10, s8
	s_delay_alu instid0(VALU_DEP_1)
	s_mul_hi_u32 s17, s10, s9
	s_mul_i32 s11, s11, s9
	s_add_i32 s16, s17, s16
	s_mul_i32 s10, s10, s9
	s_add_i32 s16, s16, s11
	s_mul_hi_u32 s17, s8, s10
	s_mul_i32 s18, s8, s10
	s_mul_hi_u32 s10, s9, s10
	s_mul_hi_u32 s19, s9, s16
	s_mul_i32 s9, s9, s16
	s_mul_hi_u32 s11, s8, s16
	s_add_u32 s9, s10, s9
	s_addc_u32 s10, 0, s19
	s_add_u32 s9, s9, s18
	s_mul_i32 s16, s8, s16
	s_addc_u32 s9, s10, s17
	s_addc_u32 s10, s11, 0
	s_add_u32 s9, s9, s16
	s_addc_u32 s10, 0, s10
	v_add_co_u32 v1, s9, v1, s9
	s_delay_alu instid0(VALU_DEP_1) | instskip(SKIP_2) | instid1(SALU_CYCLE_1)
	s_cmp_lg_u32 s9, 0
	s_addc_u32 s16, s8, s10
	s_ashr_i32 s8, s3, 31
	s_add_u32 s10, s12, s8
	s_addc_u32 s11, s3, s8
	v_readfirstlane_b32 s3, v1
	s_mov_b32 s9, s8
	s_delay_alu instid0(SALU_CYCLE_1) | instskip(NEXT) | instid1(SALU_CYCLE_1)
	s_xor_b64 s[10:11], s[10:11], s[8:9]
	s_mul_i32 s18, s10, s16
	s_delay_alu instid0(VALU_DEP_1)
	s_mul_hi_u32 s19, s10, s3
	s_mul_hi_u32 s17, s10, s16
	;; [unrolled: 1-line block ×3, first 2 shown]
	s_mul_i32 s3, s11, s3
	s_add_u32 s18, s19, s18
	s_addc_u32 s17, 0, s17
	s_mul_hi_u32 s21, s11, s16
	s_add_u32 s3, s18, s3
	s_mul_i32 s16, s11, s16
	s_addc_u32 s3, s17, s22
	s_addc_u32 s17, s21, 0
	s_add_u32 s3, s3, s16
	s_addc_u32 s16, 0, s17
	s_mul_i32 s18, s20, s3
	s_add_u32 s17, s3, 1
	v_sub_co_u32 v1, s10, s10, s18
	s_mul_hi_u32 s18, s20, s3
	s_addc_u32 s19, s16, 0
	s_mul_i32 s21, s20, s16
	s_delay_alu instid0(VALU_DEP_1)
	v_sub_co_u32 v2, s22, v1, s20
	s_add_u32 s23, s3, 2
	s_addc_u32 s24, s16, 0
	s_add_i32 s18, s18, s21
	s_cmp_lg_u32 s10, 0
	v_readfirstlane_b32 s10, v2
	s_subb_u32 s11, s11, s18
	s_cmp_lg_u32 s22, 0
	s_subb_u32 s18, s11, 0
	s_delay_alu instid0(VALU_DEP_1) | instskip(SKIP_4) | instid1(SALU_CYCLE_1)
	s_cmp_ge_u32 s10, s20
	s_cselect_b32 s10, -1, 0
	s_cmp_eq_u32 s18, 0
	v_readfirstlane_b32 s18, v1
	s_cselect_b32 s10, s10, -1
	s_cmp_lg_u32 s10, 0
	s_cselect_b32 s10, s23, s17
	s_cselect_b32 s17, s24, s19
	s_cmp_ge_u32 s18, s20
	s_cselect_b32 s18, -1, 0
	s_cmp_eq_u32 s11, 0
	s_cselect_b32 s11, s18, -1
	s_delay_alu instid0(SALU_CYCLE_1) | instskip(SKIP_2) | instid1(SALU_CYCLE_1)
	s_cmp_lg_u32 s11, 0
	s_cselect_b32 s11, s17, s16
	s_cselect_b32 s10, s10, s3
	s_xor_b64 s[10:11], s[10:11], s[8:9]
	s_delay_alu instid0(SALU_CYCLE_1)
	s_sub_u32 s16, s10, s8
	s_load_b128 s[8:11], s[0:1], 0x44
	s_and_not1_b32 vcc_lo, exec_lo, s2
	s_cbranch_vccnz .LBB25_3
.LBB25_2:
	v_cvt_f32_u32_e32 v1, s20
	s_sub_i32 s3, 0, s20
	s_delay_alu instid0(VALU_DEP_1) | instskip(SKIP_2) | instid1(VALU_DEP_1)
	v_rcp_iflag_f32_e32 v1, v1
	s_waitcnt_depctr 0xfff
	v_mul_f32_e32 v1, 0x4f7ffffe, v1
	v_cvt_u32_f32_e32 v1, v1
	s_delay_alu instid0(VALU_DEP_1) | instskip(NEXT) | instid1(VALU_DEP_1)
	v_readfirstlane_b32 s2, v1
	s_mul_i32 s3, s3, s2
	s_delay_alu instid0(SALU_CYCLE_1) | instskip(NEXT) | instid1(SALU_CYCLE_1)
	s_mul_hi_u32 s3, s2, s3
	s_add_i32 s2, s2, s3
	s_delay_alu instid0(SALU_CYCLE_1) | instskip(NEXT) | instid1(SALU_CYCLE_1)
	s_mul_hi_u32 s2, s12, s2
	s_mul_i32 s3, s2, s20
	s_waitcnt lgkmcnt(0)
	s_add_i32 s11, s2, 1
	s_sub_i32 s3, s12, s3
	s_delay_alu instid0(SALU_CYCLE_1)
	s_sub_i32 s12, s3, s20
	s_cmp_ge_u32 s3, s20
	s_cselect_b32 s2, s11, s2
	s_cselect_b32 s3, s12, s3
	s_add_i32 s11, s2, 1
	s_cmp_ge_u32 s3, s20
	s_cselect_b32 s16, s11, s2
.LBB25_3:
	s_waitcnt lgkmcnt(0)
	s_add_i32 s11, s13, 1
	s_mov_b32 s2, 0
	s_mul_hi_i32 s3, s7, s11
	s_mul_i32 s11, s7, s11
	s_cmp_lg_u64 s[2:3], 0
	s_cbranch_scc0 .LBB25_22
; %bb.4:
	v_cvt_f32_ubyte0_e32 v1, 0
	v_cvt_f32_u32_e32 v2, s20
	s_sub_u32 s18, 0, s20
	s_subb_u32 s19, 0, 0
	s_delay_alu instid0(VALU_DEP_1) | instskip(NEXT) | instid1(VALU_DEP_1)
	v_fmamk_f32 v1, v1, 0x4f800000, v2
	v_rcp_f32_e32 v1, v1
	s_waitcnt_depctr 0xfff
	v_mul_f32_e32 v1, 0x5f7ffffc, v1
	s_delay_alu instid0(VALU_DEP_1) | instskip(NEXT) | instid1(VALU_DEP_1)
	v_mul_f32_e32 v2, 0x2f800000, v1
	v_trunc_f32_e32 v2, v2
	s_delay_alu instid0(VALU_DEP_1) | instskip(SKIP_1) | instid1(VALU_DEP_2)
	v_fmamk_f32 v1, v2, 0xcf800000, v1
	v_cvt_u32_f32_e32 v2, v2
	v_cvt_u32_f32_e32 v1, v1
	s_delay_alu instid0(VALU_DEP_2) | instskip(NEXT) | instid1(VALU_DEP_2)
	v_readfirstlane_b32 s12, v2
	v_readfirstlane_b32 s17, v1
	s_delay_alu instid0(VALU_DEP_2) | instskip(NEXT) | instid1(VALU_DEP_1)
	s_mul_i32 s21, s18, s12
	s_mul_hi_u32 s23, s18, s17
	s_mul_i32 s22, s19, s17
	s_add_i32 s21, s23, s21
	s_mul_i32 s24, s18, s17
	s_add_i32 s21, s21, s22
	s_mul_hi_u32 s23, s17, s24
	s_mul_hi_u32 s25, s12, s24
	s_mul_i32 s22, s12, s24
	s_mul_hi_u32 s24, s17, s21
	s_mul_i32 s17, s17, s21
	s_mul_hi_u32 s26, s12, s21
	s_add_u32 s17, s23, s17
	s_addc_u32 s23, 0, s24
	s_add_u32 s17, s17, s22
	s_mul_i32 s21, s12, s21
	s_addc_u32 s17, s23, s25
	s_addc_u32 s22, s26, 0
	s_add_u32 s17, s17, s21
	s_addc_u32 s21, 0, s22
	v_add_co_u32 v1, s17, v1, s17
	s_delay_alu instid0(VALU_DEP_1) | instskip(SKIP_1) | instid1(VALU_DEP_1)
	s_cmp_lg_u32 s17, 0
	s_addc_u32 s12, s12, s21
	v_readfirstlane_b32 s17, v1
	s_mul_i32 s21, s18, s12
	s_delay_alu instid0(VALU_DEP_1)
	s_mul_hi_u32 s22, s18, s17
	s_mul_i32 s19, s19, s17
	s_add_i32 s21, s22, s21
	s_mul_i32 s18, s18, s17
	s_add_i32 s21, s21, s19
	s_mul_hi_u32 s22, s12, s18
	s_mul_i32 s23, s12, s18
	s_mul_hi_u32 s18, s17, s18
	s_mul_hi_u32 s24, s17, s21
	s_mul_i32 s17, s17, s21
	s_mul_hi_u32 s19, s12, s21
	s_add_u32 s17, s18, s17
	s_addc_u32 s18, 0, s24
	s_add_u32 s17, s17, s23
	s_mul_i32 s21, s12, s21
	s_addc_u32 s17, s18, s22
	s_addc_u32 s18, s19, 0
	s_add_u32 s17, s17, s21
	s_addc_u32 s18, 0, s18
	v_add_co_u32 v1, s17, v1, s17
	s_delay_alu instid0(VALU_DEP_1) | instskip(SKIP_2) | instid1(SALU_CYCLE_1)
	s_cmp_lg_u32 s17, 0
	s_addc_u32 s12, s12, s18
	s_ashr_i32 s18, s3, 31
	s_add_u32 s22, s11, s18
	s_addc_u32 s23, s3, s18
	v_readfirstlane_b32 s3, v1
	s_mov_b32 s19, s18
	s_delay_alu instid0(SALU_CYCLE_1) | instskip(NEXT) | instid1(SALU_CYCLE_1)
	s_xor_b64 s[22:23], s[22:23], s[18:19]
	s_mul_i32 s21, s22, s12
	s_delay_alu instid0(VALU_DEP_1)
	s_mul_hi_u32 s24, s22, s3
	s_mul_hi_u32 s17, s22, s12
	;; [unrolled: 1-line block ×3, first 2 shown]
	s_mul_i32 s3, s23, s3
	s_add_u32 s21, s24, s21
	s_addc_u32 s17, 0, s17
	s_mul_hi_u32 s25, s23, s12
	s_add_u32 s3, s21, s3
	s_mul_i32 s12, s23, s12
	s_addc_u32 s3, s17, s26
	s_addc_u32 s17, s25, 0
	s_add_u32 s3, s3, s12
	s_addc_u32 s12, 0, s17
	s_mul_i32 s21, s20, s3
	s_add_u32 s17, s3, 1
	v_sub_co_u32 v1, s21, s22, s21
	s_mul_hi_u32 s22, s20, s3
	s_addc_u32 s24, s12, 0
	s_mul_i32 s25, s20, s12
	s_delay_alu instid0(VALU_DEP_1)
	v_sub_co_u32 v2, s26, v1, s20
	s_add_u32 s27, s3, 2
	s_addc_u32 s28, s12, 0
	s_add_i32 s22, s22, s25
	s_cmp_lg_u32 s21, 0
	v_readfirstlane_b32 s21, v2
	s_subb_u32 s22, s23, s22
	s_cmp_lg_u32 s26, 0
	s_subb_u32 s23, s22, 0
	s_delay_alu instid0(VALU_DEP_1) | instskip(SKIP_4) | instid1(SALU_CYCLE_1)
	s_cmp_ge_u32 s21, s20
	s_cselect_b32 s21, -1, 0
	s_cmp_eq_u32 s23, 0
	v_readfirstlane_b32 s23, v1
	s_cselect_b32 s21, s21, -1
	s_cmp_lg_u32 s21, 0
	s_cselect_b32 s17, s27, s17
	s_cselect_b32 s21, s28, s24
	s_cmp_ge_u32 s23, s20
	s_cselect_b32 s23, -1, 0
	s_cmp_eq_u32 s22, 0
	s_cselect_b32 s22, s23, -1
	s_delay_alu instid0(SALU_CYCLE_1) | instskip(SKIP_2) | instid1(SALU_CYCLE_1)
	s_cmp_lg_u32 s22, 0
	s_cselect_b32 s23, s21, s12
	s_cselect_b32 s22, s17, s3
	s_xor_b64 s[22:23], s[22:23], s[18:19]
	s_delay_alu instid0(SALU_CYCLE_1)
	s_sub_u32 s18, s22, s18
	s_and_not1_b32 vcc_lo, exec_lo, s2
	s_cbranch_vccnz .LBB25_6
.LBB25_5:
	v_cvt_f32_u32_e32 v1, s20
	s_sub_i32 s3, 0, s20
	s_delay_alu instid0(VALU_DEP_1) | instskip(SKIP_2) | instid1(VALU_DEP_1)
	v_rcp_iflag_f32_e32 v1, v1
	s_waitcnt_depctr 0xfff
	v_mul_f32_e32 v1, 0x4f7ffffe, v1
	v_cvt_u32_f32_e32 v1, v1
	s_delay_alu instid0(VALU_DEP_1) | instskip(NEXT) | instid1(VALU_DEP_1)
	v_readfirstlane_b32 s2, v1
	s_mul_i32 s3, s3, s2
	s_delay_alu instid0(SALU_CYCLE_1) | instskip(NEXT) | instid1(SALU_CYCLE_1)
	s_mul_hi_u32 s3, s2, s3
	s_add_i32 s2, s2, s3
	s_delay_alu instid0(SALU_CYCLE_1) | instskip(NEXT) | instid1(SALU_CYCLE_1)
	s_mul_hi_u32 s2, s11, s2
	s_mul_i32 s3, s2, s20
	s_delay_alu instid0(SALU_CYCLE_1)
	s_sub_i32 s3, s11, s3
	s_add_i32 s11, s2, 1
	s_sub_i32 s12, s3, s20
	s_cmp_ge_u32 s3, s20
	s_cselect_b32 s2, s11, s2
	s_cselect_b32 s3, s12, s3
	s_add_i32 s11, s2, 1
	s_cmp_ge_u32 s3, s20
	s_cselect_b32 s18, s11, s2
.LBB25_6:
	s_delay_alu instid0(SALU_CYCLE_1) | instskip(SKIP_3) | instid1(SALU_CYCLE_1)
	s_cmp_eq_u32 s16, s18
	s_mul_hi_u32 s2, s16, s8
	s_cselect_b32 s3, -1, 0
	s_add_i32 s2, s2, s16
	s_lshr_b32 s11, s2, s9
	s_delay_alu instid0(SALU_CYCLE_1) | instskip(NEXT) | instid1(SALU_CYCLE_1)
	s_mul_i32 s2, s11, s10
	s_cmp_eq_u32 s2, s16
	s_mul_hi_u32 s2, s18, s8
	s_cselect_b32 s12, -1, 0
	s_add_i32 s2, s2, s18
	s_delay_alu instid0(SALU_CYCLE_1) | instskip(NEXT) | instid1(SALU_CYCLE_1)
	s_lshr_b32 s2, s2, s9
	s_cmp_eq_u32 s11, s2
	s_mul_i32 s2, s2, s10
	s_cselect_b32 s17, -1, 0
	s_cmp_lg_u32 s2, s18
	s_cselect_b32 s2, -1, 0
	s_or_b32 s3, s3, s12
	s_and_b32 s2, s17, s2
	s_delay_alu instid0(SALU_CYCLE_1) | instskip(NEXT) | instid1(SALU_CYCLE_1)
	s_or_b32 s2, s3, s2
	s_and_b32 vcc_lo, exec_lo, s2
	s_cbranch_vccnz .LBB25_24
; %bb.7:
	s_load_b256 s[24:31], s[0:1], 0x20
	s_waitcnt lgkmcnt(0)
	s_mul_hi_u32 s2, s16, s24
	s_delay_alu instid0(SALU_CYCLE_1) | instskip(NEXT) | instid1(SALU_CYCLE_1)
	s_add_i32 s2, s2, s16
	s_lshr_b32 s17, s2, s25
	s_load_b32 s2, s[0:1], 0x40
	s_mul_i32 s3, s17, s26
	s_delay_alu instid0(SALU_CYCLE_1) | instskip(NEXT) | instid1(SALU_CYCLE_1)
	s_sub_i32 s3, s16, s3
	s_mul_hi_u32 s12, s3, s27
	s_delay_alu instid0(SALU_CYCLE_1) | instskip(NEXT) | instid1(SALU_CYCLE_1)
	s_add_i32 s12, s3, s12
	s_lshr_b32 s18, s12, s28
	s_delay_alu instid0(SALU_CYCLE_1) | instskip(NEXT) | instid1(SALU_CYCLE_1)
	s_mul_i32 s12, s18, s29
	s_sub_i32 s3, s3, s12
	s_delay_alu instid0(SALU_CYCLE_1) | instskip(NEXT) | instid1(SALU_CYCLE_1)
	s_mul_hi_u32 s12, s3, s30
	s_add_i32 s12, s3, s12
	s_delay_alu instid0(SALU_CYCLE_1)
	s_lshr_b32 s12, s12, s31
	s_waitcnt lgkmcnt(0)
	s_mul_i32 s2, s12, s2
	s_lshl_b32 s21, s12, 2
	s_sub_i32 s2, s3, s2
	s_mov_b32 s12, 0
	s_mul_hi_u32 s3, s2, s8
	s_delay_alu instid0(SALU_CYCLE_1) | instskip(NEXT) | instid1(SALU_CYCLE_1)
	s_add_i32 s2, s2, s3
	s_lshr_b32 s19, s2, s9
	s_delay_alu instid0(SALU_CYCLE_1) | instskip(NEXT) | instid1(SALU_CYCLE_1)
	s_add_i32 s19, s19, s14
	s_cmp_lt_i32 s19, s4
	s_cselect_b32 s2, -1, 0
	s_add_i32 s21, s21, s15
	s_delay_alu instid0(SALU_CYCLE_1) | instskip(SKIP_1) | instid1(SALU_CYCLE_1)
	s_cmp_lt_i32 s21, s6
	s_cselect_b32 s3, -1, 0
	s_and_b32 s2, s2, s3
	s_delay_alu instid0(SALU_CYCLE_1)
	s_and_not1_b32 vcc_lo, exec_lo, s2
	s_cbranch_vccnz .LBB25_24
; %bb.8:
	s_load_b128 s[0:3], s[0:1], 0x0
	s_lshl_b32 s22, s20, 4
	s_mov_b32 s23, s12
	s_mul_i32 s4, s17, s4
	s_lshl_b64 s[22:23], s[22:23], 2
	s_mul_i32 s18, s18, s6
	v_cvt_f32_ubyte0_e32 v4, 0
	v_cvt_f32_u32_e32 v5, s20
	s_waitcnt lgkmcnt(0)
	s_add_u32 s6, s2, s22
	s_addc_u32 s17, s3, s23
	s_add_i32 s4, s19, s4
	s_add_i32 s18, s21, s18
	s_mul_i32 s4, s4, s5
	s_delay_alu instid0(SALU_CYCLE_1) | instskip(NEXT) | instid1(SALU_CYCLE_1)
	s_add_i32 s18, s18, s4
	v_lshl_or_b32 v1, s18, 8, v0
	v_lshl_or_b32 v0, s15, 8, v0
	s_delay_alu instid0(VALU_DEP_2) | instskip(NEXT) | instid1(VALU_DEP_1)
	v_ashrrev_i32_e32 v2, 31, v1
	v_lshlrev_b64 v[1:2], 2, v[1:2]
	s_delay_alu instid0(VALU_DEP_1) | instskip(NEXT) | instid1(VALU_DEP_2)
	v_add_co_u32 v1, vcc_lo, s0, v1
	v_add_co_ci_u32_e32 v2, vcc_lo, s1, v2, vcc_lo
	s_add_i32 s0, s14, s13
	s_delay_alu instid0(SALU_CYCLE_1) | instskip(SKIP_2) | instid1(SALU_CYCLE_1)
	s_lshl_b32 s0, s0, 2
	global_load_b32 v3, v[1:2], off
	s_add_i32 s0, s0, s15
	s_ashr_i32 s1, s0, 31
	s_delay_alu instid0(SALU_CYCLE_1) | instskip(NEXT) | instid1(SALU_CYCLE_1)
	s_lshl_b64 s[0:1], s[0:1], 3
	s_add_u32 s0, s2, s0
	s_addc_u32 s1, s3, s1
	s_add_i32 s19, s13, -1
	s_load_b64 s[0:1], s[0:1], 0x0
	v_fmac_f32_e32 v5, 0x4f800000, v4
	s_sub_i32 s18, 0, s20
	s_waitcnt lgkmcnt(0)
	v_mov_b32_e32 v8, s0
	s_delay_alu instid0(VALU_DEP_2) | instskip(SKIP_2) | instid1(VALU_DEP_2)
	v_rcp_f32_e32 v4, v5
	v_cvt_f32_u32_e32 v5, s20
	v_mov_b32_e32 v7, s1
	v_rcp_iflag_f32_e32 v5, v5
	s_waitcnt_depctr 0xfff
	v_mul_f32_e32 v4, 0x5f7ffffc, v4
	s_delay_alu instid0(VALU_DEP_1) | instskip(SKIP_1) | instid1(VALU_DEP_2)
	v_mul_f32_e32 v6, 0x2f800000, v4
	v_mul_f32_e32 v9, 0x4f7ffffe, v5
	v_trunc_f32_e32 v6, v6
	s_delay_alu instid0(VALU_DEP_1) | instskip(SKIP_1) | instid1(VALU_DEP_4)
	v_fmac_f32_e32 v4, 0xcf800000, v6
	v_cvt_u32_f32_e32 v5, v6
	v_cvt_u32_f32_e32 v6, v9
	s_delay_alu instid0(VALU_DEP_3)
	v_cvt_u32_f32_e32 v4, v4
.LBB25_9:                               ; =>This Inner Loop Header: Depth=1
	s_mul_hi_i32 s13, s19, s7
	s_mul_i32 s4, s19, s7
	s_cmp_lg_u64 s[12:13], 0
	s_mov_b32 s5, -1
                                        ; implicit-def: $sgpr0_sgpr1
	s_cbranch_scc0 .LBB25_11
; %bb.10:                               ;   in Loop: Header=BB25_9 Depth=1
	v_readfirstlane_b32 s0, v4
	v_readfirstlane_b32 s1, v5
	s_sub_u32 s5, 0, s20
	s_subb_u32 s21, 0, 0
	s_delay_alu instid0(VALU_DEP_2) | instskip(NEXT) | instid1(VALU_DEP_1)
	s_mul_hi_u32 s22, s5, s0
	s_mul_i32 s23, s5, s1
	s_mul_i32 s24, s21, s0
	s_add_i32 s22, s22, s23
	s_mul_i32 s23, s5, s0
	s_add_i32 s22, s22, s24
	s_mul_hi_u32 s24, s0, s23
	s_mul_i32 s25, s0, s22
	s_mul_hi_u32 s0, s0, s22
	s_add_u32 s24, s24, s25
	s_mul_i32 s26, s1, s23
	s_addc_u32 s0, 0, s0
	s_mul_hi_u32 s23, s1, s23
	s_mul_hi_u32 s25, s1, s22
	s_add_u32 s24, s24, s26
	s_addc_u32 s0, s0, s23
	s_mul_i32 s22, s1, s22
	s_addc_u32 s23, s25, 0
	s_add_u32 s0, s0, s22
	s_addc_u32 s22, 0, s23
	v_add_co_u32 v9, s0, v4, s0
	s_delay_alu instid0(VALU_DEP_1) | instskip(SKIP_1) | instid1(VALU_DEP_1)
	s_cmp_lg_u32 s0, 0
	s_addc_u32 s1, s1, s22
	v_readfirstlane_b32 s0, v9
	s_mul_i32 s22, s5, s1
	s_delay_alu instid0(VALU_DEP_1)
	s_mul_hi_u32 s23, s5, s0
	s_mul_i32 s21, s21, s0
	s_add_i32 s22, s23, s22
	s_mul_i32 s5, s5, s0
	s_add_i32 s22, s22, s21
	s_mul_hi_u32 s21, s1, s5
	s_mul_i32 s24, s1, s5
	s_mul_i32 s25, s0, s22
	s_mul_hi_u32 s5, s0, s5
	s_mul_hi_u32 s0, s0, s22
	s_add_u32 s5, s5, s25
	s_addc_u32 s0, 0, s0
	s_mul_hi_u32 s23, s1, s22
	s_add_u32 s5, s5, s24
	s_addc_u32 s0, s0, s21
	s_mul_i32 s5, s1, s22
	s_addc_u32 s21, s23, 0
	s_add_u32 s0, s0, s5
	s_addc_u32 s5, 0, s21
	v_add_co_u32 v9, s0, v9, s0
	s_delay_alu instid0(VALU_DEP_1) | instskip(SKIP_2) | instid1(SALU_CYCLE_1)
	s_cmp_lg_u32 s0, 0
	s_addc_u32 s5, s1, s5
	s_ashr_i32 s0, s13, 31
	s_add_u32 s22, s4, s0
	s_addc_u32 s23, s13, s0
	v_readfirstlane_b32 s13, v9
	s_mov_b32 s1, s0
	s_delay_alu instid0(SALU_CYCLE_1) | instskip(NEXT) | instid1(SALU_CYCLE_1)
	s_xor_b64 s[22:23], s[22:23], s[0:1]
	s_mul_i32 s21, s22, s5
	s_delay_alu instid0(VALU_DEP_1)
	s_mul_hi_u32 s24, s22, s13
	s_mul_hi_u32 s25, s22, s5
	s_add_u32 s21, s24, s21
	s_mul_i32 s26, s23, s13
	s_addc_u32 s24, 0, s25
	s_mul_hi_u32 s13, s23, s13
	s_mul_hi_u32 s25, s23, s5
	s_add_u32 s21, s21, s26
	s_addc_u32 s13, s24, s13
	s_mul_i32 s5, s23, s5
	s_addc_u32 s21, s25, 0
	s_add_u32 s5, s13, s5
	s_addc_u32 s13, 0, s21
	s_mul_i32 s24, s20, s5
	s_add_u32 s21, s5, 1
	v_sub_co_u32 v9, s22, s22, s24
	s_addc_u32 s24, s13, 0
	s_mul_i32 s26, s20, s13
	s_mul_hi_u32 s28, s20, s5
	s_delay_alu instid0(VALU_DEP_1)
	v_sub_co_u32 v10, s27, v9, s20
	s_add_u32 s25, s5, 2
	s_addc_u32 s29, s13, 0
	s_add_i32 s28, s28, s26
	s_cmp_lg_u32 s22, 0
	v_readfirstlane_b32 s22, v10
	s_subb_u32 s23, s23, s28
	s_cmp_lg_u32 s27, 0
	s_subb_u32 s26, s23, 0
	s_delay_alu instid0(VALU_DEP_1) | instskip(SKIP_4) | instid1(SALU_CYCLE_1)
	s_cmp_ge_u32 s22, s20
	s_cselect_b32 s22, -1, 0
	s_cmp_eq_u32 s26, 0
	v_readfirstlane_b32 s26, v9
	s_cselect_b32 s22, s22, -1
	s_cmp_lg_u32 s22, 0
	s_cselect_b32 s21, s25, s21
	s_cselect_b32 s22, s29, s24
	s_cmp_ge_u32 s26, s20
	s_cselect_b32 s24, -1, 0
	s_cmp_eq_u32 s23, 0
	s_cselect_b32 s23, s24, -1
	s_delay_alu instid0(SALU_CYCLE_1) | instskip(SKIP_4) | instid1(SALU_CYCLE_1)
	s_cmp_lg_u32 s23, 0
	s_cselect_b32 s23, s22, s13
	s_cselect_b32 s22, s21, s5
	s_mov_b32 s5, 0
	s_xor_b64 s[22:23], s[22:23], s[0:1]
	s_sub_u32 s0, s22, s0
.LBB25_11:                              ;   in Loop: Header=BB25_9 Depth=1
	s_and_not1_b32 vcc_lo, exec_lo, s5
	s_cbranch_vccnz .LBB25_13
; %bb.12:                               ;   in Loop: Header=BB25_9 Depth=1
	v_readfirstlane_b32 s0, v6
	s_delay_alu instid0(VALU_DEP_1) | instskip(NEXT) | instid1(SALU_CYCLE_1)
	s_mul_i32 s1, s18, s0
	s_mul_hi_u32 s1, s0, s1
	s_delay_alu instid0(SALU_CYCLE_1) | instskip(NEXT) | instid1(SALU_CYCLE_1)
	s_add_i32 s0, s0, s1
	s_mul_hi_u32 s0, s4, s0
	s_delay_alu instid0(SALU_CYCLE_1) | instskip(NEXT) | instid1(SALU_CYCLE_1)
	s_mul_i32 s1, s0, s20
	s_sub_i32 s1, s4, s1
	s_add_i32 s4, s0, 1
	s_sub_i32 s5, s1, s20
	s_cmp_ge_u32 s1, s20
	s_cselect_b32 s0, s4, s0
	s_cselect_b32 s1, s5, s1
	s_add_i32 s4, s0, 1
	s_cmp_ge_u32 s1, s20
	s_cselect_b32 s0, s4, s0
.LBB25_13:                              ;   in Loop: Header=BB25_9 Depth=1
	s_delay_alu instid0(SALU_CYCLE_1)
	s_cmp_lg_u32 s16, s0
	s_cbranch_scc0 .LBB25_17
; %bb.14:                               ;   in Loop: Header=BB25_9 Depth=1
	s_add_i32 s22, s19, s14
	s_mov_b32 s5, s12
	s_add_i32 s1, s22, s20
	s_mov_b32 s21, s16
	s_lshl_b32 s1, s1, 2
	s_delay_alu instid0(SALU_CYCLE_1) | instskip(SKIP_2) | instid1(SALU_CYCLE_1)
	s_add_i32 s4, s1, s15
	s_mul_hi_u32 s1, s0, s8
	s_lshl_b64 s[4:5], s[4:5], 3
	s_add_u32 s4, s2, s4
	s_addc_u32 s5, s3, s5
	s_add_i32 s1, s1, s0
	s_delay_alu instid0(SALU_CYCLE_1) | instskip(NEXT) | instid1(SALU_CYCLE_1)
	s_lshr_b32 s1, s1, s9
	s_mul_i32 s13, s1, s10
	s_delay_alu instid0(SALU_CYCLE_1) | instskip(SKIP_3) | instid1(SALU_CYCLE_1)
	s_cmp_eq_u32 s13, s0
	s_cselect_b32 s13, -1, 0
	s_cmp_lt_u32 s1, s11
	s_cselect_b32 s1, -1, 0
	s_or_b32 s1, s1, s13
	s_mov_b32 s13, -1
	s_and_b32 vcc_lo, exec_lo, s1
	s_mov_b32 s1, s19
	s_cbranch_vccnz .LBB25_16
; %bb.15:                               ;   in Loop: Header=BB25_9 Depth=1
	s_add_i32 s1, s19, -1
	s_mov_b32 s13, 0
	s_mov_b32 s21, s0
.LBB25_16:                              ;   in Loop: Header=BB25_9 Depth=1
	v_lshl_add_u32 v9, s22, 10, v0
	s_load_b64 s[4:5], s[4:5], 0x0
	s_delay_alu instid0(VALU_DEP_1) | instskip(NEXT) | instid1(VALU_DEP_1)
	v_ashrrev_i32_e32 v10, 31, v9
	v_lshlrev_b64 v[9:10], 2, v[9:10]
	s_delay_alu instid0(VALU_DEP_1) | instskip(NEXT) | instid1(VALU_DEP_2)
	v_add_co_u32 v9, vcc_lo, s6, v9
	v_add_co_ci_u32_e32 v10, vcc_lo, s17, v10, vcc_lo
	s_waitcnt lgkmcnt(0)
	v_max_f32_e64 v11, s4, s4
	global_load_b32 v10, v[9:10], off
	v_max_f32_e32 v9, v8, v8
	s_delay_alu instid0(VALU_DEP_1) | instskip(NEXT) | instid1(VALU_DEP_1)
	v_max_f32_e32 v9, v9, v11
	v_sub_f32_e32 v12, v8, v9
	s_delay_alu instid0(VALU_DEP_1) | instskip(NEXT) | instid1(VALU_DEP_1)
	v_dual_mul_f32 v14, 0x3fb8aa3b, v12 :: v_dual_sub_f32 v11, s4, v9
	v_rndne_f32_e32 v18, v14
	s_delay_alu instid0(VALU_DEP_2) | instskip(SKIP_2) | instid1(VALU_DEP_4)
	v_mul_f32_e32 v13, 0x3fb8aa3b, v11
	v_fma_f32 v17, 0x3fb8aa3b, v12, -v14
	v_cmp_ngt_f32_e32 vcc_lo, 0xc2ce8ed0, v11
	v_sub_f32_e32 v14, v14, v18
	s_delay_alu instid0(VALU_DEP_4) | instskip(SKIP_2) | instid1(VALU_DEP_3)
	v_fma_f32 v15, 0x3fb8aa3b, v11, -v13
	v_rndne_f32_e32 v16, v13
	v_fmac_f32_e32 v17, 0x32a5705f, v12
	v_fmac_f32_e32 v15, 0x32a5705f, v11
	s_delay_alu instid0(VALU_DEP_2) | instskip(NEXT) | instid1(VALU_DEP_1)
	v_dual_sub_f32 v13, v13, v16 :: v_dual_add_f32 v14, v14, v17
	v_add_f32_e32 v13, v13, v15
	s_delay_alu instid0(VALU_DEP_2) | instskip(SKIP_2) | instid1(VALU_DEP_3)
	v_exp_f32_e32 v14, v14
	v_cvt_i32_f32_e32 v15, v16
	v_cvt_i32_f32_e32 v16, v18
	v_exp_f32_e32 v13, v13
	s_waitcnt_depctr 0xfff
	v_ldexp_f32 v14, v14, v16
	v_ldexp_f32 v13, v13, v15
	s_delay_alu instid0(VALU_DEP_1) | instskip(SKIP_1) | instid1(VALU_DEP_4)
	v_cndmask_b32_e32 v13, 0, v13, vcc_lo
	v_cmp_ngt_f32_e32 vcc_lo, 0xc2ce8ed0, v12
	v_cndmask_b32_e32 v14, 0, v14, vcc_lo
	v_cmp_nlt_f32_e32 vcc_lo, 0x42b17218, v11
	s_delay_alu instid0(VALU_DEP_4) | instskip(SKIP_1) | instid1(VALU_DEP_4)
	v_cndmask_b32_e32 v13, 0x7f800000, v13, vcc_lo
	v_cmp_nlt_f32_e32 vcc_lo, 0x42b17218, v12
	v_cndmask_b32_e32 v14, 0x7f800000, v14, vcc_lo
	v_cmp_le_f32_e32 vcc_lo, 0xc1a00000, v11
	s_delay_alu instid0(VALU_DEP_4) | instskip(SKIP_1) | instid1(VALU_DEP_4)
	v_cndmask_b32_e32 v11, 0, v13, vcc_lo
	v_cmp_le_f32_e32 vcc_lo, 0xc1a00000, v12
	v_cndmask_b32_e32 v12, 0, v14, vcc_lo
	s_waitcnt vmcnt(0)
	s_delay_alu instid0(VALU_DEP_3) | instskip(NEXT) | instid1(VALU_DEP_1)
	v_mul_f32_e32 v10, v10, v11
	v_dual_mul_f32 v11, s5, v11 :: v_dual_fmac_f32 v10, v3, v12
	s_delay_alu instid0(VALU_DEP_1)
	v_fmac_f32_e32 v11, v7, v12
	s_cbranch_execz .LBB25_18
	s_branch .LBB25_19
.LBB25_17:                              ;   in Loop: Header=BB25_9 Depth=1
                                        ; implicit-def: $sgpr13
                                        ; implicit-def: $vgpr10
                                        ; implicit-def: $vgpr9
                                        ; implicit-def: $vgpr11
                                        ; implicit-def: $sgpr1
                                        ; implicit-def: $sgpr21
.LBB25_18:                              ;   in Loop: Header=BB25_9 Depth=1
	v_mov_b32_e32 v11, v7
	s_waitcnt vmcnt(0)
	v_dual_mov_b32 v9, v8 :: v_dual_mov_b32 v10, v3
	s_add_i32 s1, s19, -1
	s_mov_b32 s13, 0
	s_mov_b32 s21, s16
.LBB25_19:                              ;   in Loop: Header=BB25_9 Depth=1
	s_and_not1_b32 vcc_lo, exec_lo, s13
	s_cbranch_vccz .LBB25_23
; %bb.20:                               ;   in Loop: Header=BB25_9 Depth=1
	v_dual_mov_b32 v7, v11 :: v_dual_mov_b32 v8, v9
	s_waitcnt vmcnt(0)
	v_mov_b32_e32 v3, v10
	s_mov_b32 s16, s21
	s_mov_b32 s19, s1
	s_branch .LBB25_9
.LBB25_21:
                                        ; implicit-def: $sgpr16_sgpr17
	s_load_b128 s[8:11], s[0:1], 0x44
	s_branch .LBB25_2
.LBB25_22:
                                        ; implicit-def: $sgpr18_sgpr19
	s_branch .LBB25_5
.LBB25_23:
	v_div_scale_f32 v0, null, v11, v11, v10
	s_waitcnt vmcnt(0)
	s_delay_alu instid0(VALU_DEP_1) | instskip(SKIP_2) | instid1(VALU_DEP_1)
	v_rcp_f32_e32 v3, v0
	s_waitcnt_depctr 0xfff
	v_fma_f32 v4, -v0, v3, 1.0
	v_fmac_f32_e32 v3, v4, v3
	v_div_scale_f32 v4, vcc_lo, v10, v11, v10
	s_delay_alu instid0(VALU_DEP_1) | instskip(NEXT) | instid1(VALU_DEP_1)
	v_mul_f32_e32 v5, v4, v3
	v_fma_f32 v6, -v0, v5, v4
	s_delay_alu instid0(VALU_DEP_1) | instskip(NEXT) | instid1(VALU_DEP_1)
	v_fmac_f32_e32 v5, v6, v3
	v_fma_f32 v0, -v0, v5, v4
	s_delay_alu instid0(VALU_DEP_1) | instskip(NEXT) | instid1(VALU_DEP_1)
	v_div_fmas_f32 v0, v0, v3, v5
	v_div_fixup_f32 v0, v0, v11, v10
	global_store_b32 v[1:2], v0, off
.LBB25_24:
	s_nop 0
	s_sendmsg sendmsg(MSG_DEALLOC_VGPRS)
	s_endpgm
	.section	.rodata,"a",@progbits
	.p2align	6, 0x0
	.amdhsa_kernel _ZL33flash_attn_stream_k_fixup_generalILi256ELi1ELi4EEvPfPK15HIP_vector_typeIfLj2EEiiiiS1_IjLj3EES5_S5_S5_
		.amdhsa_group_segment_fixed_size 0
		.amdhsa_private_segment_fixed_size 0
		.amdhsa_kernarg_size 336
		.amdhsa_user_sgpr_count 13
		.amdhsa_user_sgpr_dispatch_ptr 0
		.amdhsa_user_sgpr_queue_ptr 0
		.amdhsa_user_sgpr_kernarg_segment_ptr 1
		.amdhsa_user_sgpr_dispatch_id 0
		.amdhsa_user_sgpr_private_segment_size 0
		.amdhsa_wavefront_size32 1
		.amdhsa_uses_dynamic_stack 0
		.amdhsa_enable_private_segment 0
		.amdhsa_system_sgpr_workgroup_id_x 1
		.amdhsa_system_sgpr_workgroup_id_y 1
		.amdhsa_system_sgpr_workgroup_id_z 1
		.amdhsa_system_sgpr_workgroup_info 0
		.amdhsa_system_vgpr_workitem_id 0
		.amdhsa_next_free_vgpr 19
		.amdhsa_next_free_sgpr 32
		.amdhsa_reserve_vcc 1
		.amdhsa_float_round_mode_32 0
		.amdhsa_float_round_mode_16_64 0
		.amdhsa_float_denorm_mode_32 3
		.amdhsa_float_denorm_mode_16_64 3
		.amdhsa_dx10_clamp 1
		.amdhsa_ieee_mode 1
		.amdhsa_fp16_overflow 0
		.amdhsa_workgroup_processor_mode 1
		.amdhsa_memory_ordered 1
		.amdhsa_forward_progress 0
		.amdhsa_shared_vgpr_count 0
		.amdhsa_exception_fp_ieee_invalid_op 0
		.amdhsa_exception_fp_denorm_src 0
		.amdhsa_exception_fp_ieee_div_zero 0
		.amdhsa_exception_fp_ieee_overflow 0
		.amdhsa_exception_fp_ieee_underflow 0
		.amdhsa_exception_fp_ieee_inexact 0
		.amdhsa_exception_int_div_zero 0
	.end_amdhsa_kernel
	.section	.text._ZL33flash_attn_stream_k_fixup_generalILi256ELi1ELi4EEvPfPK15HIP_vector_typeIfLj2EEiiiiS1_IjLj3EES5_S5_S5_,"axG",@progbits,_ZL33flash_attn_stream_k_fixup_generalILi256ELi1ELi4EEvPfPK15HIP_vector_typeIfLj2EEiiiiS1_IjLj3EES5_S5_S5_,comdat
.Lfunc_end25:
	.size	_ZL33flash_attn_stream_k_fixup_generalILi256ELi1ELi4EEvPfPK15HIP_vector_typeIfLj2EEiiiiS1_IjLj3EES5_S5_S5_, .Lfunc_end25-_ZL33flash_attn_stream_k_fixup_generalILi256ELi1ELi4EEvPfPK15HIP_vector_typeIfLj2EEiiiiS1_IjLj3EES5_S5_S5_
                                        ; -- End function
	.section	.AMDGPU.csdata,"",@progbits
; Kernel info:
; codeLenInByte = 3200
; NumSgprs: 34
; NumVgprs: 19
; ScratchSize: 0
; MemoryBound: 0
; FloatMode: 240
; IeeeMode: 1
; LDSByteSize: 0 bytes/workgroup (compile time only)
; SGPRBlocks: 4
; VGPRBlocks: 2
; NumSGPRsForWavesPerEU: 34
; NumVGPRsForWavesPerEU: 19
; Occupancy: 16
; WaveLimiterHint : 0
; COMPUTE_PGM_RSRC2:SCRATCH_EN: 0
; COMPUTE_PGM_RSRC2:USER_SGPR: 13
; COMPUTE_PGM_RSRC2:TRAP_HANDLER: 0
; COMPUTE_PGM_RSRC2:TGID_X_EN: 1
; COMPUTE_PGM_RSRC2:TGID_Y_EN: 1
; COMPUTE_PGM_RSRC2:TGID_Z_EN: 1
; COMPUTE_PGM_RSRC2:TIDIG_COMP_CNT: 0
	.section	.text._ZL15flash_attn_tileILi256ELi256ELi16ELi2ELb0EEvPKcS1_S1_S1_S1_PKiPfP15HIP_vector_typeIfLj2EEffffjfiS5_IjLj3EEiiiiiiiiiiiliiliiiiil,"axG",@progbits,_ZL15flash_attn_tileILi256ELi256ELi16ELi2ELb0EEvPKcS1_S1_S1_S1_PKiPfP15HIP_vector_typeIfLj2EEffffjfiS5_IjLj3EEiiiiiiiiiiiliiliiiiil,comdat
	.globl	_ZL15flash_attn_tileILi256ELi256ELi16ELi2ELb0EEvPKcS1_S1_S1_S1_PKiPfP15HIP_vector_typeIfLj2EEffffjfiS5_IjLj3EEiiiiiiiiiiiliiliiiiil ; -- Begin function _ZL15flash_attn_tileILi256ELi256ELi16ELi2ELb0EEvPKcS1_S1_S1_S1_PKiPfP15HIP_vector_typeIfLj2EEffffjfiS5_IjLj3EEiiiiiiiiiiiliiliiiiil
	.p2align	8
	.type	_ZL15flash_attn_tileILi256ELi256ELi16ELi2ELb0EEvPKcS1_S1_S1_S1_PKiPfP15HIP_vector_typeIfLj2EEffffjfiS5_IjLj3EEiiiiiiiiiiiliiliiiiil,@function
_ZL15flash_attn_tileILi256ELi256ELi16ELi2ELb0EEvPKcS1_S1_S1_S1_PKiPfP15HIP_vector_typeIfLj2EEffffjfiS5_IjLj3EEiiiiiiiiiiiliiliiiiil: ; @_ZL15flash_attn_tileILi256ELi256ELi16ELi2ELb0EEvPKcS1_S1_S1_S1_PKiPfP15HIP_vector_typeIfLj2EEffffjfiS5_IjLj3EEiiiiiiiiiiiliiliiiiil
; %bb.0:
	s_clause 0x1
	s_load_b128 s[24:27], s[0:1], 0x5c
	s_load_b64 s[30:31], s[0:1], 0x80
	s_mov_b64 s[34:35], 0
	s_waitcnt lgkmcnt(0)
	s_lshr_b32 s2, s27, 31
	s_delay_alu instid0(SALU_CYCLE_1) | instskip(NEXT) | instid1(SALU_CYCLE_1)
	s_add_i32 s2, s27, s2
	s_ashr_i32 s2, s2, 1
	s_delay_alu instid0(SALU_CYCLE_1) | instskip(SKIP_1) | instid1(VALU_DEP_1)
	v_cvt_f32_u32_e32 v1, s2
	s_sub_i32 s4, 0, s2
	v_rcp_iflag_f32_e32 v1, v1
	s_waitcnt_depctr 0xfff
	v_mul_f32_e32 v1, 0x4f7ffffe, v1
	s_delay_alu instid0(VALU_DEP_1) | instskip(NEXT) | instid1(VALU_DEP_1)
	v_cvt_u32_f32_e32 v1, v1
	v_readfirstlane_b32 s3, v1
	s_delay_alu instid0(VALU_DEP_1) | instskip(NEXT) | instid1(SALU_CYCLE_1)
	s_mul_i32 s4, s4, s3
	s_mul_hi_u32 s4, s3, s4
	s_delay_alu instid0(SALU_CYCLE_1) | instskip(NEXT) | instid1(SALU_CYCLE_1)
	s_add_i32 s3, s3, s4
	s_mul_hi_u32 s3, s15, s3
	s_delay_alu instid0(SALU_CYCLE_1) | instskip(SKIP_2) | instid1(SALU_CYCLE_1)
	s_mul_i32 s4, s3, s2
	s_add_i32 s5, s3, 1
	s_sub_i32 s4, s15, s4
	s_sub_i32 s6, s4, s2
	s_cmp_ge_u32 s4, s2
	s_cselect_b32 s3, s5, s3
	s_cselect_b32 s4, s6, s4
	s_add_i32 s5, s3, 1
	s_cmp_ge_u32 s4, s2
	s_cselect_b32 s33, s5, s3
	s_abs_i32 s2, s31
	s_abs_i32 s7, s27
	v_cvt_f32_u32_e32 v1, s2
	s_sub_i32 s4, 0, s2
	s_lshl_b32 s5, s15, 1
	s_mul_i32 s6, s33, s27
	s_delay_alu instid0(VALU_DEP_1) | instskip(SKIP_3) | instid1(VALU_DEP_1)
	v_rcp_iflag_f32_e32 v1, v1
	s_sub_i32 s28, s5, s6
	s_waitcnt_depctr 0xfff
	v_mul_f32_e32 v1, 0x4f7ffffe, v1
	v_cvt_u32_f32_e32 v1, v1
	s_delay_alu instid0(VALU_DEP_1) | instskip(NEXT) | instid1(VALU_DEP_1)
	v_readfirstlane_b32 s3, v1
	s_mul_i32 s4, s4, s3
	s_delay_alu instid0(SALU_CYCLE_1) | instskip(NEXT) | instid1(SALU_CYCLE_1)
	s_mul_hi_u32 s4, s3, s4
	s_add_i32 s3, s3, s4
	s_xor_b32 s4, s27, s31
	s_mul_hi_u32 s3, s7, s3
	s_ashr_i32 s4, s4, 31
	s_mul_i32 s5, s3, s2
	s_add_i32 s6, s3, 1
	s_sub_i32 s5, s7, s5
	s_delay_alu instid0(SALU_CYCLE_1)
	s_sub_i32 s7, s5, s2
	s_cmp_ge_u32 s5, s2
	s_cselect_b32 s3, s6, s3
	s_cselect_b32 s5, s7, s5
	s_add_i32 s6, s3, 1
	s_cmp_ge_u32 s5, s2
	s_cselect_b32 s2, s6, s3
	s_delay_alu instid0(SALU_CYCLE_1) | instskip(NEXT) | instid1(SALU_CYCLE_1)
	s_xor_b32 s2, s2, s4
	s_sub_i32 s11, s2, s4
	s_clause 0x1
	s_load_b512 s[36:51], s[0:1], 0x0
	s_load_b64 s[2:3], s[0:1], 0xb8
	s_abs_i32 s10, s11
	s_delay_alu instid0(SALU_CYCLE_1) | instskip(NEXT) | instid1(VALU_DEP_1)
	v_cvt_f32_u32_e32 v1, s10
	v_rcp_iflag_f32_e32 v1, v1
	s_waitcnt_depctr 0xfff
	v_mul_f32_e32 v1, 0x4f7ffffe, v1
	s_waitcnt lgkmcnt(0)
	s_cmp_eq_u64 s[42:43], 0
	s_delay_alu instid0(VALU_DEP_1) | instskip(NEXT) | instid1(VALU_DEP_1)
	v_cvt_u32_f32_e32 v1, v1
	v_readfirstlane_b32 s12, v1
	s_cbranch_scc1 .LBB26_2
; %bb.1:
	s_abs_i32 s2, s2
	s_abs_i32 s6, s33
	v_cvt_f32_u32_e32 v1, s2
	s_sub_i32 s5, 0, s2
	s_delay_alu instid0(VALU_DEP_1) | instskip(SKIP_2) | instid1(VALU_DEP_1)
	v_rcp_iflag_f32_e32 v1, v1
	s_waitcnt_depctr 0xfff
	v_mul_f32_e32 v1, 0x4f7ffffe, v1
	v_cvt_u32_f32_e32 v1, v1
	s_delay_alu instid0(VALU_DEP_1) | instskip(NEXT) | instid1(VALU_DEP_1)
	v_readfirstlane_b32 s4, v1
	s_mul_i32 s5, s5, s4
	s_delay_alu instid0(SALU_CYCLE_1) | instskip(NEXT) | instid1(SALU_CYCLE_1)
	s_mul_hi_u32 s5, s4, s5
	s_add_i32 s7, s4, s5
	s_load_b64 s[4:5], s[0:1], 0xc8
	s_mul_hi_u32 s7, s6, s7
	s_delay_alu instid0(SALU_CYCLE_1) | instskip(NEXT) | instid1(SALU_CYCLE_1)
	s_mul_i32 s7, s7, s2
	s_sub_i32 s6, s6, s7
	s_ashr_i32 s7, s33, 31
	s_sub_i32 s8, s6, s2
	s_cmp_ge_u32 s6, s2
	s_cselect_b32 s6, s8, s6
	s_delay_alu instid0(SALU_CYCLE_1) | instskip(SKIP_2) | instid1(SALU_CYCLE_1)
	s_sub_i32 s8, s6, s2
	s_cmp_ge_u32 s6, s2
	s_cselect_b32 s2, s8, s6
	s_xor_b32 s2, s2, s7
	s_delay_alu instid0(SALU_CYCLE_1)
	s_sub_i32 s2, s2, s7
	s_waitcnt lgkmcnt(0)
	s_mul_i32 s5, s2, s5
	s_mul_hi_u32 s6, s2, s4
	s_ashr_i32 s7, s2, 31
	s_add_i32 s5, s6, s5
	s_mul_i32 s7, s7, s4
	s_mul_i32 s2, s2, s4
	s_add_i32 s5, s5, s7
	s_add_u32 s34, s42, s2
	s_addc_u32 s35, s43, s5
.LBB26_2:
	v_bfe_u32 v4, v0, 10, 10
	s_lshl_b32 s31, s13, 4
	s_load_b128 s[4:7], s[0:1], 0x70
	v_and_b32_e32 v183, 0x3ff, v0
	s_delay_alu instid0(VALU_DEP_2) | instskip(NEXT) | instid1(VALU_DEP_2)
	v_lshlrev_b32_e32 v1, 2, v4
	v_lshlrev_b32_e32 v25, 4, v183
	;; [unrolled: 1-line block ×3, first 2 shown]
	s_delay_alu instid0(VALU_DEP_3) | instskip(SKIP_1) | instid1(VALU_DEP_2)
	v_or_b32_e32 v36, 3, v1
	v_or_b32_e32 v35, 2, v1
	v_lshrrev_b32_e32 v176, 1, v36
	s_delay_alu instid0(VALU_DEP_2) | instskip(SKIP_2) | instid1(VALU_DEP_4)
	v_lshrrev_b32_e32 v178, 1, v35
	v_lshlrev_b32_e32 v35, 7, v35
	v_lshlrev_b32_e32 v36, 7, v36
	v_add_nc_u32_e32 v177, s31, v176
	s_delay_alu instid0(VALU_DEP_4)
	v_add_nc_u32_e32 v180, s31, v178
	s_waitcnt lgkmcnt(0)
	s_mul_i32 s2, s33, s6
	s_mul_i32 s6, s28, s5
	s_ashr_i32 s7, s2, 31
	v_mul_hi_u32 v3, v177, s24
	v_mul_hi_u32 v2, v180, s24
	s_add_u32 s2, s36, s2
	s_addc_u32 s7, s37, s7
	s_ashr_i32 s8, s6, 31
	s_add_u32 s2, s2, s6
	s_addc_u32 s6, s7, s8
	s_ashr_i32 s7, s4, 31
	v_add_nc_u32_e32 v3, v177, v3
	v_add_nc_u32_e32 v2, v180, v2
	v_alignbit_b32 v10, s7, s4, 2
	s_lshr_b32 s4, s7, 2
	v_add_lshl_u32 v35, v35, v37, 2
	v_lshrrev_b32_e32 v3, s25, v3
	v_lshrrev_b32_e32 v2, s25, v2
	v_add_lshl_u32 v36, v36, v37, 2
	s_delay_alu instid0(VALU_DEP_4) | instskip(NEXT) | instid1(VALU_DEP_4)
	v_add_nc_u32_e32 v44, 0x4000, v35
	v_mul_lo_u32 v3, v3, s26
	s_delay_alu instid0(VALU_DEP_4) | instskip(NEXT) | instid1(VALU_DEP_4)
	v_mul_lo_u32 v6, v2, s26
	v_add_nc_u32_e32 v45, 0x4000, v36
	s_delay_alu instid0(VALU_DEP_3) | instskip(NEXT) | instid1(VALU_DEP_3)
	v_sub_nc_u32_e32 v13, v177, v3
	v_sub_nc_u32_e32 v12, v180, v6
	s_delay_alu instid0(VALU_DEP_2) | instskip(SKIP_1) | instid1(VALU_DEP_3)
	v_mad_u64_u32 v[8:9], null, v10, v13, 0
	v_lshlrev_b32_e32 v181, 1, v4
	v_mad_u64_u32 v[6:7], null, v10, v12, 0
	s_delay_alu instid0(VALU_DEP_3) | instskip(NEXT) | instid1(VALU_DEP_3)
	v_mov_b32_e32 v0, v9
	v_add_nc_u32_e32 v182, s31, v181
	s_delay_alu instid0(VALU_DEP_1) | instskip(NEXT) | instid1(VALU_DEP_1)
	v_mul_hi_u32 v1, v182, s24
	v_add_nc_u32_e32 v1, v182, v1
	s_delay_alu instid0(VALU_DEP_1) | instskip(NEXT) | instid1(VALU_DEP_1)
	v_lshrrev_b32_e32 v1, s25, v1
	v_mul_lo_u32 v1, v1, s26
	s_delay_alu instid0(VALU_DEP_1) | instskip(NEXT) | instid1(VALU_DEP_1)
	v_sub_nc_u32_e32 v5, v182, v1
	v_mad_u64_u32 v[1:2], null, v10, v5, 0
	s_delay_alu instid0(VALU_DEP_1) | instskip(NEXT) | instid1(VALU_DEP_1)
	v_mad_u64_u32 v[10:11], null, s4, v5, v[2:3]
	v_dual_mov_b32 v3, v7 :: v_dual_mov_b32 v2, v10
	s_delay_alu instid0(VALU_DEP_1) | instskip(NEXT) | instid1(VALU_DEP_4)
	v_mad_u64_u32 v[9:10], null, s4, v12, v[3:4]
	v_mad_u64_u32 v[10:11], null, s4, v13, v[0:1]
	s_delay_alu instid0(VALU_DEP_3) | instskip(SKIP_2) | instid1(SALU_CYCLE_1)
	v_lshlrev_b64 v[0:1], 2, v[1:2]
	s_ashr_i32 s4, s5, 31
	s_and_b32 s5, s5, -4
	s_add_u32 s5, s2, s5
	s_delay_alu instid0(VALU_DEP_3) | instskip(NEXT) | instid1(VALU_DEP_2)
	v_mov_b32_e32 v7, v9
	v_add_co_u32 v2, vcc_lo, s2, v0
	v_add_co_ci_u32_e32 v3, vcc_lo, s6, v1, vcc_lo
	s_addc_u32 s4, s6, s4
	v_add_co_u32 v0, vcc_lo, s5, v0
	v_mov_b32_e32 v9, v10
	v_add_co_ci_u32_e32 v1, vcc_lo, s4, v1, vcc_lo
	v_add_co_u32 v10, vcc_lo, v2, v25
	v_lshlrev_b64 v[19:20], 2, v[6:7]
	v_add_co_ci_u32_e32 v11, vcc_lo, 0, v3, vcc_lo
	v_add_co_u32 v15, vcc_lo, v0, v25
	v_lshlrev_b64 v[21:22], 2, v[8:9]
	v_add_co_ci_u32_e32 v16, vcc_lo, 0, v1, vcc_lo
	v_add_co_u32 v6, vcc_lo, s2, v19
	v_add_co_ci_u32_e32 v19, vcc_lo, s6, v20, vcc_lo
	s_delay_alu instid0(VALU_DEP_4) | instskip(SKIP_1) | instid1(VALU_DEP_4)
	v_add_co_u32 v20, vcc_lo, s5, v21
	v_add_co_ci_u32_e32 v21, vcc_lo, s4, v22, vcc_lo
	v_add_co_u32 v23, vcc_lo, v6, v25
	s_delay_alu instid0(VALU_DEP_4) | instskip(NEXT) | instid1(VALU_DEP_4)
	v_add_co_ci_u32_e32 v24, vcc_lo, 0, v19, vcc_lo
	v_add_co_u32 v31, vcc_lo, v20, v25
	s_clause 0x3
	global_load_b128 v[0:3], v[10:11], off
	global_load_b128 v[7:10], v[10:11], off offset:512
	global_load_b128 v[11:14], v[15:16], off
	global_load_b128 v[15:18], v[15:16], off offset:512
	v_add_co_ci_u32_e32 v32, vcc_lo, 0, v21, vcc_lo
	s_clause 0x3
	global_load_b128 v[19:22], v[23:24], off
	global_load_b128 v[23:26], v[23:24], off offset:512
	global_load_b128 v[27:30], v[31:32], off
	global_load_b128 v[31:34], v[31:32], off offset:512
	s_load_b32 s2, s[0:1], 0x40
	v_lshlrev_b32_e32 v6, 9, v4
	s_cmp_eq_u64 s[46:47], 0
	s_delay_alu instid0(VALU_DEP_1) | instskip(NEXT) | instid1(VALU_DEP_1)
	v_or_b32_e32 v38, v6, v37
	v_lshlrev_b32_e32 v38, 2, v38
	s_delay_alu instid0(VALU_DEP_1)
	v_add_nc_u32_e32 v43, 0x4000, v38
	s_waitcnt vmcnt(7) lgkmcnt(0)
	v_fma_mixlo_f16 v35, v0, s2, 0
	v_fma_mixlo_f16 v36, v2, s2, 0
	s_waitcnt vmcnt(6)
	v_fma_mixlo_f16 v37, v7, s2, 0
	v_fma_mixlo_f16 v38, v9, s2, 0
	s_waitcnt vmcnt(5)
	;; [unrolled: 3-line block ×3, first 2 shown]
	v_fma_mixlo_f16 v41, v15, s2, 0
	v_fma_mixlo_f16 v42, v17, s2, 0
	v_fma_mixhi_f16 v36, v3, s2, 0
	v_fma_mixhi_f16 v35, v1, s2, 0
	s_waitcnt vmcnt(3)
	v_fma_mixlo_f16 v0, v19, s2, 0
	v_fma_mixlo_f16 v1, v21, s2, 0
	s_waitcnt vmcnt(2)
	v_fma_mixlo_f16 v2, v23, s2, 0
	v_fma_mixlo_f16 v3, v25, s2, 0
	v_fma_mixhi_f16 v38, v10, s2, 0
	v_fma_mixhi_f16 v37, v8, s2, 0
	s_waitcnt vmcnt(1)
	v_fma_mixlo_f16 v7, v27, s2, 0
	v_fma_mixlo_f16 v8, v29, s2, 0
	s_waitcnt vmcnt(0)
	v_fma_mixlo_f16 v9, v31, s2, 0
	v_fma_mixlo_f16 v10, v33, s2, 0
	v_fma_mixhi_f16 v40, v14, s2, 0
	v_fma_mixhi_f16 v39, v12, s2, 0
	;; [unrolled: 1-line block ×12, first 2 shown]
	ds_store_2addr_b64 v43, v[35:36], v[37:38] offset0:128 offset1:160
	ds_store_2addr_b64 v43, v[39:40], v[41:42] offset0:192 offset1:224
	;; [unrolled: 1-line block ×4, first 2 shown]
	s_waitcnt lgkmcnt(0)
	s_barrier
	buffer_gl0_inv
	s_cbranch_scc1 .LBB26_4
; %bb.3:
	s_load_b32 s2, s[0:1], 0xd0
	s_mov_b32 s5, 0
	s_waitcnt lgkmcnt(0)
	s_mul_i32 s2, s2, s33
	s_delay_alu instid0(SALU_CYCLE_1) | instskip(NEXT) | instid1(SALU_CYCLE_1)
	s_add_i32 s4, s2, s13
	s_lshl_b64 s[4:5], s[4:5], 2
	s_delay_alu instid0(SALU_CYCLE_1)
	s_add_u32 s4, s46, s4
	s_addc_u32 s5, s47, s5
	s_load_b32 s30, s[4:5], 0x0
.LBB26_4:
	v_lshlrev_b32_e32 v179, 2, v183
	v_mbcnt_lo_u32_b32 v184, -1, 0
	s_lshl_b32 s29, s14, 6
	s_waitcnt lgkmcnt(0)
	s_cmp_lt_i32 s29, s30
	s_cbranch_scc1 .LBB26_6
; %bb.5:
	v_mbcnt_lo_u32_b32 v8, -1, 0
	v_mov_b32_e32 v7, 32
	s_mov_b32 s2, 0
	s_mov_b32 s4, 0xfeffffff
	s_delay_alu instid0(VALU_DEP_2)
	v_xor_b32_e32 v189, 16, v8
	v_xor_b32_e32 v188, 8, v8
	;; [unrolled: 1-line block ×5, first 2 shown]
	s_branch .LBB26_7
.LBB26_6:
	s_mov_b32 s2, -1
                                        ; implicit-def: $sgpr4
                                        ; implicit-def: $vgpr8
                                        ; implicit-def: $vgpr7
                                        ; implicit-def: $vgpr189
                                        ; implicit-def: $vgpr188
                                        ; implicit-def: $vgpr187
                                        ; implicit-def: $vgpr186
                                        ; implicit-def: $vgpr185
.LBB26_7:
	s_delay_alu instid0(SALU_CYCLE_1) | instskip(SKIP_2) | instid1(VALU_DEP_3)
	v_cndmask_b32_e64 v0, 0, 1, s2
	v_dual_mov_b32 v3, s4 :: v_dual_mov_b32 v214, s2
	v_dual_mov_b32 v40, s2 :: v_dual_mov_b32 v1, s4
	v_cmp_ne_u32_e32 vcc_lo, 1, v0
	v_dual_mov_b32 v2, s4 :: v_dual_mov_b32 v217, s2
	v_dual_mov_b32 v0, s4 :: v_dual_mov_b32 v215, s2
	;; [unrolled: 1-line block ×10, first 2 shown]
	s_cbranch_vccnz .LBB26_11
; %bb.8:
	s_clause 0x1
	s_load_b128 s[4:7], s[0:1], 0x98
	s_load_b64 s[8:9], s[0:1], 0x8c
	s_sub_i32 s2, 0, s10
	s_abs_i32 s13, s28
	s_mul_i32 s2, s2, s12
	s_ashr_i32 s15, s28, 31
	s_mul_hi_u32 s2, s12, s2
	s_ashr_i32 s11, s11, 31
	s_add_i32 s12, s12, s2
	s_ashr_i32 s2, s3, 1
	s_mul_hi_u32 s3, s13, s12
	s_ashr_i32 s12, s33, 31
	s_load_b64 s[16:17], s[0:1], 0xa8
	s_mul_i32 s18, s3, s10
	v_add3_u32 v13, s31, v181, 1
	v_lshrrev_b32_e32 v0, 4, v183
	v_dual_mov_b32 v28, 0 :: v_dual_and_b32 v17, 60, v179
	v_mov_b32_e32 v29, 0
	s_delay_alu instid0(VALU_DEP_4)
	v_mul_hi_u32 v2, s24, v13
	s_waitcnt lgkmcnt(0)
	s_ashr_i32 s42, s6, 2
	s_mul_i32 s5, s33, s5
	s_mul_hi_u32 s6, s33, s4
	s_ashr_i32 s43, s8, 2
	s_mul_i32 s8, s12, s4
	s_add_i32 s5, s6, s5
	s_mul_i32 s4, s33, s4
	s_add_i32 s5, s5, s8
	s_add_u32 s4, s38, s4
	s_addc_u32 s5, s39, s5
	s_sub_i32 s8, s13, s18
	s_xor_b32 s6, s15, s11
	s_add_i32 s11, s3, 1
	s_sub_i32 s13, s8, s10
	s_cmp_ge_u32 s8, s10
	v_add_nc_u32_e32 v0, v0, v181
	s_cselect_b32 s3, s11, s3
	s_cselect_b32 s8, s13, s8
	s_add_i32 s11, s3, 1
	s_cmp_ge_u32 s8, s10
	s_mul_i32 s8, s33, s17
	s_cselect_b32 s3, s11, s3
	s_mul_i32 s12, s12, s16
	s_xor_b32 s3, s3, s6
	v_mul_lo_u32 v1, s43, v0
	s_sub_i32 s3, s3, s6
	s_mul_hi_u32 s6, s33, s16
	s_mul_i32 s9, s3, s9
	s_mul_i32 s3, s3, s7
	s_ashr_i32 s10, s9, 31
	s_add_u32 s38, s4, s9
	s_addc_u32 s39, s5, s10
	s_add_i32 s4, s6, s8
	s_mul_i32 s5, s33, s16
	s_add_i32 s4, s4, s12
	v_lshlrev_b32_e32 v3, 2, v17
	v_dual_mov_b32 v31, 0 :: v_dual_add_nc_u32 v2, v13, v2
	s_add_u32 s5, s40, s5
	s_addc_u32 s4, s41, s4
	s_ashr_i32 s6, s3, 31
	s_add_u32 s40, s5, s3
	s_addc_u32 s41, s4, s6
	s_lshl_b32 s3, s43, 4
	v_mad_u32_u24 v190, 0x110, v0, v3
	v_lshrrev_b32_e32 v0, s25, v2
	v_dual_mov_b32 v30, 0 :: v_dual_add_nc_u32 v7, s3, v1
	v_mul_lo_u32 v3, s42, v4
	v_mov_b32_e32 v34, 0
	s_delay_alu instid0(VALU_DEP_4) | instskip(NEXT) | instid1(VALU_DEP_4)
	v_mul_lo_u32 v0, v0, s26
	v_add_nc_u32_e32 v9, s3, v7
	v_ashrrev_i32_e32 v2, 31, v1
	v_mul_lo_u32 v197, v5, s2
	v_mov_b32_e32 v42, 0
	v_dual_mov_b32 v35, 0 :: v_dual_lshlrev_b32 v196, 2, v179
	v_dual_mov_b32 v38, 0 :: v_dual_add_nc_u32 v11, s3, v9
	s_lshl_b32 s3, s42, 3
	v_sub_nc_u32_e32 v0, v13, v0
	v_add_nc_u32_e32 v13, s3, v3
	v_lshlrev_b64 v[160:161], 2, v[1:2]
	v_mov_b32_e32 v2, 0xfeffffff
	v_ashrrev_i32_e32 v8, 31, v7
	v_ashrrev_i32_e32 v10, 31, v9
	v_add_nc_u32_e32 v5, s3, v13
	v_ashrrev_i32_e32 v12, 31, v11
	v_lshl_add_u32 v195, v4, 11, 0x4400
	v_mul_lo_u32 v198, v0, s2
	v_dual_mov_b32 v40, 0 :: v_dual_add_nc_u32 v199, 0x8400, v6
	v_dual_mov_b32 v214, 0 :: v_dual_add_nc_u32 v15, s3, v5
	v_lshl_add_u32 v0, v4, 9, v196
	v_dual_mov_b32 v216, 0 :: v_dual_add_nc_u32 v201, v6, v196
	v_ashrrev_i32_e32 v4, 31, v3
	v_ashrrev_i32_e32 v14, 31, v13
	;; [unrolled: 1-line block ×4, first 2 shown]
	v_dual_mov_b32 v37, 0 :: v_dual_lshlrev_b32 v200, 3, v183
	v_lshlrev_b64 v[162:163], 2, v[7:8]
	v_lshlrev_b64 v[164:165], 2, v[9:10]
	;; [unrolled: 1-line block ×7, first 2 shown]
	v_dual_mov_b32 v32, 0 :: v_dual_add_nc_u32 v191, 0x1100, v190
	v_dual_mov_b32 v33, 0 :: v_dual_add_nc_u32 v192, 0x2200, v190
	;; [unrolled: 1-line block ×3, first 2 shown]
	v_mul_u32_u24_e32 v194, 0x110, v183
	v_dual_mov_b32 v39, 0 :: v_dual_add_nc_u32 v202, 0x1000, v0
	v_add_nc_u32_e32 v203, 0x2000, v0
	v_dual_mov_b32 v41, 0 :: v_dual_add_nc_u32 v204, 0x3000, v0
	v_dual_mov_b32 v0, 0xfeffffff :: v_dual_lshlrev_b32 v205, 2, v17
	v_xor_b32_e32 v189, 16, v184
	v_xor_b32_e32 v188, 8, v184
	;; [unrolled: 1-line block ×5, first 2 shown]
	v_dual_mov_b32 v43, 0 :: v_dual_add_nc_u32 v206, v199, v200
	v_add_nc_u32_e32 v207, 0x800, v200
	v_dual_mov_b32 v215, 0 :: v_dual_add_nc_u32 v208, 0x1000, v200
	v_add_nc_u32_e32 v209, 0x1800, v200
	;; [unrolled: 2-line block ×3, first 2 shown]
	v_add_nc_u32_e32 v212, 0x3000, v200
	v_add_nc_u32_e32 v213, 0x3800, v200
	v_mov_b32_e32 v1, 0xfeffffff
	v_mov_b32_e32 v3, 0xfeffffff
	s_add_u32 s36, s0, 0xd0
	s_addc_u32 s37, s1, 0
.LBB26_9:                               ; =>This Inner Loop Header: Depth=1
	s_mul_hi_i32 s7, s29, s43
	s_mul_i32 s6, s29, s43
	v_cmp_gt_i32_e64 s5, 32, v185
	v_cmp_gt_i32_e64 s4, 32, v186
	v_cmp_gt_i32_e32 vcc_lo, 32, v189
	v_cmp_gt_i32_e64 s2, 32, v188
	v_cmp_gt_i32_e64 s3, 32, v187
	s_lshl_b64 s[6:7], s[6:7], 2
	v_dual_mov_b32 v50, v0 :: v_dual_mov_b32 v51, 0
	v_add_nc_u32_e32 v0, s29, v183
	s_mul_hi_i32 s9, s29, s42
	s_mul_i32 s8, s29, s42
	s_add_u32 s10, s38, s6
	v_cndmask_b32_e64 v14, v184, v185, s5
	s_addc_u32 s5, s39, s7
	s_lshl_b64 s[6:7], s[8:9], 2
	v_cndmask_b32_e64 v13, v184, v186, s4
	v_add_co_u32 v8, s4, s10, v160
	v_cndmask_b32_e64 v6, v184, v188, s2
	v_cndmask_b32_e32 v4, v184, v189, vcc_lo
	v_cndmask_b32_e64 v12, v184, v187, s3
	v_add_co_u32 v9, vcc_lo, s10, v162
	s_delay_alu instid0(VALU_DEP_4)
	v_lshlrev_b32_e32 v63, 2, v6
	v_add_co_u32 v10, s2, s10, v164
	v_add_co_u32 v11, s3, s10, v166
	s_add_u32 s6, s40, s6
	v_dual_mov_b32 v47, v3 :: v_dual_mov_b32 v48, v2
	v_add_nc_u32_e32 v3, v0, v197
	v_add_nc_u32_e32 v5, v0, v198
	v_add_co_ci_u32_e64 v0, s4, s5, v161, s4
	v_dual_mov_b32 v46, v215 :: v_dual_mov_b32 v49, v1
	v_add_co_ci_u32_e32 v1, vcc_lo, s5, v163, vcc_lo
	v_add_co_ci_u32_e64 v2, vcc_lo, s5, v165, s2
	v_add_co_ci_u32_e64 v7, vcc_lo, s5, v167, s3
	s_addc_u32 s5, s41, s7
	v_add_co_u32 v18, s4, s6, v168
	v_add_co_u32 v15, vcc_lo, s6, v170
	v_add_co_u32 v16, s2, s6, v172
	v_add_co_u32 v17, s3, s6, v174
	v_lshlrev_b32_e32 v61, 2, v13
	v_add_co_ci_u32_e64 v13, s4, s5, v169, s4
	v_add_co_ci_u32_e32 v19, vcc_lo, s5, v171, vcc_lo
	v_add_co_ci_u32_e64 v65, vcc_lo, s5, v173, s2
	v_add_co_ci_u32_e64 v66, vcc_lo, s5, v175, s3
	v_add_co_u32 v26, s4, v8, v205
	v_add_co_u32 v20, vcc_lo, v9, v205
	v_lshlrev_b32_e32 v64, 2, v4
	v_ashrrev_i32_e32 v4, 31, v3
	v_add_co_u32 v22, s2, v10, v205
	v_add_co_u32 v24, s3, v11, v205
	v_add_co_ci_u32_e64 v27, s4, 0, v0, s4
	v_add_co_ci_u32_e32 v21, vcc_lo, 0, v1, vcc_lo
	v_add_co_ci_u32_e64 v23, vcc_lo, 0, v2, s2
	v_add_co_ci_u32_e64 v25, vcc_lo, 0, v7, s3
	v_lshlrev_b32_e32 v62, 2, v12
	v_lshlrev_b32_e32 v60, 2, v14
	v_add_co_u32 v0, vcc_lo, v15, v196
	v_add_co_u32 v2, s2, v16, v196
	v_add_co_u32 v12, s3, v17, v196
	;; [unrolled: 1-line block ×3, first 2 shown]
	v_lshlrev_b64 v[8:9], 1, v[3:4]
	v_add_co_ci_u32_e64 v15, s4, 0, v13, s4
	v_add_co_ci_u32_e32 v1, vcc_lo, 0, v19, vcc_lo
	v_add_co_ci_u32_e64 v3, vcc_lo, 0, v65, s2
	v_add_co_ci_u32_e64 v13, vcc_lo, 0, v66, s3
	s_clause 0x3
	global_load_b128 v[65:68], v[26:27], off
	global_load_b128 v[69:72], v[20:21], off
	;; [unrolled: 1-line block ×4, first 2 shown]
	s_or_b32 s8, s29, 32
	v_ashrrev_i32_e32 v6, 31, v5
	s_mul_hi_i32 s7, s8, s42
	s_mul_i32 s6, s8, s42
	v_dual_mov_b32 v52, 0 :: v_dual_mov_b32 v53, 0
	s_lshl_b64 s[6:7], s[6:7], 2
	v_lshlrev_b64 v[4:5], 1, v[5:6]
	s_add_u32 s5, s40, s6
	s_addc_u32 s6, s41, s7
	v_add_co_u32 v7, vcc_lo, s5, v168
	v_add_co_u32 v6, s2, s5, v170
	v_add_co_u32 v10, s3, s5, v172
	;; [unrolled: 1-line block ×3, first 2 shown]
	v_add_co_ci_u32_e32 v81, vcc_lo, s6, v169, vcc_lo
	v_add_co_ci_u32_e64 v82, vcc_lo, s6, v171, s2
	v_add_co_ci_u32_e64 v83, vcc_lo, s6, v173, s3
	;; [unrolled: 1-line block ×3, first 2 shown]
	v_add_co_u32 v16, vcc_lo, s34, v8
	v_add_co_u32 v18, s2, s34, v4
	v_add_co_u32 v6, s3, v6, v196
	;; [unrolled: 1-line block ×5, first 2 shown]
	v_add_co_ci_u32_e32 v17, vcc_lo, s35, v9, vcc_lo
	v_add_co_ci_u32_e64 v19, vcc_lo, s35, v5, s2
	v_add_co_ci_u32_e64 v11, vcc_lo, 0, v81, s6
	;; [unrolled: 1-line block ×5, first 2 shown]
	v_dual_mov_b32 v54, 0 :: v_dual_mov_b32 v55, 0
	v_dual_mov_b32 v56, 0 :: v_dual_mov_b32 v57, 0
	;; [unrolled: 1-line block ×4, first 2 shown]
	s_waitcnt vmcnt(3)
	ds_store_b128 v190, v[65:68]
	s_waitcnt vmcnt(2)
	ds_store_b128 v191, v[69:72]
	;; [unrolled: 2-line block ×4, first 2 shown]
	s_waitcnt lgkmcnt(0)
	s_barrier
	buffer_gl0_inv
	ds_load_b128 v[65:68], v194
	ds_load_b128 v[69:72], v195
	ds_load_b128 v[73:76], v195 offset:512
	ds_load_b128 v[77:80], v195 offset:1024
	ds_load_b128 v[81:84], v195 offset:1536
	ds_load_b128 v[85:88], v194 offset:8704
	s_waitcnt lgkmcnt(4)
	;;#ASMSTART
	v_dot2_f32_f16 v51, v65, v69, v51
	;;#ASMEND
	;;#ASMSTART
	v_dot2_f32_f16 v51, v66, v70, v51
	;;#ASMEND
	;;#ASMSTART
	v_dot2_f32_f16 v51, v67, v71, v51
	;;#ASMEND
	;;#ASMSTART
	v_dot2_f32_f16 v51, v68, v72, v51
	;;#ASMEND
	s_waitcnt lgkmcnt(3)
	;;#ASMSTART
	v_dot2_f32_f16 v52, v65, v73, v52
	;;#ASMEND
	;;#ASMSTART
	v_dot2_f32_f16 v52, v66, v74, v52
	;;#ASMEND
	;;#ASMSTART
	v_dot2_f32_f16 v52, v67, v75, v52
	;;#ASMEND
	;;#ASMSTART
	v_dot2_f32_f16 v52, v68, v76, v52
	;;#ASMEND
	;; [unrolled: 13-line block ×5, first 2 shown]
	;;#ASMSTART
	v_dot2_f32_f16 v56, v85, v73, v56
	;;#ASMEND
	;;#ASMSTART
	v_dot2_f32_f16 v56, v86, v74, v56
	;;#ASMEND
	;; [unrolled: 3-line block ×12, first 2 shown]
	ds_load_b128 v[65:68], v194 offset:16
	ds_load_b128 v[69:72], v195 offset:16
	;; [unrolled: 1-line block ×6, first 2 shown]
	s_waitcnt lgkmcnt(4)
	;;#ASMSTART
	v_dot2_f32_f16 v51, v65, v69, v51
	;;#ASMEND
	;;#ASMSTART
	v_dot2_f32_f16 v51, v66, v70, v51
	;;#ASMEND
	;;#ASMSTART
	v_dot2_f32_f16 v51, v67, v71, v51
	;;#ASMEND
	;;#ASMSTART
	v_dot2_f32_f16 v51, v68, v72, v51
	;;#ASMEND
	s_waitcnt lgkmcnt(3)
	;;#ASMSTART
	v_dot2_f32_f16 v52, v65, v73, v52
	;;#ASMEND
	;;#ASMSTART
	v_dot2_f32_f16 v52, v66, v74, v52
	;;#ASMEND
	;;#ASMSTART
	v_dot2_f32_f16 v52, v67, v75, v52
	;;#ASMEND
	;;#ASMSTART
	v_dot2_f32_f16 v52, v68, v76, v52
	;;#ASMEND
	;; [unrolled: 13-line block ×5, first 2 shown]
	;;#ASMSTART
	v_dot2_f32_f16 v56, v85, v73, v56
	;;#ASMEND
	;;#ASMSTART
	v_dot2_f32_f16 v56, v86, v74, v56
	;;#ASMEND
	;; [unrolled: 3-line block ×12, first 2 shown]
	ds_load_b128 v[65:68], v194 offset:32
	ds_load_b128 v[69:72], v195 offset:32
	;; [unrolled: 1-line block ×6, first 2 shown]
	s_waitcnt lgkmcnt(4)
	;;#ASMSTART
	v_dot2_f32_f16 v51, v65, v69, v51
	;;#ASMEND
	;;#ASMSTART
	v_dot2_f32_f16 v51, v66, v70, v51
	;;#ASMEND
	;;#ASMSTART
	v_dot2_f32_f16 v51, v67, v71, v51
	;;#ASMEND
	;;#ASMSTART
	v_dot2_f32_f16 v51, v68, v72, v51
	;;#ASMEND
	s_waitcnt lgkmcnt(3)
	;;#ASMSTART
	v_dot2_f32_f16 v52, v65, v73, v52
	;;#ASMEND
	;;#ASMSTART
	v_dot2_f32_f16 v52, v66, v74, v52
	;;#ASMEND
	;;#ASMSTART
	v_dot2_f32_f16 v52, v67, v75, v52
	;;#ASMEND
	;;#ASMSTART
	v_dot2_f32_f16 v52, v68, v76, v52
	;;#ASMEND
	;; [unrolled: 13-line block ×5, first 2 shown]
	;;#ASMSTART
	v_dot2_f32_f16 v56, v85, v73, v56
	;;#ASMEND
	;;#ASMSTART
	v_dot2_f32_f16 v56, v86, v74, v56
	;;#ASMEND
	;; [unrolled: 3-line block ×12, first 2 shown]
	ds_load_b128 v[65:68], v194 offset:48
	ds_load_b128 v[69:72], v195 offset:48
	;; [unrolled: 1-line block ×6, first 2 shown]
	s_waitcnt lgkmcnt(4)
	;;#ASMSTART
	v_dot2_f32_f16 v51, v65, v69, v51
	;;#ASMEND
	;;#ASMSTART
	v_dot2_f32_f16 v51, v66, v70, v51
	;;#ASMEND
	;;#ASMSTART
	v_dot2_f32_f16 v51, v67, v71, v51
	;;#ASMEND
	;;#ASMSTART
	v_dot2_f32_f16 v51, v68, v72, v51
	;;#ASMEND
	s_waitcnt lgkmcnt(3)
	;;#ASMSTART
	v_dot2_f32_f16 v52, v65, v73, v52
	;;#ASMEND
	;;#ASMSTART
	v_dot2_f32_f16 v52, v66, v74, v52
	;;#ASMEND
	;;#ASMSTART
	v_dot2_f32_f16 v52, v67, v75, v52
	;;#ASMEND
	;;#ASMSTART
	v_dot2_f32_f16 v52, v68, v76, v52
	;;#ASMEND
	;; [unrolled: 13-line block ×5, first 2 shown]
	;;#ASMSTART
	v_dot2_f32_f16 v56, v85, v73, v56
	;;#ASMEND
	;;#ASMSTART
	v_dot2_f32_f16 v56, v86, v74, v56
	;;#ASMEND
	;; [unrolled: 3-line block ×12, first 2 shown]
	ds_load_b128 v[65:68], v194 offset:64
	ds_load_b128 v[69:72], v195 offset:64
	;; [unrolled: 1-line block ×6, first 2 shown]
	s_waitcnt lgkmcnt(4)
	;;#ASMSTART
	v_dot2_f32_f16 v51, v65, v69, v51
	;;#ASMEND
	;;#ASMSTART
	v_dot2_f32_f16 v51, v66, v70, v51
	;;#ASMEND
	;;#ASMSTART
	v_dot2_f32_f16 v51, v67, v71, v51
	;;#ASMEND
	;;#ASMSTART
	v_dot2_f32_f16 v51, v68, v72, v51
	;;#ASMEND
	s_waitcnt lgkmcnt(3)
	;;#ASMSTART
	v_dot2_f32_f16 v52, v65, v73, v52
	;;#ASMEND
	;;#ASMSTART
	v_dot2_f32_f16 v52, v66, v74, v52
	;;#ASMEND
	;;#ASMSTART
	v_dot2_f32_f16 v52, v67, v75, v52
	;;#ASMEND
	;;#ASMSTART
	v_dot2_f32_f16 v52, v68, v76, v52
	;;#ASMEND
	;; [unrolled: 13-line block ×5, first 2 shown]
	;;#ASMSTART
	v_dot2_f32_f16 v56, v85, v73, v56
	;;#ASMEND
	;;#ASMSTART
	v_dot2_f32_f16 v56, v86, v74, v56
	;;#ASMEND
	;; [unrolled: 3-line block ×12, first 2 shown]
	ds_load_b128 v[65:68], v194 offset:80
	ds_load_b128 v[69:72], v195 offset:80
	;; [unrolled: 1-line block ×6, first 2 shown]
	s_waitcnt lgkmcnt(4)
	;;#ASMSTART
	v_dot2_f32_f16 v51, v65, v69, v51
	;;#ASMEND
	;;#ASMSTART
	v_dot2_f32_f16 v51, v66, v70, v51
	;;#ASMEND
	;;#ASMSTART
	v_dot2_f32_f16 v51, v67, v71, v51
	;;#ASMEND
	;;#ASMSTART
	v_dot2_f32_f16 v51, v68, v72, v51
	;;#ASMEND
	s_waitcnt lgkmcnt(3)
	;;#ASMSTART
	v_dot2_f32_f16 v52, v65, v73, v52
	;;#ASMEND
	;;#ASMSTART
	v_dot2_f32_f16 v52, v66, v74, v52
	;;#ASMEND
	;;#ASMSTART
	v_dot2_f32_f16 v52, v67, v75, v52
	;;#ASMEND
	;;#ASMSTART
	v_dot2_f32_f16 v52, v68, v76, v52
	;;#ASMEND
	;; [unrolled: 13-line block ×5, first 2 shown]
	;;#ASMSTART
	v_dot2_f32_f16 v56, v85, v73, v56
	;;#ASMEND
	;;#ASMSTART
	v_dot2_f32_f16 v56, v86, v74, v56
	;;#ASMEND
	;;#ASMSTART
	v_dot2_f32_f16 v56, v87, v75, v56
	;;#ASMEND
	;;#ASMSTART
	v_dot2_f32_f16 v56, v88, v76, v56
	;;#ASMEND
	;;#ASMSTART
	v_dot2_f32_f16 v57, v85, v77, v57
	;;#ASMEND
	;;#ASMSTART
	v_dot2_f32_f16 v57, v86, v78, v57
	;;#ASMEND
	;;#ASMSTART
	v_dot2_f32_f16 v57, v87, v79, v57
	;;#ASMEND
	;;#ASMSTART
	v_dot2_f32_f16 v57, v88, v80, v57
	;;#ASMEND
	;;#ASMSTART
	v_dot2_f32_f16 v58, v85, v81, v58
	;;#ASMEND
	;;#ASMSTART
	v_dot2_f32_f16 v58, v86, v82, v58
	;;#ASMEND
	;;#ASMSTART
	v_dot2_f32_f16 v58, v87, v83, v58
	;;#ASMEND
	;;#ASMSTART
	v_dot2_f32_f16 v58, v88, v84, v58
	;;#ASMEND
	ds_load_b128 v[65:68], v194 offset:96
	ds_load_b128 v[69:72], v195 offset:96
	;; [unrolled: 1-line block ×6, first 2 shown]
	s_waitcnt lgkmcnt(4)
	;;#ASMSTART
	v_dot2_f32_f16 v51, v65, v69, v51
	;;#ASMEND
	;;#ASMSTART
	v_dot2_f32_f16 v51, v66, v70, v51
	;;#ASMEND
	;;#ASMSTART
	v_dot2_f32_f16 v51, v67, v71, v51
	;;#ASMEND
	;;#ASMSTART
	v_dot2_f32_f16 v51, v68, v72, v51
	;;#ASMEND
	s_waitcnt lgkmcnt(3)
	;;#ASMSTART
	v_dot2_f32_f16 v52, v65, v73, v52
	;;#ASMEND
	;;#ASMSTART
	v_dot2_f32_f16 v52, v66, v74, v52
	;;#ASMEND
	;;#ASMSTART
	v_dot2_f32_f16 v52, v67, v75, v52
	;;#ASMEND
	;;#ASMSTART
	v_dot2_f32_f16 v52, v68, v76, v52
	;;#ASMEND
	;; [unrolled: 13-line block ×5, first 2 shown]
	;;#ASMSTART
	v_dot2_f32_f16 v56, v85, v73, v56
	;;#ASMEND
	;;#ASMSTART
	v_dot2_f32_f16 v56, v86, v74, v56
	;;#ASMEND
	;; [unrolled: 3-line block ×12, first 2 shown]
	ds_load_b128 v[65:68], v194 offset:112
	ds_load_b128 v[69:72], v195 offset:112
	;; [unrolled: 1-line block ×6, first 2 shown]
	s_waitcnt lgkmcnt(4)
	;;#ASMSTART
	v_dot2_f32_f16 v51, v65, v69, v51
	;;#ASMEND
	;;#ASMSTART
	v_dot2_f32_f16 v51, v66, v70, v51
	;;#ASMEND
	;;#ASMSTART
	v_dot2_f32_f16 v51, v67, v71, v51
	;;#ASMEND
	;;#ASMSTART
	v_dot2_f32_f16 v51, v68, v72, v51
	;;#ASMEND
	s_waitcnt lgkmcnt(3)
	;;#ASMSTART
	v_dot2_f32_f16 v52, v65, v73, v52
	;;#ASMEND
	;;#ASMSTART
	v_dot2_f32_f16 v52, v66, v74, v52
	;;#ASMEND
	;;#ASMSTART
	v_dot2_f32_f16 v52, v67, v75, v52
	;;#ASMEND
	;;#ASMSTART
	v_dot2_f32_f16 v52, v68, v76, v52
	;;#ASMEND
	;; [unrolled: 13-line block ×5, first 2 shown]
	;;#ASMSTART
	v_dot2_f32_f16 v56, v85, v73, v56
	;;#ASMEND
	;;#ASMSTART
	v_dot2_f32_f16 v56, v86, v74, v56
	;;#ASMEND
	;; [unrolled: 3-line block ×12, first 2 shown]
	ds_load_b128 v[65:68], v194 offset:128
	ds_load_b128 v[69:72], v195 offset:128
	;; [unrolled: 1-line block ×6, first 2 shown]
	s_waitcnt lgkmcnt(4)
	;;#ASMSTART
	v_dot2_f32_f16 v51, v65, v69, v51
	;;#ASMEND
	;;#ASMSTART
	v_dot2_f32_f16 v51, v66, v70, v51
	;;#ASMEND
	;;#ASMSTART
	v_dot2_f32_f16 v51, v67, v71, v51
	;;#ASMEND
	;;#ASMSTART
	v_dot2_f32_f16 v51, v68, v72, v51
	;;#ASMEND
	s_waitcnt lgkmcnt(3)
	;;#ASMSTART
	v_dot2_f32_f16 v52, v65, v73, v52
	;;#ASMEND
	;;#ASMSTART
	v_dot2_f32_f16 v52, v66, v74, v52
	;;#ASMEND
	;;#ASMSTART
	v_dot2_f32_f16 v52, v67, v75, v52
	;;#ASMEND
	;;#ASMSTART
	v_dot2_f32_f16 v52, v68, v76, v52
	;;#ASMEND
	;; [unrolled: 13-line block ×5, first 2 shown]
	;;#ASMSTART
	v_dot2_f32_f16 v56, v85, v73, v56
	;;#ASMEND
	;;#ASMSTART
	v_dot2_f32_f16 v56, v86, v74, v56
	;;#ASMEND
	;; [unrolled: 3-line block ×12, first 2 shown]
	ds_load_b128 v[65:68], v194 offset:144
	ds_load_b128 v[69:72], v195 offset:144
	;; [unrolled: 1-line block ×6, first 2 shown]
	s_waitcnt lgkmcnt(4)
	;;#ASMSTART
	v_dot2_f32_f16 v51, v65, v69, v51
	;;#ASMEND
	;;#ASMSTART
	v_dot2_f32_f16 v51, v66, v70, v51
	;;#ASMEND
	;;#ASMSTART
	v_dot2_f32_f16 v51, v67, v71, v51
	;;#ASMEND
	;;#ASMSTART
	v_dot2_f32_f16 v51, v68, v72, v51
	;;#ASMEND
	s_waitcnt lgkmcnt(3)
	;;#ASMSTART
	v_dot2_f32_f16 v52, v65, v73, v52
	;;#ASMEND
	;;#ASMSTART
	v_dot2_f32_f16 v52, v66, v74, v52
	;;#ASMEND
	;;#ASMSTART
	v_dot2_f32_f16 v52, v67, v75, v52
	;;#ASMEND
	;;#ASMSTART
	v_dot2_f32_f16 v52, v68, v76, v52
	;;#ASMEND
	;; [unrolled: 13-line block ×5, first 2 shown]
	;;#ASMSTART
	v_dot2_f32_f16 v56, v85, v73, v56
	;;#ASMEND
	;;#ASMSTART
	v_dot2_f32_f16 v56, v86, v74, v56
	;;#ASMEND
	;; [unrolled: 3-line block ×12, first 2 shown]
	ds_load_b128 v[65:68], v194 offset:160
	ds_load_b128 v[69:72], v195 offset:160
	;; [unrolled: 1-line block ×6, first 2 shown]
	s_waitcnt lgkmcnt(4)
	;;#ASMSTART
	v_dot2_f32_f16 v51, v65, v69, v51
	;;#ASMEND
	;;#ASMSTART
	v_dot2_f32_f16 v51, v66, v70, v51
	;;#ASMEND
	;;#ASMSTART
	v_dot2_f32_f16 v51, v67, v71, v51
	;;#ASMEND
	;;#ASMSTART
	v_dot2_f32_f16 v51, v68, v72, v51
	;;#ASMEND
	s_waitcnt lgkmcnt(3)
	;;#ASMSTART
	v_dot2_f32_f16 v52, v65, v73, v52
	;;#ASMEND
	;;#ASMSTART
	v_dot2_f32_f16 v52, v66, v74, v52
	;;#ASMEND
	;;#ASMSTART
	v_dot2_f32_f16 v52, v67, v75, v52
	;;#ASMEND
	;;#ASMSTART
	v_dot2_f32_f16 v52, v68, v76, v52
	;;#ASMEND
	;; [unrolled: 13-line block ×5, first 2 shown]
	;;#ASMSTART
	v_dot2_f32_f16 v56, v85, v73, v56
	;;#ASMEND
	;;#ASMSTART
	v_dot2_f32_f16 v56, v86, v74, v56
	;;#ASMEND
	;; [unrolled: 3-line block ×12, first 2 shown]
	ds_load_b128 v[65:68], v194 offset:176
	ds_load_b128 v[69:72], v195 offset:176
	;; [unrolled: 1-line block ×6, first 2 shown]
	s_waitcnt lgkmcnt(4)
	;;#ASMSTART
	v_dot2_f32_f16 v51, v65, v69, v51
	;;#ASMEND
	;;#ASMSTART
	v_dot2_f32_f16 v51, v66, v70, v51
	;;#ASMEND
	;;#ASMSTART
	v_dot2_f32_f16 v51, v67, v71, v51
	;;#ASMEND
	;;#ASMSTART
	v_dot2_f32_f16 v51, v68, v72, v51
	;;#ASMEND
	s_waitcnt lgkmcnt(3)
	;;#ASMSTART
	v_dot2_f32_f16 v52, v65, v73, v52
	;;#ASMEND
	;;#ASMSTART
	v_dot2_f32_f16 v52, v66, v74, v52
	;;#ASMEND
	;;#ASMSTART
	v_dot2_f32_f16 v52, v67, v75, v52
	;;#ASMEND
	;;#ASMSTART
	v_dot2_f32_f16 v52, v68, v76, v52
	;;#ASMEND
	;; [unrolled: 13-line block ×5, first 2 shown]
	;;#ASMSTART
	v_dot2_f32_f16 v56, v85, v73, v56
	;;#ASMEND
	;;#ASMSTART
	v_dot2_f32_f16 v56, v86, v74, v56
	;;#ASMEND
	;; [unrolled: 3-line block ×12, first 2 shown]
	ds_load_b128 v[65:68], v194 offset:192
	ds_load_b128 v[69:72], v195 offset:192
	;; [unrolled: 1-line block ×6, first 2 shown]
	s_waitcnt lgkmcnt(4)
	;;#ASMSTART
	v_dot2_f32_f16 v51, v65, v69, v51
	;;#ASMEND
	;;#ASMSTART
	v_dot2_f32_f16 v51, v66, v70, v51
	;;#ASMEND
	;;#ASMSTART
	v_dot2_f32_f16 v51, v67, v71, v51
	;;#ASMEND
	;;#ASMSTART
	v_dot2_f32_f16 v51, v68, v72, v51
	;;#ASMEND
	s_waitcnt lgkmcnt(3)
	;;#ASMSTART
	v_dot2_f32_f16 v52, v65, v73, v52
	;;#ASMEND
	;;#ASMSTART
	v_dot2_f32_f16 v52, v66, v74, v52
	;;#ASMEND
	;;#ASMSTART
	v_dot2_f32_f16 v52, v67, v75, v52
	;;#ASMEND
	;;#ASMSTART
	v_dot2_f32_f16 v52, v68, v76, v52
	;;#ASMEND
	s_waitcnt lgkmcnt(2)
	;;#ASMSTART
	v_dot2_f32_f16 v53, v65, v77, v53
	;;#ASMEND
	;;#ASMSTART
	v_dot2_f32_f16 v53, v66, v78, v53
	;;#ASMEND
	;;#ASMSTART
	v_dot2_f32_f16 v53, v67, v79, v53
	;;#ASMEND
	;;#ASMSTART
	v_dot2_f32_f16 v53, v68, v80, v53
	;;#ASMEND
	s_waitcnt lgkmcnt(1)
	;;#ASMSTART
	v_dot2_f32_f16 v54, v65, v81, v54
	;;#ASMEND
	;;#ASMSTART
	v_dot2_f32_f16 v54, v66, v82, v54
	;;#ASMEND
	;;#ASMSTART
	v_dot2_f32_f16 v54, v67, v83, v54
	;;#ASMEND
	;;#ASMSTART
	v_dot2_f32_f16 v54, v68, v84, v54
	;;#ASMEND
	s_waitcnt lgkmcnt(0)
	;;#ASMSTART
	v_dot2_f32_f16 v55, v85, v69, v55
	;;#ASMEND
	;;#ASMSTART
	v_dot2_f32_f16 v55, v86, v70, v55
	;;#ASMEND
	;;#ASMSTART
	v_dot2_f32_f16 v55, v87, v71, v55
	;;#ASMEND
	;;#ASMSTART
	v_dot2_f32_f16 v55, v88, v72, v55
	;;#ASMEND
	;;#ASMSTART
	v_dot2_f32_f16 v56, v85, v73, v56
	;;#ASMEND
	;;#ASMSTART
	v_dot2_f32_f16 v56, v86, v74, v56
	;;#ASMEND
	;; [unrolled: 3-line block ×12, first 2 shown]
	ds_load_b128 v[65:68], v194 offset:208
	ds_load_b128 v[69:72], v195 offset:208
	;; [unrolled: 1-line block ×6, first 2 shown]
	s_waitcnt lgkmcnt(4)
	;;#ASMSTART
	v_dot2_f32_f16 v51, v65, v69, v51
	;;#ASMEND
	;;#ASMSTART
	v_dot2_f32_f16 v51, v66, v70, v51
	;;#ASMEND
	;;#ASMSTART
	v_dot2_f32_f16 v51, v67, v71, v51
	;;#ASMEND
	;;#ASMSTART
	v_dot2_f32_f16 v51, v68, v72, v51
	;;#ASMEND
	s_waitcnt lgkmcnt(3)
	;;#ASMSTART
	v_dot2_f32_f16 v52, v65, v73, v52
	;;#ASMEND
	;;#ASMSTART
	v_dot2_f32_f16 v52, v66, v74, v52
	;;#ASMEND
	;;#ASMSTART
	v_dot2_f32_f16 v52, v67, v75, v52
	;;#ASMEND
	;;#ASMSTART
	v_dot2_f32_f16 v52, v68, v76, v52
	;;#ASMEND
	;; [unrolled: 13-line block ×5, first 2 shown]
	;;#ASMSTART
	v_dot2_f32_f16 v56, v85, v73, v56
	;;#ASMEND
	;;#ASMSTART
	v_dot2_f32_f16 v56, v86, v74, v56
	;;#ASMEND
	;; [unrolled: 3-line block ×12, first 2 shown]
	ds_load_b128 v[65:68], v194 offset:224
	ds_load_b128 v[69:72], v195 offset:224
	;; [unrolled: 1-line block ×6, first 2 shown]
	s_waitcnt lgkmcnt(4)
	;;#ASMSTART
	v_dot2_f32_f16 v51, v65, v69, v51
	;;#ASMEND
	;;#ASMSTART
	v_dot2_f32_f16 v51, v66, v70, v51
	;;#ASMEND
	;;#ASMSTART
	v_dot2_f32_f16 v51, v67, v71, v51
	;;#ASMEND
	;;#ASMSTART
	v_dot2_f32_f16 v51, v68, v72, v51
	;;#ASMEND
	s_waitcnt lgkmcnt(3)
	;;#ASMSTART
	v_dot2_f32_f16 v52, v65, v73, v52
	;;#ASMEND
	;;#ASMSTART
	v_dot2_f32_f16 v52, v66, v74, v52
	;;#ASMEND
	;;#ASMSTART
	v_dot2_f32_f16 v52, v67, v75, v52
	;;#ASMEND
	;;#ASMSTART
	v_dot2_f32_f16 v52, v68, v76, v52
	;;#ASMEND
	;; [unrolled: 13-line block ×5, first 2 shown]
	;;#ASMSTART
	v_dot2_f32_f16 v56, v85, v73, v56
	;;#ASMEND
	;;#ASMSTART
	v_dot2_f32_f16 v56, v86, v74, v56
	;;#ASMEND
	;;#ASMSTART
	v_dot2_f32_f16 v56, v87, v75, v56
	;;#ASMEND
	;;#ASMSTART
	v_dot2_f32_f16 v56, v88, v76, v56
	;;#ASMEND
	;;#ASMSTART
	v_dot2_f32_f16 v57, v85, v77, v57
	;;#ASMEND
	;;#ASMSTART
	v_dot2_f32_f16 v57, v86, v78, v57
	;;#ASMEND
	;;#ASMSTART
	v_dot2_f32_f16 v57, v87, v79, v57
	;;#ASMEND
	;;#ASMSTART
	v_dot2_f32_f16 v57, v88, v80, v57
	;;#ASMEND
	;;#ASMSTART
	v_dot2_f32_f16 v58, v85, v81, v58
	;;#ASMEND
	;;#ASMSTART
	v_dot2_f32_f16 v58, v86, v82, v58
	;;#ASMEND
	;;#ASMSTART
	v_dot2_f32_f16 v58, v87, v83, v58
	;;#ASMEND
	;;#ASMSTART
	v_dot2_f32_f16 v58, v88, v84, v58
	;;#ASMEND
	ds_load_b128 v[65:68], v194 offset:240
	ds_load_b128 v[69:72], v195 offset:240
	;; [unrolled: 1-line block ×6, first 2 shown]
	s_waitcnt lgkmcnt(4)
	;;#ASMSTART
	v_dot2_f32_f16 v51, v65, v69, v51
	;;#ASMEND
	;;#ASMSTART
	v_dot2_f32_f16 v51, v66, v70, v51
	;;#ASMEND
	;;#ASMSTART
	v_dot2_f32_f16 v51, v67, v71, v51
	;;#ASMEND
	;;#ASMSTART
	v_dot2_f32_f16 v51, v68, v72, v51
	;;#ASMEND
	s_waitcnt lgkmcnt(3)
	;;#ASMSTART
	v_dot2_f32_f16 v52, v65, v73, v52
	;;#ASMEND
	;;#ASMSTART
	v_dot2_f32_f16 v52, v66, v74, v52
	;;#ASMEND
	;;#ASMSTART
	v_dot2_f32_f16 v52, v67, v75, v52
	;;#ASMEND
	;;#ASMSTART
	v_dot2_f32_f16 v52, v68, v76, v52
	;;#ASMEND
	;; [unrolled: 13-line block ×5, first 2 shown]
	;;#ASMSTART
	v_dot2_f32_f16 v56, v85, v73, v56
	;;#ASMEND
	;;#ASMSTART
	v_dot2_f32_f16 v56, v86, v74, v56
	;;#ASMEND
	;; [unrolled: 3-line block ×12, first 2 shown]
	s_barrier
	buffer_gl0_inv
	s_clause 0x3
	global_load_b128 v[65:68], v[26:27], off offset:256
	global_load_b128 v[69:72], v[20:21], off offset:256
	global_load_b128 v[20:23], v[22:23], off offset:256
	global_load_b128 v[24:27], v[24:25], off offset:256
	s_waitcnt vmcnt(3)
	ds_store_b128 v190, v[65:68]
	s_waitcnt vmcnt(2)
	ds_store_b128 v191, v[69:72]
	;; [unrolled: 2-line block ×4, first 2 shown]
	s_waitcnt lgkmcnt(0)
	s_barrier
	buffer_gl0_inv
	ds_load_b128 v[20:23], v194
	ds_load_b128 v[24:27], v195 offset:256
	ds_load_b128 v[65:68], v195 offset:768
	;; [unrolled: 1-line block ×5, first 2 shown]
	s_waitcnt lgkmcnt(4)
	;;#ASMSTART
	v_dot2_f32_f16 v51, v20, v24, v51
	;;#ASMEND
	;;#ASMSTART
	v_dot2_f32_f16 v51, v21, v25, v51
	;;#ASMEND
	;;#ASMSTART
	v_dot2_f32_f16 v51, v22, v26, v51
	;;#ASMEND
	;;#ASMSTART
	v_dot2_f32_f16 v51, v23, v27, v51
	;;#ASMEND
	s_waitcnt lgkmcnt(3)
	;;#ASMSTART
	v_dot2_f32_f16 v52, v20, v65, v52
	;;#ASMEND
	;;#ASMSTART
	v_dot2_f32_f16 v52, v21, v66, v52
	;;#ASMEND
	;;#ASMSTART
	v_dot2_f32_f16 v52, v22, v67, v52
	;;#ASMEND
	;;#ASMSTART
	v_dot2_f32_f16 v52, v23, v68, v52
	;;#ASMEND
	;; [unrolled: 13-line block ×5, first 2 shown]
	;;#ASMSTART
	v_dot2_f32_f16 v56, v77, v65, v56
	;;#ASMEND
	;;#ASMSTART
	v_dot2_f32_f16 v56, v78, v66, v56
	;;#ASMEND
	;;#ASMSTART
	v_dot2_f32_f16 v56, v79, v67, v56
	;;#ASMEND
	;;#ASMSTART
	v_dot2_f32_f16 v56, v80, v68, v56
	;;#ASMEND
	;;#ASMSTART
	v_dot2_f32_f16 v57, v77, v69, v57
	;;#ASMEND
	;;#ASMSTART
	v_dot2_f32_f16 v57, v78, v70, v57
	;;#ASMEND
	;;#ASMSTART
	v_dot2_f32_f16 v57, v79, v71, v57
	;;#ASMEND
	;;#ASMSTART
	v_dot2_f32_f16 v57, v80, v72, v57
	;;#ASMEND
	;;#ASMSTART
	v_dot2_f32_f16 v58, v77, v73, v58
	;;#ASMEND
	;;#ASMSTART
	v_dot2_f32_f16 v58, v78, v74, v58
	;;#ASMEND
	;;#ASMSTART
	v_dot2_f32_f16 v58, v79, v75, v58
	;;#ASMEND
	;;#ASMSTART
	v_dot2_f32_f16 v58, v80, v76, v58
	;;#ASMEND
	ds_load_b128 v[20:23], v194 offset:16
	ds_load_b128 v[24:27], v195 offset:272
	;; [unrolled: 1-line block ×6, first 2 shown]
	s_waitcnt lgkmcnt(4)
	;;#ASMSTART
	v_dot2_f32_f16 v51, v20, v24, v51
	;;#ASMEND
	;;#ASMSTART
	v_dot2_f32_f16 v51, v21, v25, v51
	;;#ASMEND
	;;#ASMSTART
	v_dot2_f32_f16 v51, v22, v26, v51
	;;#ASMEND
	;;#ASMSTART
	v_dot2_f32_f16 v51, v23, v27, v51
	;;#ASMEND
	s_waitcnt lgkmcnt(3)
	;;#ASMSTART
	v_dot2_f32_f16 v52, v20, v65, v52
	;;#ASMEND
	;;#ASMSTART
	v_dot2_f32_f16 v52, v21, v66, v52
	;;#ASMEND
	;;#ASMSTART
	v_dot2_f32_f16 v52, v22, v67, v52
	;;#ASMEND
	;;#ASMSTART
	v_dot2_f32_f16 v52, v23, v68, v52
	;;#ASMEND
	;; [unrolled: 13-line block ×5, first 2 shown]
	;;#ASMSTART
	v_dot2_f32_f16 v56, v77, v65, v56
	;;#ASMEND
	;;#ASMSTART
	v_dot2_f32_f16 v56, v78, v66, v56
	;;#ASMEND
	;; [unrolled: 3-line block ×12, first 2 shown]
	ds_load_b128 v[20:23], v194 offset:32
	ds_load_b128 v[24:27], v195 offset:288
	;; [unrolled: 1-line block ×6, first 2 shown]
	s_waitcnt lgkmcnt(4)
	;;#ASMSTART
	v_dot2_f32_f16 v51, v20, v24, v51
	;;#ASMEND
	;;#ASMSTART
	v_dot2_f32_f16 v51, v21, v25, v51
	;;#ASMEND
	;;#ASMSTART
	v_dot2_f32_f16 v51, v22, v26, v51
	;;#ASMEND
	;;#ASMSTART
	v_dot2_f32_f16 v51, v23, v27, v51
	;;#ASMEND
	s_waitcnt lgkmcnt(3)
	;;#ASMSTART
	v_dot2_f32_f16 v52, v20, v65, v52
	;;#ASMEND
	;;#ASMSTART
	v_dot2_f32_f16 v52, v21, v66, v52
	;;#ASMEND
	;;#ASMSTART
	v_dot2_f32_f16 v52, v22, v67, v52
	;;#ASMEND
	;;#ASMSTART
	v_dot2_f32_f16 v52, v23, v68, v52
	;;#ASMEND
	;; [unrolled: 13-line block ×5, first 2 shown]
	;;#ASMSTART
	v_dot2_f32_f16 v56, v77, v65, v56
	;;#ASMEND
	;;#ASMSTART
	v_dot2_f32_f16 v56, v78, v66, v56
	;;#ASMEND
	;; [unrolled: 3-line block ×12, first 2 shown]
	ds_load_b128 v[20:23], v194 offset:48
	ds_load_b128 v[24:27], v195 offset:304
	;; [unrolled: 1-line block ×6, first 2 shown]
	s_waitcnt lgkmcnt(4)
	;;#ASMSTART
	v_dot2_f32_f16 v51, v20, v24, v51
	;;#ASMEND
	;;#ASMSTART
	v_dot2_f32_f16 v51, v21, v25, v51
	;;#ASMEND
	;;#ASMSTART
	v_dot2_f32_f16 v51, v22, v26, v51
	;;#ASMEND
	;;#ASMSTART
	v_dot2_f32_f16 v51, v23, v27, v51
	;;#ASMEND
	s_waitcnt lgkmcnt(3)
	;;#ASMSTART
	v_dot2_f32_f16 v52, v20, v65, v52
	;;#ASMEND
	;;#ASMSTART
	v_dot2_f32_f16 v52, v21, v66, v52
	;;#ASMEND
	;;#ASMSTART
	v_dot2_f32_f16 v52, v22, v67, v52
	;;#ASMEND
	;;#ASMSTART
	v_dot2_f32_f16 v52, v23, v68, v52
	;;#ASMEND
	;; [unrolled: 13-line block ×5, first 2 shown]
	;;#ASMSTART
	v_dot2_f32_f16 v56, v77, v65, v56
	;;#ASMEND
	;;#ASMSTART
	v_dot2_f32_f16 v56, v78, v66, v56
	;;#ASMEND
	;; [unrolled: 3-line block ×12, first 2 shown]
	ds_load_b128 v[20:23], v194 offset:64
	ds_load_b128 v[24:27], v195 offset:320
	;; [unrolled: 1-line block ×6, first 2 shown]
	s_waitcnt lgkmcnt(4)
	;;#ASMSTART
	v_dot2_f32_f16 v51, v20, v24, v51
	;;#ASMEND
	;;#ASMSTART
	v_dot2_f32_f16 v51, v21, v25, v51
	;;#ASMEND
	;;#ASMSTART
	v_dot2_f32_f16 v51, v22, v26, v51
	;;#ASMEND
	;;#ASMSTART
	v_dot2_f32_f16 v51, v23, v27, v51
	;;#ASMEND
	s_waitcnt lgkmcnt(3)
	;;#ASMSTART
	v_dot2_f32_f16 v52, v20, v65, v52
	;;#ASMEND
	;;#ASMSTART
	v_dot2_f32_f16 v52, v21, v66, v52
	;;#ASMEND
	;;#ASMSTART
	v_dot2_f32_f16 v52, v22, v67, v52
	;;#ASMEND
	;;#ASMSTART
	v_dot2_f32_f16 v52, v23, v68, v52
	;;#ASMEND
	;; [unrolled: 13-line block ×5, first 2 shown]
	;;#ASMSTART
	v_dot2_f32_f16 v56, v77, v65, v56
	;;#ASMEND
	;;#ASMSTART
	v_dot2_f32_f16 v56, v78, v66, v56
	;;#ASMEND
	;; [unrolled: 3-line block ×12, first 2 shown]
	ds_load_b128 v[20:23], v194 offset:80
	ds_load_b128 v[24:27], v195 offset:336
	;; [unrolled: 1-line block ×6, first 2 shown]
	s_waitcnt lgkmcnt(4)
	;;#ASMSTART
	v_dot2_f32_f16 v51, v20, v24, v51
	;;#ASMEND
	;;#ASMSTART
	v_dot2_f32_f16 v51, v21, v25, v51
	;;#ASMEND
	;;#ASMSTART
	v_dot2_f32_f16 v51, v22, v26, v51
	;;#ASMEND
	;;#ASMSTART
	v_dot2_f32_f16 v51, v23, v27, v51
	;;#ASMEND
	s_waitcnt lgkmcnt(3)
	;;#ASMSTART
	v_dot2_f32_f16 v52, v20, v65, v52
	;;#ASMEND
	;;#ASMSTART
	v_dot2_f32_f16 v52, v21, v66, v52
	;;#ASMEND
	;;#ASMSTART
	v_dot2_f32_f16 v52, v22, v67, v52
	;;#ASMEND
	;;#ASMSTART
	v_dot2_f32_f16 v52, v23, v68, v52
	;;#ASMEND
	;; [unrolled: 13-line block ×5, first 2 shown]
	;;#ASMSTART
	v_dot2_f32_f16 v56, v77, v65, v56
	;;#ASMEND
	;;#ASMSTART
	v_dot2_f32_f16 v56, v78, v66, v56
	;;#ASMEND
	;; [unrolled: 3-line block ×12, first 2 shown]
	ds_load_b128 v[20:23], v194 offset:96
	ds_load_b128 v[24:27], v195 offset:352
	;; [unrolled: 1-line block ×6, first 2 shown]
	s_waitcnt lgkmcnt(4)
	;;#ASMSTART
	v_dot2_f32_f16 v51, v20, v24, v51
	;;#ASMEND
	;;#ASMSTART
	v_dot2_f32_f16 v51, v21, v25, v51
	;;#ASMEND
	;;#ASMSTART
	v_dot2_f32_f16 v51, v22, v26, v51
	;;#ASMEND
	;;#ASMSTART
	v_dot2_f32_f16 v51, v23, v27, v51
	;;#ASMEND
	s_waitcnt lgkmcnt(3)
	;;#ASMSTART
	v_dot2_f32_f16 v52, v20, v65, v52
	;;#ASMEND
	;;#ASMSTART
	v_dot2_f32_f16 v52, v21, v66, v52
	;;#ASMEND
	;;#ASMSTART
	v_dot2_f32_f16 v52, v22, v67, v52
	;;#ASMEND
	;;#ASMSTART
	v_dot2_f32_f16 v52, v23, v68, v52
	;;#ASMEND
	;; [unrolled: 13-line block ×5, first 2 shown]
	;;#ASMSTART
	v_dot2_f32_f16 v56, v77, v65, v56
	;;#ASMEND
	;;#ASMSTART
	v_dot2_f32_f16 v56, v78, v66, v56
	;;#ASMEND
	;; [unrolled: 3-line block ×12, first 2 shown]
	ds_load_b128 v[20:23], v194 offset:112
	ds_load_b128 v[24:27], v195 offset:368
	;; [unrolled: 1-line block ×6, first 2 shown]
	s_waitcnt lgkmcnt(4)
	;;#ASMSTART
	v_dot2_f32_f16 v51, v20, v24, v51
	;;#ASMEND
	;;#ASMSTART
	v_dot2_f32_f16 v51, v21, v25, v51
	;;#ASMEND
	;;#ASMSTART
	v_dot2_f32_f16 v51, v22, v26, v51
	;;#ASMEND
	;;#ASMSTART
	v_dot2_f32_f16 v51, v23, v27, v51
	;;#ASMEND
	s_waitcnt lgkmcnt(3)
	;;#ASMSTART
	v_dot2_f32_f16 v52, v20, v65, v52
	;;#ASMEND
	;;#ASMSTART
	v_dot2_f32_f16 v52, v21, v66, v52
	;;#ASMEND
	;;#ASMSTART
	v_dot2_f32_f16 v52, v22, v67, v52
	;;#ASMEND
	;;#ASMSTART
	v_dot2_f32_f16 v52, v23, v68, v52
	;;#ASMEND
	;; [unrolled: 13-line block ×5, first 2 shown]
	;;#ASMSTART
	v_dot2_f32_f16 v56, v77, v65, v56
	;;#ASMEND
	;;#ASMSTART
	v_dot2_f32_f16 v56, v78, v66, v56
	;;#ASMEND
	;; [unrolled: 3-line block ×12, first 2 shown]
	ds_load_b128 v[20:23], v194 offset:128
	ds_load_b128 v[24:27], v195 offset:384
	;; [unrolled: 1-line block ×6, first 2 shown]
	s_waitcnt lgkmcnt(4)
	;;#ASMSTART
	v_dot2_f32_f16 v51, v20, v24, v51
	;;#ASMEND
	;;#ASMSTART
	v_dot2_f32_f16 v51, v21, v25, v51
	;;#ASMEND
	;;#ASMSTART
	v_dot2_f32_f16 v51, v22, v26, v51
	;;#ASMEND
	;;#ASMSTART
	v_dot2_f32_f16 v51, v23, v27, v51
	;;#ASMEND
	s_waitcnt lgkmcnt(3)
	;;#ASMSTART
	v_dot2_f32_f16 v52, v20, v65, v52
	;;#ASMEND
	;;#ASMSTART
	v_dot2_f32_f16 v52, v21, v66, v52
	;;#ASMEND
	;;#ASMSTART
	v_dot2_f32_f16 v52, v22, v67, v52
	;;#ASMEND
	;;#ASMSTART
	v_dot2_f32_f16 v52, v23, v68, v52
	;;#ASMEND
	;; [unrolled: 13-line block ×5, first 2 shown]
	;;#ASMSTART
	v_dot2_f32_f16 v56, v77, v65, v56
	;;#ASMEND
	;;#ASMSTART
	v_dot2_f32_f16 v56, v78, v66, v56
	;;#ASMEND
	;; [unrolled: 3-line block ×12, first 2 shown]
	ds_load_b128 v[20:23], v194 offset:144
	ds_load_b128 v[24:27], v195 offset:400
	;; [unrolled: 1-line block ×6, first 2 shown]
	s_waitcnt lgkmcnt(4)
	;;#ASMSTART
	v_dot2_f32_f16 v51, v20, v24, v51
	;;#ASMEND
	;;#ASMSTART
	v_dot2_f32_f16 v51, v21, v25, v51
	;;#ASMEND
	;;#ASMSTART
	v_dot2_f32_f16 v51, v22, v26, v51
	;;#ASMEND
	;;#ASMSTART
	v_dot2_f32_f16 v51, v23, v27, v51
	;;#ASMEND
	s_waitcnt lgkmcnt(3)
	;;#ASMSTART
	v_dot2_f32_f16 v52, v20, v65, v52
	;;#ASMEND
	;;#ASMSTART
	v_dot2_f32_f16 v52, v21, v66, v52
	;;#ASMEND
	;;#ASMSTART
	v_dot2_f32_f16 v52, v22, v67, v52
	;;#ASMEND
	;;#ASMSTART
	v_dot2_f32_f16 v52, v23, v68, v52
	;;#ASMEND
	;; [unrolled: 13-line block ×5, first 2 shown]
	;;#ASMSTART
	v_dot2_f32_f16 v56, v77, v65, v56
	;;#ASMEND
	;;#ASMSTART
	v_dot2_f32_f16 v56, v78, v66, v56
	;;#ASMEND
	;; [unrolled: 3-line block ×12, first 2 shown]
	ds_load_b128 v[20:23], v194 offset:160
	ds_load_b128 v[24:27], v195 offset:416
	;; [unrolled: 1-line block ×6, first 2 shown]
	s_waitcnt lgkmcnt(4)
	;;#ASMSTART
	v_dot2_f32_f16 v51, v20, v24, v51
	;;#ASMEND
	;;#ASMSTART
	v_dot2_f32_f16 v51, v21, v25, v51
	;;#ASMEND
	;;#ASMSTART
	v_dot2_f32_f16 v51, v22, v26, v51
	;;#ASMEND
	;;#ASMSTART
	v_dot2_f32_f16 v51, v23, v27, v51
	;;#ASMEND
	s_waitcnt lgkmcnt(3)
	;;#ASMSTART
	v_dot2_f32_f16 v52, v20, v65, v52
	;;#ASMEND
	;;#ASMSTART
	v_dot2_f32_f16 v52, v21, v66, v52
	;;#ASMEND
	;;#ASMSTART
	v_dot2_f32_f16 v52, v22, v67, v52
	;;#ASMEND
	;;#ASMSTART
	v_dot2_f32_f16 v52, v23, v68, v52
	;;#ASMEND
	s_waitcnt lgkmcnt(2)
	;;#ASMSTART
	v_dot2_f32_f16 v53, v20, v69, v53
	;;#ASMEND
	;;#ASMSTART
	v_dot2_f32_f16 v53, v21, v70, v53
	;;#ASMEND
	;;#ASMSTART
	v_dot2_f32_f16 v53, v22, v71, v53
	;;#ASMEND
	;;#ASMSTART
	v_dot2_f32_f16 v53, v23, v72, v53
	;;#ASMEND
	s_waitcnt lgkmcnt(1)
	;;#ASMSTART
	v_dot2_f32_f16 v54, v20, v73, v54
	;;#ASMEND
	;;#ASMSTART
	v_dot2_f32_f16 v54, v21, v74, v54
	;;#ASMEND
	;;#ASMSTART
	v_dot2_f32_f16 v54, v22, v75, v54
	;;#ASMEND
	;;#ASMSTART
	v_dot2_f32_f16 v54, v23, v76, v54
	;;#ASMEND
	s_waitcnt lgkmcnt(0)
	;;#ASMSTART
	v_dot2_f32_f16 v55, v77, v24, v55
	;;#ASMEND
	;;#ASMSTART
	v_dot2_f32_f16 v55, v78, v25, v55
	;;#ASMEND
	;;#ASMSTART
	v_dot2_f32_f16 v55, v79, v26, v55
	;;#ASMEND
	;;#ASMSTART
	v_dot2_f32_f16 v55, v80, v27, v55
	;;#ASMEND
	;;#ASMSTART
	v_dot2_f32_f16 v56, v77, v65, v56
	;;#ASMEND
	;;#ASMSTART
	v_dot2_f32_f16 v56, v78, v66, v56
	;;#ASMEND
	;; [unrolled: 3-line block ×12, first 2 shown]
	ds_load_b128 v[20:23], v194 offset:176
	ds_load_b128 v[24:27], v195 offset:432
	;; [unrolled: 1-line block ×6, first 2 shown]
	s_waitcnt lgkmcnt(4)
	;;#ASMSTART
	v_dot2_f32_f16 v51, v20, v24, v51
	;;#ASMEND
	;;#ASMSTART
	v_dot2_f32_f16 v51, v21, v25, v51
	;;#ASMEND
	;;#ASMSTART
	v_dot2_f32_f16 v51, v22, v26, v51
	;;#ASMEND
	;;#ASMSTART
	v_dot2_f32_f16 v51, v23, v27, v51
	;;#ASMEND
	s_waitcnt lgkmcnt(3)
	;;#ASMSTART
	v_dot2_f32_f16 v52, v20, v65, v52
	;;#ASMEND
	;;#ASMSTART
	v_dot2_f32_f16 v52, v21, v66, v52
	;;#ASMEND
	;;#ASMSTART
	v_dot2_f32_f16 v52, v22, v67, v52
	;;#ASMEND
	;;#ASMSTART
	v_dot2_f32_f16 v52, v23, v68, v52
	;;#ASMEND
	;; [unrolled: 13-line block ×5, first 2 shown]
	;;#ASMSTART
	v_dot2_f32_f16 v56, v77, v65, v56
	;;#ASMEND
	;;#ASMSTART
	v_dot2_f32_f16 v56, v78, v66, v56
	;;#ASMEND
	;; [unrolled: 3-line block ×12, first 2 shown]
	ds_load_b128 v[20:23], v194 offset:192
	ds_load_b128 v[24:27], v195 offset:448
	;; [unrolled: 1-line block ×6, first 2 shown]
	s_waitcnt lgkmcnt(4)
	;;#ASMSTART
	v_dot2_f32_f16 v51, v20, v24, v51
	;;#ASMEND
	;;#ASMSTART
	v_dot2_f32_f16 v51, v21, v25, v51
	;;#ASMEND
	;;#ASMSTART
	v_dot2_f32_f16 v51, v22, v26, v51
	;;#ASMEND
	;;#ASMSTART
	v_dot2_f32_f16 v51, v23, v27, v51
	;;#ASMEND
	s_waitcnt lgkmcnt(3)
	;;#ASMSTART
	v_dot2_f32_f16 v52, v20, v65, v52
	;;#ASMEND
	;;#ASMSTART
	v_dot2_f32_f16 v52, v21, v66, v52
	;;#ASMEND
	;;#ASMSTART
	v_dot2_f32_f16 v52, v22, v67, v52
	;;#ASMEND
	;;#ASMSTART
	v_dot2_f32_f16 v52, v23, v68, v52
	;;#ASMEND
	;; [unrolled: 13-line block ×5, first 2 shown]
	;;#ASMSTART
	v_dot2_f32_f16 v56, v77, v65, v56
	;;#ASMEND
	;;#ASMSTART
	v_dot2_f32_f16 v56, v78, v66, v56
	;;#ASMEND
	;; [unrolled: 3-line block ×12, first 2 shown]
	ds_load_b128 v[20:23], v194 offset:208
	ds_load_b128 v[24:27], v195 offset:464
	;; [unrolled: 1-line block ×6, first 2 shown]
	s_waitcnt lgkmcnt(4)
	;;#ASMSTART
	v_dot2_f32_f16 v51, v20, v24, v51
	;;#ASMEND
	;;#ASMSTART
	v_dot2_f32_f16 v51, v21, v25, v51
	;;#ASMEND
	;;#ASMSTART
	v_dot2_f32_f16 v51, v22, v26, v51
	;;#ASMEND
	;;#ASMSTART
	v_dot2_f32_f16 v51, v23, v27, v51
	;;#ASMEND
	s_waitcnt lgkmcnt(3)
	;;#ASMSTART
	v_dot2_f32_f16 v52, v20, v65, v52
	;;#ASMEND
	;;#ASMSTART
	v_dot2_f32_f16 v52, v21, v66, v52
	;;#ASMEND
	;;#ASMSTART
	v_dot2_f32_f16 v52, v22, v67, v52
	;;#ASMEND
	;;#ASMSTART
	v_dot2_f32_f16 v52, v23, v68, v52
	;;#ASMEND
	;; [unrolled: 13-line block ×5, first 2 shown]
	;;#ASMSTART
	v_dot2_f32_f16 v56, v77, v65, v56
	;;#ASMEND
	;;#ASMSTART
	v_dot2_f32_f16 v56, v78, v66, v56
	;;#ASMEND
	;; [unrolled: 3-line block ×12, first 2 shown]
	ds_load_b128 v[20:23], v194 offset:224
	ds_load_b128 v[24:27], v195 offset:480
	ds_load_b128 v[65:68], v195 offset:992
	ds_load_b128 v[69:72], v195 offset:1504
	ds_load_b128 v[73:76], v195 offset:2016
	ds_load_b128 v[77:80], v194 offset:8928
	s_waitcnt lgkmcnt(4)
	;;#ASMSTART
	v_dot2_f32_f16 v51, v20, v24, v51
	;;#ASMEND
	;;#ASMSTART
	v_dot2_f32_f16 v51, v21, v25, v51
	;;#ASMEND
	;;#ASMSTART
	v_dot2_f32_f16 v51, v22, v26, v51
	;;#ASMEND
	;;#ASMSTART
	v_dot2_f32_f16 v51, v23, v27, v51
	;;#ASMEND
	s_waitcnt lgkmcnt(3)
	;;#ASMSTART
	v_dot2_f32_f16 v52, v20, v65, v52
	;;#ASMEND
	;;#ASMSTART
	v_dot2_f32_f16 v52, v21, v66, v52
	;;#ASMEND
	;;#ASMSTART
	v_dot2_f32_f16 v52, v22, v67, v52
	;;#ASMEND
	;;#ASMSTART
	v_dot2_f32_f16 v52, v23, v68, v52
	;;#ASMEND
	;; [unrolled: 13-line block ×5, first 2 shown]
	;;#ASMSTART
	v_dot2_f32_f16 v56, v77, v65, v56
	;;#ASMEND
	;;#ASMSTART
	v_dot2_f32_f16 v56, v78, v66, v56
	;;#ASMEND
	;; [unrolled: 3-line block ×12, first 2 shown]
	ds_load_b128 v[20:23], v194 offset:240
	ds_load_b128 v[24:27], v195 offset:496
	;; [unrolled: 1-line block ×6, first 2 shown]
	s_waitcnt lgkmcnt(4)
	;;#ASMSTART
	v_dot2_f32_f16 v51, v20, v24, v51
	;;#ASMEND
	;;#ASMSTART
	v_dot2_f32_f16 v51, v21, v25, v51
	;;#ASMEND
	;;#ASMSTART
	v_dot2_f32_f16 v51, v22, v26, v51
	;;#ASMEND
	;;#ASMSTART
	v_dot2_f32_f16 v51, v23, v27, v51
	;;#ASMEND
	s_waitcnt lgkmcnt(3)
	;;#ASMSTART
	v_dot2_f32_f16 v52, v20, v65, v52
	;;#ASMEND
	;;#ASMSTART
	v_dot2_f32_f16 v52, v21, v66, v52
	;;#ASMEND
	;;#ASMSTART
	v_dot2_f32_f16 v52, v22, v67, v52
	;;#ASMEND
	;;#ASMSTART
	v_dot2_f32_f16 v52, v23, v68, v52
	;;#ASMEND
	;; [unrolled: 13-line block ×5, first 2 shown]
	;;#ASMSTART
	v_dot2_f32_f16 v56, v77, v65, v56
	;;#ASMEND
	;;#ASMSTART
	v_dot2_f32_f16 v56, v78, v66, v56
	;;#ASMEND
	;; [unrolled: 3-line block ×12, first 2 shown]
	s_clause 0x3
	flat_load_u16 v26, v[16:17]
	flat_load_u16 v27, v[16:17] offset:64
	flat_load_u16 v65, v[18:19]
	flat_load_u16 v66, v[18:19] offset:64
	s_waitcnt vmcnt(0) lgkmcnt(0)
	s_barrier
	buffer_gl0_inv
	s_clause 0x3
	global_load_b128 v[14:17], v[14:15], off
	global_load_b128 v[18:21], v[0:1], off
	;; [unrolled: 1-line block ×4, first 2 shown]
	s_waitcnt vmcnt(3)
	ds_store_b128 v201, v[14:17]
	s_waitcnt vmcnt(2)
	ds_store_b128 v202, v[18:21]
	s_waitcnt vmcnt(1)
	ds_store_b128 v203, v[0:3]
	s_waitcnt vmcnt(0)
	ds_store_b128 v204, v[22:25]
	v_cvt_f32_f16_e32 v12, v26
	v_cvt_f32_f16_e32 v13, v27
	;; [unrolled: 1-line block ×4, first 2 shown]
	s_delay_alu instid0(VALU_DEP_4) | instskip(NEXT) | instid1(VALU_DEP_4)
	v_add_f32_e32 v14, v52, v12
	v_dual_add_f32 v12, v51, v12 :: v_dual_add_f32 v15, v56, v13
	s_delay_alu instid0(VALU_DEP_4) | instskip(NEXT) | instid1(VALU_DEP_4)
	v_dual_add_f32 v13, v55, v13 :: v_dual_add_f32 v16, v54, v26
	v_add_f32_e32 v18, v58, v27
	s_delay_alu instid0(VALU_DEP_3) | instskip(NEXT) | instid1(VALU_DEP_3)
	v_dual_add_f32 v0, 0x40051340, v12 :: v_dual_add_f32 v1, 0x40051340, v14
	v_dual_add_f32 v3, 0x40051340, v15 :: v_dual_add_f32 v2, 0x40051340, v13
	s_delay_alu instid0(VALU_DEP_3) | instskip(SKIP_1) | instid1(VALU_DEP_3)
	v_dual_add_f32 v21, 0x40051340, v16 :: v_dual_add_f32 v22, 0x40051340, v18
	v_add_f32_e32 v17, v53, v26
	v_max3_f32 v1, v49, v1, v3
	s_delay_alu instid0(VALU_DEP_4)
	v_max3_f32 v0, v50, v0, v2
	v_add_f32_e32 v19, v57, v27
	v_max3_f32 v2, v47, v21, v22
	v_add_f32_e32 v20, 0x40051340, v17
	ds_bpermute_b32 v21, v64, v1
	v_add_f32_e32 v23, 0x40051340, v19
	ds_bpermute_b32 v22, v64, v2
	v_max3_f32 v3, v48, v20, v23
	ds_bpermute_b32 v20, v64, v0
	ds_bpermute_b32 v23, v64, v3
	s_waitcnt lgkmcnt(2)
	v_dual_max_f32 v21, v21, v21 :: v_dual_max_f32 v22, v22, v22
	s_waitcnt lgkmcnt(1)
	s_delay_alu instid0(VALU_DEP_1) | instskip(SKIP_3) | instid1(VALU_DEP_1)
	v_dual_max_f32 v1, v1, v21 :: v_dual_max_f32 v20, v20, v20
	ds_bpermute_b32 v21, v63, v1
	s_waitcnt lgkmcnt(1)
	v_dual_max_f32 v2, v2, v22 :: v_dual_max_f32 v23, v23, v23
	v_dual_max_f32 v0, v0, v20 :: v_dual_max_f32 v3, v3, v23
	ds_bpermute_b32 v20, v63, v0
	ds_bpermute_b32 v23, v63, v3
	s_waitcnt lgkmcnt(2)
	v_max_f32_e32 v21, v21, v21
	ds_bpermute_b32 v22, v63, v2
	s_waitcnt lgkmcnt(2)
	v_dual_max_f32 v1, v1, v21 :: v_dual_max_f32 v20, v20, v20
	ds_bpermute_b32 v21, v62, v1
	s_waitcnt lgkmcnt(2)
	v_dual_max_f32 v23, v23, v23 :: v_dual_max_f32 v0, v0, v20
	s_delay_alu instid0(VALU_DEP_1)
	v_max_f32_e32 v3, v3, v23
	ds_bpermute_b32 v20, v62, v0
	s_waitcnt lgkmcnt(2)
	v_max_f32_e32 v22, v22, v22
	ds_bpermute_b32 v23, v62, v3
	s_waitcnt lgkmcnt(2)
	v_dual_max_f32 v2, v2, v22 :: v_dual_max_f32 v21, v21, v21
	ds_bpermute_b32 v22, v62, v2
	s_waitcnt lgkmcnt(2)
	v_dual_max_f32 v1, v1, v21 :: v_dual_max_f32 v20, v20, v20
	;; [unrolled: 3-line block ×3, first 2 shown]
	s_delay_alu instid0(VALU_DEP_1)
	v_max_f32_e32 v3, v3, v23
	ds_bpermute_b32 v20, v61, v0
	s_waitcnt lgkmcnt(2)
	v_max_f32_e32 v22, v22, v22
	ds_bpermute_b32 v23, v61, v3
	s_waitcnt lgkmcnt(2)
	v_dual_max_f32 v2, v2, v22 :: v_dual_max_f32 v21, v21, v21
	ds_bpermute_b32 v22, v61, v2
	s_waitcnt lgkmcnt(2)
	v_dual_max_f32 v1, v1, v21 :: v_dual_max_f32 v20, v20, v20
	;; [unrolled: 3-line block ×3, first 2 shown]
	s_waitcnt lgkmcnt(1)
	v_max_f32_e32 v22, v22, v22
	s_waitcnt lgkmcnt(0)
	s_delay_alu instid0(VALU_DEP_1)
	v_dual_max_f32 v2, v2, v22 :: v_dual_max_f32 v21, v21, v21
	v_max_f32_e32 v20, v3, v23
	ds_bpermute_b32 v3, v60, v0
	ds_bpermute_b32 v22, v60, v2
	v_max_f32_e32 v1, v1, v21
	ds_bpermute_b32 v23, v60, v20
	v_sub_f32_e32 v21, v49, v1
	v_sub_f32_e32 v15, v15, v1
	s_delay_alu instid0(VALU_DEP_2) | instskip(NEXT) | instid1(VALU_DEP_2)
	v_cmp_ngt_f32_e64 s5, 0xc2ce8ed0, v21
	v_cmp_ngt_f32_e64 s4, 0xc2ce8ed0, v15
	v_cmp_nlt_f32_e64 s17, 0x42b17218, v15
	v_cmp_nlt_f32_e64 s18, 0x42b17218, v21
	s_waitcnt lgkmcnt(1)
	v_dual_max_f32 v3, v3, v3 :: v_dual_max_f32 v22, v22, v22
	s_waitcnt lgkmcnt(0)
	v_max_f32_e32 v23, v23, v23
	s_delay_alu instid0(VALU_DEP_2) | instskip(NEXT) | instid1(VALU_DEP_1)
	v_dual_max_f32 v0, v0, v3 :: v_dual_max_f32 v3, v2, v22
	v_dual_max_f32 v2, v20, v23 :: v_dual_sub_f32 v13, v13, v0
	v_sub_f32_e32 v20, v50, v0
	v_sub_f32_e32 v12, v12, v0
	s_delay_alu instid0(VALU_DEP_3) | instskip(SKIP_2) | instid1(VALU_DEP_3)
	v_dual_sub_f32 v14, v14, v1 :: v_dual_sub_f32 v19, v19, v2
	v_dual_sub_f32 v17, v17, v2 :: v_dual_sub_f32 v16, v16, v3
	;; [unrolled: 1-line block ×3, first 2 shown]
	v_dual_sub_f32 v18, v18, v3 :: v_dual_mul_f32 v25, 0x3fb8aa3b, v14
	v_dual_mul_f32 v24, 0x3fb8aa3b, v13 :: v_dual_mul_f32 v27, 0x3fb8aa3b, v20
	v_dual_mul_f32 v26, 0x3fb8aa3b, v12 :: v_dual_mul_f32 v47, 0x3fb8aa3b, v15
	;; [unrolled: 1-line block ×4, first 2 shown]
	s_delay_alu instid0(VALU_DEP_4)
	v_fma_f32 v55, 0x3fb8aa3b, v13, -v24
	v_rndne_f32_e32 v56, v24
	v_mul_f32_e32 v52, 0x3fb8aa3b, v22
	v_fma_f32 v57, 0x3fb8aa3b, v14, -v25
	v_fma_f32 v60, 0x3fb8aa3b, v12, -v26
	v_rndne_f32_e32 v61, v26
	v_fma_f32 v62, 0x3fb8aa3b, v20, -v27
	v_rndne_f32_e32 v63, v27
	v_fma_f32 v64, 0x3fb8aa3b, v15, -v47
	v_rndne_f32_e32 v65, v47
	v_fma_f32 v68, 0x3fb8aa3b, v19, -v49
	v_rndne_f32_e32 v69, v49
	v_fma_f32 v72, 0x3fb8aa3b, v17, -v51
	v_rndne_f32_e32 v73, v51
	v_dual_mul_f32 v53, 0x3fb8aa3b, v18 :: v_dual_mul_f32 v54, 0x3fb8aa3b, v23
	v_cmp_ngt_f32_e64 s2, 0xc2ce8ed0, v12
	v_cmp_ngt_f32_e64 s3, 0xc2ce8ed0, v20
	;; [unrolled: 1-line block ×5, first 2 shown]
	v_cmp_nlt_f32_e64 s15, 0x42b17218, v12
	v_cmp_nlt_f32_e64 s16, 0x42b17218, v20
	;; [unrolled: 1-line block ×5, first 2 shown]
	v_rndne_f32_e32 v58, v25
	v_fma_f32 v66, 0x3fb8aa3b, v21, -v48
	v_rndne_f32_e32 v67, v48
	v_fma_f32 v70, 0x3fb8aa3b, v16, -v50
	v_fmac_f32_e32 v55, 0x32a5705f, v13
	v_sub_f32_e32 v13, v24, v56
	v_fma_f32 v74, 0x3fb8aa3b, v22, -v52
	v_dual_fmac_f32 v57, 0x32a5705f, v14 :: v_dual_fmac_f32 v60, 0x32a5705f, v12
	v_sub_f32_e32 v12, v26, v61
	v_fmac_f32_e32 v62, 0x32a5705f, v20
	v_sub_f32_e32 v20, v27, v63
	v_dual_fmac_f32 v64, 0x32a5705f, v15 :: v_dual_sub_f32 v15, v47, v65
	v_fmac_f32_e32 v72, 0x32a5705f, v17
	v_dual_sub_f32 v17, v51, v73 :: v_dual_fmac_f32 v68, 0x32a5705f, v19
	v_sub_f32_e32 v19, v49, v69
	s_delay_alu instid0(VALU_DEP_4)
	v_add_f32_e32 v15, v15, v64
	v_cmp_ngt_f32_e32 vcc_lo, 0xc2ce8ed0, v14
	v_cmp_nlt_f32_e64 s13, 0x42b17218, v14
	v_rndne_f32_e32 v79, v54
	v_sub_f32_e32 v14, v25, v58
	v_dual_fmac_f32 v66, 0x32a5705f, v21 :: v_dual_sub_f32 v21, v48, v67
	v_dual_fmac_f32 v70, 0x32a5705f, v16 :: v_dual_add_f32 v13, v13, v55
	v_add_f32_e32 v12, v12, v60
	v_dual_add_f32 v19, v19, v68 :: v_dual_fmac_f32 v74, 0x32a5705f, v22
	v_dual_add_f32 v17, v17, v72 :: v_dual_add_f32 v20, v20, v62
	s_delay_alu instid0(VALU_DEP_4) | instskip(NEXT) | instid1(VALU_DEP_3)
	v_exp_f32_e32 v13, v13
	v_exp_f32_e32 v12, v12
	s_delay_alu instid0(VALU_DEP_2) | instskip(NEXT) | instid1(VALU_DEP_1)
	v_exp_f32_e32 v19, v19
	v_exp_f32_e32 v17, v17
	v_cvt_i32_f32_e32 v24, v56
	v_cvt_i32_f32_e32 v26, v61
	;; [unrolled: 1-line block ×4, first 2 shown]
	v_exp_f32_e32 v20, v20
	v_cvt_i32_f32_e32 v27, v63
	v_ldexp_f32 v13, v13, v24
	v_ldexp_f32 v12, v12, v26
	;; [unrolled: 1-line block ×4, first 2 shown]
	v_rndne_f32_e32 v71, v50
	v_cndmask_b32_e64 v13, 0, v13, s12
	v_cndmask_b32_e64 v12, 0, v12, s2
	;; [unrolled: 1-line block ×3, first 2 shown]
	v_ldexp_f32 v20, v20, v27
	v_cndmask_b32_e64 v17, 0, v17, s8
	v_fma_f32 v76, 0x3fb8aa3b, v18, -v53
	v_rndne_f32_e32 v77, v53
	v_fma_f32 v78, 0x3fb8aa3b, v23, -v54
	v_cndmask_b32_e64 v20, 0, v20, s3
	v_cndmask_b32_e64 v13, 0x7f800000, v13, s25
	;; [unrolled: 1-line block ×5, first 2 shown]
	v_rndne_f32_e32 v75, v52
	v_cmp_ngt_f32_e64 s7, 0xc2ce8ed0, v16
	v_cmp_ngt_f32_e64 s10, 0xc2ce8ed0, v18
	;; [unrolled: 1-line block ×3, first 2 shown]
	v_cmp_nlt_f32_e64 s20, 0x42b17218, v16
	v_cmp_nlt_f32_e64 s23, 0x42b17218, v18
	;; [unrolled: 1-line block ×3, first 2 shown]
	v_dual_fmac_f32 v76, 0x32a5705f, v18 :: v_dual_add_f32 v215, v12, v13
	v_dual_add_f32 v14, v14, v57 :: v_dual_add_f32 v217, v17, v19
	v_fmac_f32_e32 v78, 0x32a5705f, v23
	v_sub_f32_e32 v23, v54, v79
	v_dual_sub_f32 v16, v50, v71 :: v_dual_add_f32 v21, v21, v66
	v_cndmask_b32_e64 v20, 0x7f800000, v20, s16
	v_sub_f32_e32 v18, v53, v77
	v_cmp_ngt_f32_e64 s9, 0xc2ce8ed0, v22
	v_cmp_nlt_f32_e64 s22, 0x42b17218, v22
	v_dual_sub_f32 v22, v52, v75 :: v_dual_add_f32 v23, v23, v78
	v_dual_add_f32 v16, v16, v70 :: v_dual_fmac_f32 v215, v46, v20
	v_add_f32_e32 v18, v18, v76
	s_delay_alu instid0(VALU_DEP_3)
	v_add_f32_e32 v22, v22, v74
	v_exp_f32_e32 v14, v14
	v_exp_f32_e32 v15, v15
	;; [unrolled: 1-line block ×7, first 2 shown]
	v_cvt_i32_f32_e32 v25, v58
	v_cvt_i32_f32_e32 v47, v65
	v_cvt_i32_f32_e32 v50, v71
	v_cvt_i32_f32_e32 v53, v77
	v_cvt_i32_f32_e32 v48, v67
	v_cvt_i32_f32_e32 v52, v75
	v_cvt_i32_f32_e32 v54, v79
	v_ldexp_f32 v14, v14, v25
	v_ldexp_f32 v15, v15, v47
	;; [unrolled: 1-line block ×7, first 2 shown]
	v_cndmask_b32_e32 v14, 0, v14, vcc_lo
	v_cndmask_b32_e64 v15, 0, v15, s4
	v_cndmask_b32_e64 v16, 0, v16, s7
	;; [unrolled: 1-line block ×13, first 2 shown]
	v_cvt_f16_f32_e32 v24, v13
	v_cvt_f16_f32_e32 v25, v14
	;; [unrolled: 1-line block ×3, first 2 shown]
	v_add_f32_e32 v216, v14, v15
	v_cvt_f16_f32_e32 v14, v15
	v_cvt_f16_f32_e32 v15, v19
	;; [unrolled: 1-line block ×4, first 2 shown]
	v_add_f32_e32 v214, v16, v18
	v_cvt_f16_f32_e32 v16, v18
	v_cvt_f16_f32_e64 v157, v20
	v_cvt_f16_f32_e64 v158, v21
	;; [unrolled: 1-line block ×3, first 2 shown]
	v_cvt_f16_f32_e32 v18, v23
	v_pack_b32_f16 v13, v17, v13
	v_pack_b32_f16 v12, v12, v25
	;; [unrolled: 1-line block ×4, first 2 shown]
	v_pk_mul_f16 v226, v157, v43 op_sel_hi:[0,1]
	v_pk_mul_f16 v227, v157, v41 op_sel_hi:[0,1]
	;; [unrolled: 1-line block ×13, first 2 shown]
	v_dual_fmac_f32 v216, v45, v21 :: v_dual_fmac_f32 v217, v44, v22
	v_fmac_f32_e32 v214, v59, v23
	ds_store_2addr_b64 v206, v[12:13], v[14:15] offset1:32
	s_waitcnt lgkmcnt(0)
	s_barrier
	buffer_gl0_inv
	ds_load_2addr_b64 v[12:15], v200 offset1:32
	ds_load_b128 v[16:19], v199
	ds_load_b128 v[20:23], v199 offset:16
	ds_load_b128 v[24:27], v199 offset:32
	;; [unrolled: 1-line block ×3, first 2 shown]
	ds_load_2addr_b64 v[41:44], v200 offset0:64 offset1:96
	ds_load_2addr_b64 v[45:48], v200 offset0:128 offset1:160
	;; [unrolled: 1-line block ×3, first 2 shown]
	ds_load_2addr_b64 v[53:56], v207 offset1:32
	ds_load_2addr_b64 v[57:60], v207 offset0:64 offset1:96
	ds_load_2addr_b64 v[61:64], v207 offset0:128 offset1:160
	;; [unrolled: 1-line block ×3, first 2 shown]
	ds_load_2addr_b64 v[69:72], v208 offset1:32
	ds_load_2addr_b64 v[73:76], v208 offset0:64 offset1:96
	ds_load_2addr_b64 v[77:80], v208 offset0:128 offset1:160
	ds_load_b128 v[81:84], v199 offset:64
	ds_load_b128 v[85:88], v199 offset:80
	ds_load_2addr_b64 v[89:92], v208 offset0:192 offset1:224
	ds_load_2addr_b64 v[93:96], v209 offset1:32
	ds_load_2addr_b64 v[97:100], v209 offset0:64 offset1:96
	ds_load_2addr_b64 v[101:104], v209 offset0:128 offset1:160
	ds_load_b128 v[105:108], v199 offset:96
	ds_load_b128 v[109:112], v199 offset:112
	ds_load_2addr_b64 v[113:116], v209 offset0:192 offset1:224
	;; [unrolled: 6-line block ×4, first 2 shown]
	s_waitcnt lgkmcnt(34)
	v_pk_mul_f16 v233, v12, v16 op_sel_hi:[1,0]
	v_pk_mul_f16 v234, v12, v16 op_sel:[0,1]
	v_pk_fma_f16 v229, v12, v17, v229 op_sel:[0,1,0]
	v_pk_fma_f16 v226, v13, v16, v226 op_sel_hi:[1,0,1]
	v_pk_fma_f16 v39, v13, v16, v39 op_sel:[0,1,0]
	v_pk_fma_f16 v235, v13, v17, v35 op_sel_hi:[1,0,1]
	;; [unrolled: 2-line block ×6, first 2 shown]
	v_pk_fma_f16 v232, v15, v17, v232 op_sel:[0,1,0]
	v_pk_mul_f16 v17, v12, v17 op_sel_hi:[1,0]
	v_pk_fma_f16 v40, v157, v40, v233 op_sel_hi:[0,1,1]
	v_pk_fma_f16 v157, v158, v36, v234 op_sel_hi:[0,1,1]
	s_waitcnt lgkmcnt(30)
	v_pk_fma_f16 v158, v42, v18, v226 op_sel_hi:[1,0,1]
	v_pk_fma_f16 v226, v42, v19, v235 op_sel_hi:[1,0,1]
	;; [unrolled: 1-line block ×3, first 2 shown]
	v_pk_fma_f16 v32, v41, v19, v229 op_sel:[0,1,0]
	v_pk_fma_f16 v159, v42, v18, v39 op_sel:[0,1,0]
	;; [unrolled: 1-line block ×3, first 2 shown]
	v_pk_fma_f16 v227, v43, v18, v227 op_sel_hi:[1,0,1]
	v_pk_fma_f16 v229, v43, v18, v37 op_sel:[0,1,0]
	v_pk_fma_f16 v230, v43, v19, v236 op_sel_hi:[1,0,1]
	v_pk_fma_f16 v43, v43, v19, v231 op_sel:[0,1,0]
	v_pk_fma_f16 v228, v44, v18, v228 op_sel_hi:[1,0,1]
	v_pk_fma_f16 v231, v44, v18, v16 op_sel:[0,1,0]
	v_pk_fma_f16 v233, v44, v19, v38 op_sel_hi:[1,0,1]
	v_pk_fma_f16 v44, v44, v19, v232 op_sel:[0,1,0]
	v_pk_fma_f16 v232, v41, v18, v40 op_sel_hi:[1,0,1]
	v_pk_fma_f16 v157, v41, v18, v157 op_sel:[0,1,0]
	v_pk_fma_f16 v41, v41, v19, v17 op_sel_hi:[1,0,1]
	s_waitcnt lgkmcnt(29)
	v_pk_fma_f16 v32, v45, v21, v32 op_sel:[0,1,0]
	v_pk_fma_f16 v158, v46, v20, v158 op_sel_hi:[1,0,1]
	v_pk_fma_f16 v159, v46, v20, v159 op_sel:[0,1,0]
	v_pk_fma_f16 v226, v46, v21, v226 op_sel_hi:[1,0,1]
	v_pk_fma_f16 v46, v46, v21, v42 op_sel:[0,1,0]
	v_pk_fma_f16 v227, v47, v20, v227 op_sel_hi:[1,0,1]
	v_pk_fma_f16 v229, v47, v20, v229 op_sel:[0,1,0]
	v_pk_fma_f16 v230, v47, v21, v230 op_sel_hi:[1,0,1]
	v_pk_fma_f16 v47, v47, v21, v43 op_sel:[0,1,0]
	v_pk_fma_f16 v228, v48, v20, v228 op_sel_hi:[1,0,1]
	v_pk_fma_f16 v231, v48, v20, v231 op_sel:[0,1,0]
	v_pk_fma_f16 v233, v48, v21, v233 op_sel_hi:[1,0,1]
	v_pk_fma_f16 v48, v48, v21, v44 op_sel:[0,1,0]
	v_pk_fma_f16 v232, v45, v20, v232 op_sel_hi:[1,0,1]
	v_pk_fma_f16 v20, v45, v20, v157 op_sel:[0,1,0]
	v_pk_fma_f16 v21, v45, v21, v41 op_sel_hi:[1,0,1]
	s_waitcnt lgkmcnt(28)
	v_pk_fma_f16 v32, v49, v23, v32 op_sel:[0,1,0]
	v_pk_fma_f16 v157, v50, v22, v158 op_sel_hi:[1,0,1]
	v_pk_fma_f16 v158, v50, v22, v159 op_sel:[0,1,0]
	v_pk_fma_f16 v159, v50, v23, v226 op_sel_hi:[1,0,1]
	v_pk_fma_f16 v50, v50, v23, v46 op_sel:[0,1,0]
	;; [unrolled: 17-line block ×6, first 2 shown]
	v_pk_fma_f16 v226, v67, v30, v226 op_sel_hi:[1,0,1]
	v_pk_fma_f16 v227, v67, v30, v227 op_sel:[0,1,0]
	v_pk_fma_f16 v229, v67, v31, v229 op_sel_hi:[1,0,1]
	v_pk_fma_f16 v234, v67, v31, v63 op_sel:[0,1,0]
	v_pk_fma_f16 v228, v68, v30, v228 op_sel_hi:[1,0,1]
	v_pk_fma_f16 v230, v68, v30, v230 op_sel:[0,1,0]
	v_pk_fma_f16 v231, v68, v31, v231 op_sel_hi:[1,0,1]
	v_pk_fma_f16 v235, v68, v31, v64 op_sel:[0,1,0]
	v_pk_fma_f16 v232, v65, v30, v232 op_sel_hi:[1,0,1]
	v_pk_fma_f16 v236, v65, v30, v28 op_sel:[0,1,0]
	v_pk_fma_f16 v237, v65, v31, v29 op_sel_hi:[1,0,1]
	ds_load_2addr_b64 v[12:15], v212 offset1:32
	ds_load_2addr_b64 v[33:36], v212 offset0:64 offset1:96
	ds_load_2addr_b64 v[16:19], v212 offset0:128 offset1:160
	ds_load_b128 v[37:40], v199 offset:192
	ds_load_b128 v[41:44], v199 offset:208
	ds_load_2addr_b64 v[20:23], v212 offset0:192 offset1:224
	ds_load_2addr_b64 v[45:48], v213 offset1:32
	ds_load_2addr_b64 v[49:52], v213 offset0:64 offset1:96
	ds_load_2addr_b64 v[24:27], v213 offset0:128 offset1:160
	ds_load_b128 v[53:56], v199 offset:224
	ds_load_b128 v[57:60], v199 offset:240
	ds_load_2addr_b64 v[28:31], v213 offset0:192 offset1:224
	s_waitcnt lgkmcnt(0)
	s_barrier
	buffer_gl0_inv
	s_clause 0x2
	global_load_b128 v[61:64], v[10:11], off
	global_load_b128 v[65:68], v[6:7], off
	;; [unrolled: 1-line block ×3, first 2 shown]
	v_pk_fma_f16 v10, v69, v82, v32 op_sel:[0,1,0]
	v_pk_fma_f16 v11, v70, v81, v157 op_sel_hi:[1,0,1]
	v_pk_fma_f16 v32, v70, v81, v158 op_sel:[0,1,0]
	v_pk_fma_f16 v157, v70, v82, v159 op_sel_hi:[1,0,1]
	;; [unrolled: 2-line block ×8, first 2 shown]
	global_load_b128 v[69:72], v[4:5], off
	v_pk_fma_f16 v4, v73, v84, v10 op_sel:[0,1,0]
	v_pk_fma_f16 v5, v74, v83, v11 op_sel_hi:[1,0,1]
	v_pk_fma_f16 v10, v74, v83, v32 op_sel:[0,1,0]
	v_pk_fma_f16 v11, v74, v84, v157 op_sel_hi:[1,0,1]
	v_pk_fma_f16 v32, v74, v84, v158 op_sel:[0,1,0]
	v_pk_fma_f16 v74, v75, v83, v159 op_sel_hi:[1,0,1]
	v_pk_fma_f16 v157, v75, v83, v226 op_sel:[0,1,0]
	v_pk_fma_f16 v158, v75, v84, v227 op_sel_hi:[1,0,1]
	v_pk_fma_f16 v75, v75, v84, v229 op_sel:[0,1,0]
	v_pk_fma_f16 v159, v76, v83, v228 op_sel_hi:[1,0,1]
	v_pk_fma_f16 v226, v76, v83, v230 op_sel:[0,1,0]
	v_pk_fma_f16 v227, v76, v84, v231 op_sel_hi:[1,0,1]
	v_pk_fma_f16 v76, v76, v84, v233 op_sel:[0,1,0]
	v_pk_fma_f16 v228, v73, v83, v232 op_sel_hi:[1,0,1]
	v_pk_fma_f16 v81, v73, v83, v81 op_sel:[0,1,0]
	v_pk_fma_f16 v73, v73, v84, v82 op_sel_hi:[1,0,1]
	v_pk_fma_f16 v4, v77, v86, v4 op_sel:[0,1,0]
	v_pk_fma_f16 v5, v78, v85, v5 op_sel_hi:[1,0,1]
	v_pk_fma_f16 v10, v78, v85, v10 op_sel:[0,1,0]
	v_pk_fma_f16 v11, v78, v86, v11 op_sel_hi:[1,0,1]
	v_pk_fma_f16 v32, v78, v86, v32 op_sel:[0,1,0]
	v_pk_fma_f16 v74, v79, v85, v74 op_sel_hi:[1,0,1]
	v_pk_fma_f16 v78, v79, v85, v157 op_sel:[0,1,0]
	v_pk_fma_f16 v82, v79, v86, v158 op_sel_hi:[1,0,1]
	v_pk_fma_f16 v75, v79, v86, v75 op_sel:[0,1,0]
	v_pk_fma_f16 v79, v80, v85, v159 op_sel_hi:[1,0,1]
	v_pk_fma_f16 v83, v80, v85, v226 op_sel:[0,1,0]
	v_pk_fma_f16 v84, v80, v86, v227 op_sel_hi:[1,0,1]
	v_pk_fma_f16 v76, v80, v86, v76 op_sel:[0,1,0]
	v_pk_fma_f16 v80, v77, v85, v228 op_sel_hi:[1,0,1]
	v_pk_fma_f16 v81, v77, v85, v81 op_sel:[0,1,0]
	v_pk_fma_f16 v73, v77, v86, v73 op_sel_hi:[1,0,1]
	v_pk_fma_f16 v4, v89, v88, v4 op_sel:[0,1,0]
	v_pk_fma_f16 v5, v90, v87, v5 op_sel_hi:[1,0,1]
	v_pk_fma_f16 v10, v90, v87, v10 op_sel:[0,1,0]
	v_pk_fma_f16 v11, v90, v88, v11 op_sel_hi:[1,0,1]
	v_pk_fma_f16 v32, v90, v88, v32 op_sel:[0,1,0]
	v_pk_fma_f16 v74, v91, v87, v74 op_sel_hi:[1,0,1]
	v_pk_fma_f16 v77, v91, v87, v78 op_sel:[0,1,0]
	v_pk_fma_f16 v78, v91, v88, v82 op_sel_hi:[1,0,1]
	v_pk_fma_f16 v75, v91, v88, v75 op_sel:[0,1,0]
	v_pk_fma_f16 v79, v92, v87, v79 op_sel_hi:[1,0,1]
	v_pk_fma_f16 v82, v92, v87, v83 op_sel:[0,1,0]
	v_pk_fma_f16 v83, v92, v88, v84 op_sel_hi:[1,0,1]
	v_pk_fma_f16 v76, v92, v88, v76 op_sel:[0,1,0]
	v_pk_fma_f16 v80, v89, v87, v80 op_sel_hi:[1,0,1]
	v_pk_fma_f16 v81, v89, v87, v81 op_sel:[0,1,0]
	v_pk_fma_f16 v73, v89, v88, v73 op_sel_hi:[1,0,1]
	v_pk_fma_f16 v4, v93, v106, v4 op_sel:[0,1,0]
	v_pk_fma_f16 v5, v94, v105, v5 op_sel_hi:[1,0,1]
	v_pk_fma_f16 v10, v94, v105, v10 op_sel:[0,1,0]
	v_pk_fma_f16 v11, v94, v106, v11 op_sel_hi:[1,0,1]
	v_pk_fma_f16 v32, v94, v106, v32 op_sel:[0,1,0]
	v_pk_fma_f16 v74, v95, v105, v74 op_sel_hi:[1,0,1]
	v_pk_fma_f16 v77, v95, v105, v77 op_sel:[0,1,0]
	v_pk_fma_f16 v78, v95, v106, v78 op_sel_hi:[1,0,1]
	v_pk_fma_f16 v75, v95, v106, v75 op_sel:[0,1,0]
	v_pk_fma_f16 v79, v96, v105, v79 op_sel_hi:[1,0,1]
	v_pk_fma_f16 v82, v96, v105, v82 op_sel:[0,1,0]
	v_pk_fma_f16 v83, v96, v106, v83 op_sel_hi:[1,0,1]
	v_pk_fma_f16 v76, v96, v106, v76 op_sel:[0,1,0]
	v_pk_fma_f16 v80, v93, v105, v80 op_sel_hi:[1,0,1]
	v_pk_fma_f16 v81, v93, v105, v81 op_sel:[0,1,0]
	v_pk_fma_f16 v73, v93, v106, v73 op_sel_hi:[1,0,1]
	v_pk_fma_f16 v4, v97, v108, v4 op_sel:[0,1,0]
	v_pk_fma_f16 v5, v98, v107, v5 op_sel_hi:[1,0,1]
	v_pk_fma_f16 v10, v98, v107, v10 op_sel:[0,1,0]
	v_pk_fma_f16 v11, v98, v108, v11 op_sel_hi:[1,0,1]
	v_pk_fma_f16 v32, v98, v108, v32 op_sel:[0,1,0]
	v_pk_fma_f16 v74, v99, v107, v74 op_sel_hi:[1,0,1]
	v_pk_fma_f16 v77, v99, v107, v77 op_sel:[0,1,0]
	v_pk_fma_f16 v78, v99, v108, v78 op_sel_hi:[1,0,1]
	v_pk_fma_f16 v75, v99, v108, v75 op_sel:[0,1,0]
	v_pk_fma_f16 v79, v100, v107, v79 op_sel_hi:[1,0,1]
	v_pk_fma_f16 v82, v100, v107, v82 op_sel:[0,1,0]
	v_pk_fma_f16 v83, v100, v108, v83 op_sel_hi:[1,0,1]
	v_pk_fma_f16 v76, v100, v108, v76 op_sel:[0,1,0]
	v_pk_fma_f16 v80, v97, v107, v80 op_sel_hi:[1,0,1]
	v_pk_fma_f16 v81, v97, v107, v81 op_sel:[0,1,0]
	v_pk_fma_f16 v73, v97, v108, v73 op_sel_hi:[1,0,1]
	v_pk_fma_f16 v4, v101, v110, v4 op_sel:[0,1,0]
	v_pk_fma_f16 v5, v102, v109, v5 op_sel_hi:[1,0,1]
	v_pk_fma_f16 v10, v102, v109, v10 op_sel:[0,1,0]
	v_pk_fma_f16 v11, v102, v110, v11 op_sel_hi:[1,0,1]
	v_pk_fma_f16 v32, v102, v110, v32 op_sel:[0,1,0]
	v_pk_fma_f16 v74, v103, v109, v74 op_sel_hi:[1,0,1]
	v_pk_fma_f16 v77, v103, v109, v77 op_sel:[0,1,0]
	v_pk_fma_f16 v78, v103, v110, v78 op_sel_hi:[1,0,1]
	v_pk_fma_f16 v75, v103, v110, v75 op_sel:[0,1,0]
	v_pk_fma_f16 v79, v104, v109, v79 op_sel_hi:[1,0,1]
	v_pk_fma_f16 v82, v104, v109, v82 op_sel:[0,1,0]
	v_pk_fma_f16 v83, v104, v110, v83 op_sel_hi:[1,0,1]
	v_pk_fma_f16 v76, v104, v110, v76 op_sel:[0,1,0]
	v_pk_fma_f16 v80, v101, v109, v80 op_sel_hi:[1,0,1]
	v_pk_fma_f16 v81, v101, v109, v81 op_sel:[0,1,0]
	v_pk_fma_f16 v73, v101, v110, v73 op_sel_hi:[1,0,1]
	v_pk_fma_f16 v4, v113, v112, v4 op_sel:[0,1,0]
	v_pk_fma_f16 v5, v114, v111, v5 op_sel_hi:[1,0,1]
	v_pk_fma_f16 v10, v114, v111, v10 op_sel:[0,1,0]
	v_pk_fma_f16 v11, v114, v112, v11 op_sel_hi:[1,0,1]
	v_pk_fma_f16 v32, v114, v112, v32 op_sel:[0,1,0]
	v_pk_fma_f16 v74, v115, v111, v74 op_sel_hi:[1,0,1]
	v_pk_fma_f16 v77, v115, v111, v77 op_sel:[0,1,0]
	v_pk_fma_f16 v78, v115, v112, v78 op_sel_hi:[1,0,1]
	v_pk_fma_f16 v75, v115, v112, v75 op_sel:[0,1,0]
	v_pk_fma_f16 v79, v116, v111, v79 op_sel_hi:[1,0,1]
	v_pk_fma_f16 v82, v116, v111, v82 op_sel:[0,1,0]
	v_pk_fma_f16 v83, v116, v112, v83 op_sel_hi:[1,0,1]
	v_pk_fma_f16 v76, v116, v112, v76 op_sel:[0,1,0]
	v_pk_fma_f16 v80, v113, v111, v80 op_sel_hi:[1,0,1]
	v_pk_fma_f16 v81, v113, v111, v81 op_sel:[0,1,0]
	v_pk_fma_f16 v73, v113, v112, v73 op_sel_hi:[1,0,1]
	v_pk_fma_f16 v4, v117, v130, v4 op_sel:[0,1,0]
	v_pk_fma_f16 v5, v118, v129, v5 op_sel_hi:[1,0,1]
	v_pk_fma_f16 v10, v118, v129, v10 op_sel:[0,1,0]
	v_pk_fma_f16 v11, v118, v130, v11 op_sel_hi:[1,0,1]
	v_pk_fma_f16 v32, v118, v130, v32 op_sel:[0,1,0]
	v_pk_fma_f16 v74, v119, v129, v74 op_sel_hi:[1,0,1]
	v_pk_fma_f16 v77, v119, v129, v77 op_sel:[0,1,0]
	v_pk_fma_f16 v78, v119, v130, v78 op_sel_hi:[1,0,1]
	v_pk_fma_f16 v75, v119, v130, v75 op_sel:[0,1,0]
	v_pk_fma_f16 v79, v120, v129, v79 op_sel_hi:[1,0,1]
	v_pk_fma_f16 v82, v120, v129, v82 op_sel:[0,1,0]
	v_pk_fma_f16 v83, v120, v130, v83 op_sel_hi:[1,0,1]
	v_pk_fma_f16 v76, v120, v130, v76 op_sel:[0,1,0]
	v_pk_fma_f16 v80, v117, v129, v80 op_sel_hi:[1,0,1]
	v_pk_fma_f16 v81, v117, v129, v81 op_sel:[0,1,0]
	v_pk_fma_f16 v73, v117, v130, v73 op_sel_hi:[1,0,1]
	v_pk_fma_f16 v4, v121, v132, v4 op_sel:[0,1,0]
	v_pk_fma_f16 v5, v122, v131, v5 op_sel_hi:[1,0,1]
	v_pk_fma_f16 v10, v122, v131, v10 op_sel:[0,1,0]
	v_pk_fma_f16 v11, v122, v132, v11 op_sel_hi:[1,0,1]
	v_pk_fma_f16 v32, v122, v132, v32 op_sel:[0,1,0]
	v_pk_fma_f16 v74, v123, v131, v74 op_sel_hi:[1,0,1]
	v_pk_fma_f16 v77, v123, v131, v77 op_sel:[0,1,0]
	v_pk_fma_f16 v78, v123, v132, v78 op_sel_hi:[1,0,1]
	v_pk_fma_f16 v75, v123, v132, v75 op_sel:[0,1,0]
	v_pk_fma_f16 v79, v124, v131, v79 op_sel_hi:[1,0,1]
	v_pk_fma_f16 v82, v124, v131, v82 op_sel:[0,1,0]
	v_pk_fma_f16 v83, v124, v132, v83 op_sel_hi:[1,0,1]
	v_pk_fma_f16 v76, v124, v132, v76 op_sel:[0,1,0]
	v_pk_fma_f16 v80, v121, v131, v80 op_sel_hi:[1,0,1]
	v_pk_fma_f16 v81, v121, v131, v81 op_sel:[0,1,0]
	v_pk_fma_f16 v73, v121, v132, v73 op_sel_hi:[1,0,1]
	v_pk_fma_f16 v4, v125, v134, v4 op_sel:[0,1,0]
	v_pk_fma_f16 v5, v126, v133, v5 op_sel_hi:[1,0,1]
	v_pk_fma_f16 v10, v126, v133, v10 op_sel:[0,1,0]
	v_pk_fma_f16 v11, v126, v134, v11 op_sel_hi:[1,0,1]
	v_pk_fma_f16 v32, v126, v134, v32 op_sel:[0,1,0]
	v_pk_fma_f16 v74, v127, v133, v74 op_sel_hi:[1,0,1]
	v_pk_fma_f16 v77, v127, v133, v77 op_sel:[0,1,0]
	v_pk_fma_f16 v78, v127, v134, v78 op_sel_hi:[1,0,1]
	v_pk_fma_f16 v75, v127, v134, v75 op_sel:[0,1,0]
	v_pk_fma_f16 v79, v128, v133, v79 op_sel_hi:[1,0,1]
	v_pk_fma_f16 v82, v128, v133, v82 op_sel:[0,1,0]
	v_pk_fma_f16 v83, v128, v134, v83 op_sel_hi:[1,0,1]
	v_pk_fma_f16 v76, v128, v134, v76 op_sel:[0,1,0]
	v_pk_fma_f16 v80, v125, v133, v80 op_sel_hi:[1,0,1]
	v_pk_fma_f16 v81, v125, v133, v81 op_sel:[0,1,0]
	v_pk_fma_f16 v73, v125, v134, v73 op_sel_hi:[1,0,1]
	v_pk_fma_f16 v4, v137, v136, v4 op_sel:[0,1,0]
	v_pk_fma_f16 v5, v138, v135, v5 op_sel_hi:[1,0,1]
	v_pk_fma_f16 v10, v138, v135, v10 op_sel:[0,1,0]
	v_pk_fma_f16 v11, v138, v136, v11 op_sel_hi:[1,0,1]
	v_pk_fma_f16 v32, v138, v136, v32 op_sel:[0,1,0]
	v_pk_fma_f16 v74, v139, v135, v74 op_sel_hi:[1,0,1]
	v_pk_fma_f16 v77, v139, v135, v77 op_sel:[0,1,0]
	v_pk_fma_f16 v78, v139, v136, v78 op_sel_hi:[1,0,1]
	v_pk_fma_f16 v75, v139, v136, v75 op_sel:[0,1,0]
	v_pk_fma_f16 v79, v140, v135, v79 op_sel_hi:[1,0,1]
	v_pk_fma_f16 v82, v140, v135, v82 op_sel:[0,1,0]
	v_pk_fma_f16 v83, v140, v136, v83 op_sel_hi:[1,0,1]
	v_pk_fma_f16 v76, v140, v136, v76 op_sel:[0,1,0]
	v_pk_fma_f16 v80, v137, v135, v80 op_sel_hi:[1,0,1]
	v_pk_fma_f16 v81, v137, v135, v81 op_sel:[0,1,0]
	v_pk_fma_f16 v73, v137, v136, v73 op_sel_hi:[1,0,1]
	v_pk_fma_f16 v4, v141, v154, v4 op_sel:[0,1,0]
	v_pk_fma_f16 v5, v142, v153, v5 op_sel_hi:[1,0,1]
	v_pk_fma_f16 v10, v142, v153, v10 op_sel:[0,1,0]
	v_pk_fma_f16 v11, v142, v154, v11 op_sel_hi:[1,0,1]
	v_pk_fma_f16 v32, v142, v154, v32 op_sel:[0,1,0]
	v_pk_fma_f16 v74, v143, v153, v74 op_sel_hi:[1,0,1]
	v_pk_fma_f16 v77, v143, v153, v77 op_sel:[0,1,0]
	v_pk_fma_f16 v78, v143, v154, v78 op_sel_hi:[1,0,1]
	v_pk_fma_f16 v75, v143, v154, v75 op_sel:[0,1,0]
	v_pk_fma_f16 v79, v144, v153, v79 op_sel_hi:[1,0,1]
	v_pk_fma_f16 v82, v144, v153, v82 op_sel:[0,1,0]
	v_pk_fma_f16 v83, v144, v154, v83 op_sel_hi:[1,0,1]
	v_pk_fma_f16 v76, v144, v154, v76 op_sel:[0,1,0]
	v_pk_fma_f16 v80, v141, v153, v80 op_sel_hi:[1,0,1]
	v_pk_fma_f16 v81, v141, v153, v81 op_sel:[0,1,0]
	v_pk_fma_f16 v73, v141, v154, v73 op_sel_hi:[1,0,1]
	v_pk_fma_f16 v4, v145, v156, v4 op_sel:[0,1,0]
	v_pk_fma_f16 v5, v146, v155, v5 op_sel_hi:[1,0,1]
	v_pk_fma_f16 v10, v146, v155, v10 op_sel:[0,1,0]
	v_pk_fma_f16 v11, v146, v156, v11 op_sel_hi:[1,0,1]
	v_pk_fma_f16 v32, v146, v156, v32 op_sel:[0,1,0]
	v_pk_fma_f16 v74, v147, v155, v74 op_sel_hi:[1,0,1]
	v_pk_fma_f16 v77, v147, v155, v77 op_sel:[0,1,0]
	v_pk_fma_f16 v78, v147, v156, v78 op_sel_hi:[1,0,1]
	v_pk_fma_f16 v75, v147, v156, v75 op_sel:[0,1,0]
	v_pk_fma_f16 v79, v148, v155, v79 op_sel_hi:[1,0,1]
	v_pk_fma_f16 v82, v148, v155, v82 op_sel:[0,1,0]
	v_pk_fma_f16 v83, v148, v156, v83 op_sel_hi:[1,0,1]
	v_pk_fma_f16 v76, v148, v156, v76 op_sel:[0,1,0]
	v_pk_fma_f16 v80, v145, v155, v80 op_sel_hi:[1,0,1]
	v_pk_fma_f16 v81, v145, v155, v81 op_sel:[0,1,0]
	v_pk_fma_f16 v73, v145, v156, v73 op_sel_hi:[1,0,1]
	v_pk_fma_f16 v4, v149, v219, v4 op_sel:[0,1,0]
	v_pk_fma_f16 v5, v150, v218, v5 op_sel_hi:[1,0,1]
	v_pk_fma_f16 v10, v150, v218, v10 op_sel:[0,1,0]
	v_pk_fma_f16 v11, v150, v219, v11 op_sel_hi:[1,0,1]
	v_pk_fma_f16 v32, v150, v219, v32 op_sel:[0,1,0]
	v_pk_fma_f16 v74, v151, v218, v74 op_sel_hi:[1,0,1]
	v_pk_fma_f16 v77, v151, v218, v77 op_sel:[0,1,0]
	v_pk_fma_f16 v78, v151, v219, v78 op_sel_hi:[1,0,1]
	v_pk_fma_f16 v75, v151, v219, v75 op_sel:[0,1,0]
	v_pk_fma_f16 v79, v152, v218, v79 op_sel_hi:[1,0,1]
	v_pk_fma_f16 v82, v152, v218, v82 op_sel:[0,1,0]
	v_pk_fma_f16 v83, v152, v219, v83 op_sel_hi:[1,0,1]
	v_pk_fma_f16 v76, v152, v219, v76 op_sel:[0,1,0]
	v_pk_fma_f16 v80, v149, v218, v80 op_sel_hi:[1,0,1]
	v_pk_fma_f16 v81, v149, v218, v81 op_sel:[0,1,0]
	v_pk_fma_f16 v73, v149, v219, v73 op_sel_hi:[1,0,1]
	v_pk_fma_f16 v4, v222, v221, v4 op_sel:[0,1,0]
	v_pk_fma_f16 v5, v223, v220, v5 op_sel_hi:[1,0,1]
	v_pk_fma_f16 v10, v223, v220, v10 op_sel:[0,1,0]
	v_pk_fma_f16 v11, v223, v221, v11 op_sel_hi:[1,0,1]
	v_pk_fma_f16 v32, v223, v221, v32 op_sel:[0,1,0]
	v_pk_fma_f16 v74, v224, v220, v74 op_sel_hi:[1,0,1]
	v_pk_fma_f16 v77, v224, v220, v77 op_sel:[0,1,0]
	v_pk_fma_f16 v78, v224, v221, v78 op_sel_hi:[1,0,1]
	v_pk_fma_f16 v75, v224, v221, v75 op_sel:[0,1,0]
	v_pk_fma_f16 v79, v225, v220, v79 op_sel_hi:[1,0,1]
	v_pk_fma_f16 v82, v225, v220, v82 op_sel:[0,1,0]
	v_pk_fma_f16 v83, v225, v221, v83 op_sel_hi:[1,0,1]
	v_pk_fma_f16 v76, v225, v221, v76 op_sel:[0,1,0]
	v_pk_fma_f16 v80, v222, v220, v80 op_sel_hi:[1,0,1]
	v_pk_fma_f16 v81, v222, v220, v81 op_sel:[0,1,0]
	v_pk_fma_f16 v73, v222, v221, v73 op_sel_hi:[1,0,1]
	v_pk_fma_f16 v4, v12, v38, v4 op_sel:[0,1,0]
	v_pk_fma_f16 v5, v13, v37, v5 op_sel_hi:[1,0,1]
	v_pk_fma_f16 v10, v13, v37, v10 op_sel:[0,1,0]
	v_pk_fma_f16 v11, v13, v38, v11 op_sel_hi:[1,0,1]
	v_pk_fma_f16 v13, v13, v38, v32 op_sel:[0,1,0]
	v_pk_fma_f16 v32, v14, v37, v74 op_sel_hi:[1,0,1]
	v_pk_fma_f16 v74, v14, v37, v77 op_sel:[0,1,0]
	v_pk_fma_f16 v77, v14, v38, v78 op_sel_hi:[1,0,1]
	v_pk_fma_f16 v14, v14, v38, v75 op_sel:[0,1,0]
	v_pk_fma_f16 v75, v15, v37, v79 op_sel_hi:[1,0,1]
	v_pk_fma_f16 v78, v15, v37, v82 op_sel:[0,1,0]
	v_pk_fma_f16 v79, v15, v38, v83 op_sel_hi:[1,0,1]
	v_pk_fma_f16 v15, v15, v38, v76 op_sel:[0,1,0]
	v_pk_fma_f16 v76, v12, v37, v80 op_sel_hi:[1,0,1]
	v_pk_fma_f16 v37, v12, v37, v81 op_sel:[0,1,0]
	v_pk_fma_f16 v12, v12, v38, v73 op_sel_hi:[1,0,1]
	v_pk_fma_f16 v4, v33, v40, v4 op_sel:[0,1,0]
	v_pk_fma_f16 v5, v34, v39, v5 op_sel_hi:[1,0,1]
	v_pk_fma_f16 v10, v34, v39, v10 op_sel:[0,1,0]
	v_pk_fma_f16 v11, v34, v40, v11 op_sel_hi:[1,0,1]
	v_pk_fma_f16 v13, v34, v40, v13 op_sel:[0,1,0]
	v_pk_fma_f16 v32, v35, v39, v32 op_sel_hi:[1,0,1]
	v_pk_fma_f16 v34, v35, v39, v74 op_sel:[0,1,0]
	v_pk_fma_f16 v38, v35, v40, v77 op_sel_hi:[1,0,1]
	v_pk_fma_f16 v14, v35, v40, v14 op_sel:[0,1,0]
	v_pk_fma_f16 v35, v36, v39, v75 op_sel_hi:[1,0,1]
	v_pk_fma_f16 v73, v36, v39, v78 op_sel:[0,1,0]
	v_pk_fma_f16 v74, v36, v40, v79 op_sel_hi:[1,0,1]
	v_pk_fma_f16 v15, v36, v40, v15 op_sel:[0,1,0]
	v_pk_fma_f16 v36, v33, v39, v76 op_sel_hi:[1,0,1]
	v_pk_fma_f16 v37, v33, v39, v37 op_sel:[0,1,0]
	v_pk_fma_f16 v12, v33, v40, v12 op_sel_hi:[1,0,1]
	v_pk_fma_f16 v4, v16, v42, v4 op_sel:[0,1,0]
	v_pk_fma_f16 v5, v17, v41, v5 op_sel_hi:[1,0,1]
	v_pk_fma_f16 v10, v17, v41, v10 op_sel:[0,1,0]
	v_pk_fma_f16 v11, v17, v42, v11 op_sel_hi:[1,0,1]
	v_pk_fma_f16 v13, v17, v42, v13 op_sel:[0,1,0]
	v_pk_fma_f16 v17, v18, v41, v32 op_sel_hi:[1,0,1]
	v_pk_fma_f16 v32, v18, v41, v34 op_sel:[0,1,0]
	v_pk_fma_f16 v33, v18, v42, v38 op_sel_hi:[1,0,1]
	v_pk_fma_f16 v14, v18, v42, v14 op_sel:[0,1,0]
	v_pk_fma_f16 v18, v19, v41, v35 op_sel_hi:[1,0,1]
	v_pk_fma_f16 v34, v19, v41, v73 op_sel:[0,1,0]
	v_pk_fma_f16 v35, v19, v42, v74 op_sel_hi:[1,0,1]
	v_pk_fma_f16 v15, v19, v42, v15 op_sel:[0,1,0]
	v_pk_fma_f16 v19, v16, v41, v36 op_sel_hi:[1,0,1]
	v_pk_fma_f16 v36, v16, v41, v37 op_sel:[0,1,0]
	v_pk_fma_f16 v12, v16, v42, v12 op_sel_hi:[1,0,1]
	v_pk_fma_f16 v4, v20, v44, v4 op_sel:[0,1,0]
	v_pk_fma_f16 v5, v21, v43, v5 op_sel_hi:[1,0,1]
	v_pk_fma_f16 v10, v21, v43, v10 op_sel:[0,1,0]
	v_pk_fma_f16 v11, v21, v44, v11 op_sel_hi:[1,0,1]
	v_pk_fma_f16 v13, v21, v44, v13 op_sel:[0,1,0]
	v_pk_fma_f16 v16, v22, v43, v17 op_sel_hi:[1,0,1]
	v_pk_fma_f16 v17, v22, v43, v32 op_sel:[0,1,0]
	v_pk_fma_f16 v21, v22, v44, v33 op_sel_hi:[1,0,1]
	v_pk_fma_f16 v14, v22, v44, v14 op_sel:[0,1,0]
	v_pk_fma_f16 v18, v23, v43, v18 op_sel_hi:[1,0,1]
	v_pk_fma_f16 v22, v23, v43, v34 op_sel:[0,1,0]
	v_pk_fma_f16 v32, v23, v44, v35 op_sel_hi:[1,0,1]
	v_pk_fma_f16 v15, v23, v44, v15 op_sel:[0,1,0]
	v_pk_fma_f16 v19, v20, v43, v19 op_sel_hi:[1,0,1]
	v_pk_fma_f16 v23, v20, v43, v36 op_sel:[0,1,0]
	v_pk_fma_f16 v12, v20, v44, v12 op_sel_hi:[1,0,1]
	v_pk_fma_f16 v4, v45, v54, v4 op_sel:[0,1,0]
	v_pk_fma_f16 v5, v46, v53, v5 op_sel_hi:[1,0,1]
	v_pk_fma_f16 v10, v46, v53, v10 op_sel:[0,1,0]
	v_pk_fma_f16 v11, v46, v54, v11 op_sel_hi:[1,0,1]
	v_pk_fma_f16 v13, v46, v54, v13 op_sel:[0,1,0]
	v_pk_fma_f16 v16, v47, v53, v16 op_sel_hi:[1,0,1]
	v_pk_fma_f16 v17, v47, v53, v17 op_sel:[0,1,0]
	v_pk_fma_f16 v20, v47, v54, v21 op_sel_hi:[1,0,1]
	v_pk_fma_f16 v14, v47, v54, v14 op_sel:[0,1,0]
	v_pk_fma_f16 v18, v48, v53, v18 op_sel_hi:[1,0,1]
	v_pk_fma_f16 v21, v48, v53, v22 op_sel:[0,1,0]
	v_pk_fma_f16 v22, v48, v54, v32 op_sel_hi:[1,0,1]
	v_pk_fma_f16 v15, v48, v54, v15 op_sel:[0,1,0]
	v_pk_fma_f16 v19, v45, v53, v19 op_sel_hi:[1,0,1]
	v_pk_fma_f16 v23, v45, v53, v23 op_sel:[0,1,0]
	v_pk_fma_f16 v12, v45, v54, v12 op_sel_hi:[1,0,1]
	v_pk_fma_f16 v4, v49, v56, v4 op_sel:[0,1,0]
	v_pk_fma_f16 v5, v50, v55, v5 op_sel_hi:[1,0,1]
	v_pk_fma_f16 v10, v50, v55, v10 op_sel:[0,1,0]
	v_pk_fma_f16 v11, v50, v56, v11 op_sel_hi:[1,0,1]
	v_pk_fma_f16 v13, v50, v56, v13 op_sel:[0,1,0]
	v_pk_fma_f16 v16, v51, v55, v16 op_sel_hi:[1,0,1]
	v_pk_fma_f16 v17, v51, v55, v17 op_sel:[0,1,0]
	v_pk_fma_f16 v20, v51, v56, v20 op_sel_hi:[1,0,1]
	v_pk_fma_f16 v14, v51, v56, v14 op_sel:[0,1,0]
	v_pk_fma_f16 v18, v52, v55, v18 op_sel_hi:[1,0,1]
	v_pk_fma_f16 v21, v52, v55, v21 op_sel:[0,1,0]
	v_pk_fma_f16 v22, v52, v56, v22 op_sel_hi:[1,0,1]
	v_pk_fma_f16 v15, v52, v56, v15 op_sel:[0,1,0]
	v_pk_fma_f16 v19, v49, v55, v19 op_sel_hi:[1,0,1]
	v_pk_fma_f16 v23, v49, v55, v23 op_sel:[0,1,0]
	v_pk_fma_f16 v12, v49, v56, v12 op_sel_hi:[1,0,1]
	v_pk_fma_f16 v4, v24, v58, v4 op_sel:[0,1,0]
	v_pk_fma_f16 v5, v25, v57, v5 op_sel_hi:[1,0,1]
	v_pk_fma_f16 v10, v25, v57, v10 op_sel:[0,1,0]
	v_pk_fma_f16 v11, v25, v58, v11 op_sel_hi:[1,0,1]
	v_pk_fma_f16 v13, v25, v58, v13 op_sel:[0,1,0]
	v_pk_fma_f16 v16, v26, v57, v16 op_sel_hi:[1,0,1]
	v_pk_fma_f16 v17, v26, v57, v17 op_sel:[0,1,0]
	v_pk_fma_f16 v20, v26, v58, v20 op_sel_hi:[1,0,1]
	v_pk_fma_f16 v14, v26, v58, v14 op_sel:[0,1,0]
	v_pk_fma_f16 v18, v27, v57, v18 op_sel_hi:[1,0,1]
	v_pk_fma_f16 v21, v27, v57, v21 op_sel:[0,1,0]
	v_pk_fma_f16 v22, v27, v58, v22 op_sel_hi:[1,0,1]
	v_pk_fma_f16 v15, v27, v58, v15 op_sel:[0,1,0]
	v_pk_fma_f16 v19, v24, v57, v19 op_sel_hi:[1,0,1]
	v_pk_fma_f16 v23, v24, v57, v23 op_sel:[0,1,0]
	v_pk_fma_f16 v12, v24, v58, v12 op_sel_hi:[1,0,1]
	v_pk_fma_f16 v218, v28, v60, v4 op_sel:[0,1,0]
	v_pk_fma_f16 v219, v29, v59, v5 op_sel_hi:[1,0,1]
	v_pk_fma_f16 v220, v29, v59, v10 op_sel:[0,1,0]
	v_pk_fma_f16 v221, v29, v60, v11 op_sel_hi:[1,0,1]
	v_pk_fma_f16 v222, v29, v60, v13 op_sel:[0,1,0]
	v_pk_fma_f16 v223, v30, v59, v16 op_sel_hi:[1,0,1]
	v_pk_fma_f16 v224, v30, v59, v17 op_sel:[0,1,0]
	v_pk_fma_f16 v225, v30, v60, v20 op_sel_hi:[1,0,1]
	v_pk_fma_f16 v226, v30, v60, v14 op_sel:[0,1,0]
	v_pk_fma_f16 v227, v31, v59, v18 op_sel_hi:[1,0,1]
	v_pk_fma_f16 v228, v31, v59, v21 op_sel:[0,1,0]
	v_pk_fma_f16 v229, v31, v60, v22 op_sel_hi:[1,0,1]
	v_pk_fma_f16 v230, v31, v60, v15 op_sel:[0,1,0]
	v_pk_fma_f16 v231, v28, v59, v19 op_sel_hi:[1,0,1]
	v_pk_fma_f16 v232, v28, v59, v23 op_sel:[0,1,0]
	v_pk_fma_f16 v233, v28, v60, v12 op_sel_hi:[1,0,1]
	s_waitcnt vmcnt(3)
	ds_store_b128 v201, v[61:64]
	s_waitcnt vmcnt(2)
	ds_store_b128 v202, v[65:68]
	;; [unrolled: 2-line block ×4, first 2 shown]
	s_waitcnt lgkmcnt(0)
	s_barrier
	buffer_gl0_inv
	ds_load_2addr_b64 v[156:159], v200 offset1:32
	ds_load_b128 v[148:151], v199 offset:256
	ds_load_b128 v[12:15], v199 offset:272
	;; [unrolled: 1-line block ×4, first 2 shown]
	ds_load_2addr_b64 v[152:155], v200 offset0:64 offset1:96
	ds_load_2addr_b64 v[128:131], v200 offset0:128 offset1:160
	;; [unrolled: 1-line block ×3, first 2 shown]
	ds_load_2addr_b64 v[88:91], v207 offset1:32
	ds_load_2addr_b64 v[28:31], v207 offset0:64 offset1:96
	ds_load_2addr_b64 v[16:19], v207 offset0:128 offset1:160
	;; [unrolled: 1-line block ×3, first 2 shown]
	ds_load_2addr_b64 v[32:35], v208 offset1:32
	ds_load_2addr_b64 v[36:39], v208 offset0:64 offset1:96
	ds_load_2addr_b64 v[40:43], v208 offset0:128 offset1:160
	ds_load_b128 v[64:67], v199 offset:320
	ds_load_b128 v[20:23], v199 offset:336
	ds_load_2addr_b64 v[48:51], v208 offset0:192 offset1:224
	ds_load_2addr_b64 v[52:55], v209 offset1:32
	ds_load_2addr_b64 v[56:59], v209 offset0:64 offset1:96
	ds_load_2addr_b64 v[60:63], v209 offset0:128 offset1:160
	ds_load_b128 v[92:95], v199 offset:352
	ds_load_b128 v[44:47], v199 offset:368
	ds_load_2addr_b64 v[72:75], v209 offset0:192 offset1:224
	;; [unrolled: 6-line block ×4, first 2 shown]
	ds_load_2addr_b64 v[132:135], v212 offset1:32
	ds_load_2addr_b64 v[136:139], v212 offset0:64 offset1:96
	ds_load_2addr_b64 v[140:143], v212 offset0:128 offset1:160
	s_waitcnt lgkmcnt(37)
	v_pk_fma_f16 v231, v156, v148, v231 op_sel_hi:[1,0,1]
	v_pk_fma_f16 v232, v156, v148, v232 op_sel:[0,1,0]
	v_pk_fma_f16 v233, v156, v149, v233 op_sel_hi:[1,0,1]
	v_pk_fma_f16 v218, v156, v149, v218 op_sel:[0,1,0]
	v_pk_fma_f16 v219, v157, v148, v219 op_sel_hi:[1,0,1]
	v_pk_fma_f16 v220, v157, v148, v220 op_sel:[0,1,0]
	v_pk_fma_f16 v221, v157, v149, v221 op_sel_hi:[1,0,1]
	v_pk_fma_f16 v222, v157, v149, v222 op_sel:[0,1,0]
	v_pk_fma_f16 v223, v158, v148, v223 op_sel_hi:[1,0,1]
	v_pk_fma_f16 v224, v158, v148, v224 op_sel:[0,1,0]
	v_pk_fma_f16 v225, v158, v149, v225 op_sel_hi:[1,0,1]
	v_pk_fma_f16 v226, v158, v149, v226 op_sel:[0,1,0]
	v_pk_fma_f16 v227, v159, v148, v227 op_sel_hi:[1,0,1]
	v_pk_fma_f16 v148, v159, v148, v228 op_sel:[0,1,0]
	v_pk_fma_f16 v228, v159, v149, v229 op_sel_hi:[1,0,1]
	v_pk_fma_f16 v149, v159, v149, v230 op_sel:[0,1,0]
	s_waitcnt lgkmcnt(33)
	v_pk_fma_f16 v229, v152, v150, v231 op_sel_hi:[1,0,1]
	v_pk_fma_f16 v230, v152, v150, v232 op_sel:[0,1,0]
	v_pk_fma_f16 v231, v152, v151, v233 op_sel_hi:[1,0,1]
	v_pk_fma_f16 v218, v152, v151, v218 op_sel:[0,1,0]
	v_pk_fma_f16 v219, v153, v150, v219 op_sel_hi:[1,0,1]
	v_pk_fma_f16 v220, v153, v150, v220 op_sel:[0,1,0]
	v_pk_fma_f16 v221, v153, v151, v221 op_sel_hi:[1,0,1]
	v_pk_fma_f16 v222, v153, v151, v222 op_sel:[0,1,0]
	v_pk_fma_f16 v223, v154, v150, v223 op_sel_hi:[1,0,1]
	v_pk_fma_f16 v224, v154, v150, v224 op_sel:[0,1,0]
	v_pk_fma_f16 v225, v154, v151, v225 op_sel_hi:[1,0,1]
	v_pk_fma_f16 v226, v154, v151, v226 op_sel:[0,1,0]
	v_pk_fma_f16 v227, v155, v150, v227 op_sel_hi:[1,0,1]
	v_pk_fma_f16 v232, v155, v150, v148 op_sel:[0,1,0]
	v_pk_fma_f16 v228, v155, v151, v228 op_sel_hi:[1,0,1]
	v_pk_fma_f16 v233, v155, v151, v149 op_sel:[0,1,0]
	;; [unrolled: 17-line block ×9, first 2 shown]
	v_pk_fma_f16 v7, v36, v66, v7 op_sel_hi:[1,0,1]
	v_pk_fma_f16 v19, v36, v66, v19 op_sel:[0,1,0]
	v_pk_fma_f16 v27, v36, v67, v27 op_sel_hi:[1,0,1]
	v_pk_fma_f16 v16, v36, v67, v16 op_sel:[0,1,0]
	v_pk_fma_f16 v24, v37, v66, v24 op_sel_hi:[1,0,1]
	v_pk_fma_f16 v28, v37, v66, v28 op_sel:[0,1,0]
	v_pk_fma_f16 v30, v37, v67, v30 op_sel_hi:[1,0,1]
	v_pk_fma_f16 v17, v37, v67, v17 op_sel:[0,1,0]
	v_pk_fma_f16 v25, v38, v66, v25 op_sel_hi:[1,0,1]
	v_pk_fma_f16 v29, v38, v66, v29 op_sel:[0,1,0]
	v_pk_fma_f16 v31, v38, v67, v31 op_sel_hi:[1,0,1]
	v_pk_fma_f16 v18, v38, v67, v18 op_sel:[0,1,0]
	v_pk_fma_f16 v26, v39, v66, v26 op_sel_hi:[1,0,1]
	v_pk_fma_f16 v4, v39, v66, v4 op_sel:[0,1,0]
	v_pk_fma_f16 v6, v39, v67, v6 op_sel_hi:[1,0,1]
	v_pk_fma_f16 v5, v39, v67, v5 op_sel:[0,1,0]
	s_waitcnt lgkmcnt(22)
	v_pk_fma_f16 v7, v40, v20, v7 op_sel_hi:[1,0,1]
	v_pk_fma_f16 v19, v40, v20, v19 op_sel:[0,1,0]
	v_pk_fma_f16 v27, v40, v21, v27 op_sel_hi:[1,0,1]
	v_pk_fma_f16 v16, v40, v21, v16 op_sel:[0,1,0]
	v_pk_fma_f16 v24, v41, v20, v24 op_sel_hi:[1,0,1]
	v_pk_fma_f16 v28, v41, v20, v28 op_sel:[0,1,0]
	v_pk_fma_f16 v30, v41, v21, v30 op_sel_hi:[1,0,1]
	v_pk_fma_f16 v17, v41, v21, v17 op_sel:[0,1,0]
	v_pk_fma_f16 v25, v42, v20, v25 op_sel_hi:[1,0,1]
	v_pk_fma_f16 v29, v42, v20, v29 op_sel:[0,1,0]
	v_pk_fma_f16 v31, v42, v21, v31 op_sel_hi:[1,0,1]
	v_pk_fma_f16 v18, v42, v21, v18 op_sel:[0,1,0]
	v_pk_fma_f16 v26, v43, v20, v26 op_sel_hi:[1,0,1]
	v_pk_fma_f16 v4, v43, v20, v4 op_sel:[0,1,0]
	v_pk_fma_f16 v6, v43, v21, v6 op_sel_hi:[1,0,1]
	v_pk_fma_f16 v5, v43, v21, v5 op_sel:[0,1,0]
	s_waitcnt lgkmcnt(21)
	;; [unrolled: 17-line block ×3, first 2 shown]
	v_pk_fma_f16 v7, v52, v92, v7 op_sel_hi:[1,0,1]
	v_pk_fma_f16 v19, v52, v92, v19 op_sel:[0,1,0]
	v_pk_fma_f16 v20, v52, v93, v20 op_sel_hi:[1,0,1]
	v_pk_fma_f16 v16, v52, v93, v16 op_sel:[0,1,0]
	;; [unrolled: 2-line block ×16, first 2 shown]
	s_waitcnt lgkmcnt(16)
	v_pk_fma_f16 v7, v60, v44, v7 op_sel_hi:[1,0,1]
	v_pk_fma_f16 v19, v60, v44, v19 op_sel:[0,1,0]
	v_pk_fma_f16 v20, v60, v45, v20 op_sel_hi:[1,0,1]
	v_pk_fma_f16 v16, v60, v45, v16 op_sel:[0,1,0]
	v_pk_fma_f16 v21, v61, v44, v21 op_sel_hi:[1,0,1]
	v_pk_fma_f16 v22, v61, v44, v22 op_sel:[0,1,0]
	v_pk_fma_f16 v23, v61, v45, v23 op_sel_hi:[1,0,1]
	v_pk_fma_f16 v17, v61, v45, v17 op_sel:[0,1,0]
	v_pk_fma_f16 v24, v62, v44, v24 op_sel_hi:[1,0,1]
	v_pk_fma_f16 v25, v62, v44, v25 op_sel:[0,1,0]
	v_pk_fma_f16 v27, v62, v45, v27 op_sel_hi:[1,0,1]
	v_pk_fma_f16 v18, v62, v45, v18 op_sel:[0,1,0]
	v_pk_fma_f16 v26, v63, v44, v26 op_sel_hi:[1,0,1]
	v_pk_fma_f16 v4, v63, v44, v4 op_sel:[0,1,0]
	v_pk_fma_f16 v6, v63, v45, v6 op_sel_hi:[1,0,1]
	v_pk_fma_f16 v5, v63, v45, v5 op_sel:[0,1,0]
	s_waitcnt lgkmcnt(15)
	v_pk_fma_f16 v7, v72, v46, v7 op_sel_hi:[1,0,1]
	v_pk_fma_f16 v19, v72, v46, v19 op_sel:[0,1,0]
	v_pk_fma_f16 v20, v72, v47, v20 op_sel_hi:[1,0,1]
	v_pk_fma_f16 v16, v72, v47, v16 op_sel:[0,1,0]
	v_pk_fma_f16 v21, v73, v46, v21 op_sel_hi:[1,0,1]
	v_pk_fma_f16 v22, v73, v46, v22 op_sel:[0,1,0]
	v_pk_fma_f16 v23, v73, v47, v23 op_sel_hi:[1,0,1]
	v_pk_fma_f16 v17, v73, v47, v17 op_sel:[0,1,0]
	v_pk_fma_f16 v24, v74, v46, v24 op_sel_hi:[1,0,1]
	v_pk_fma_f16 v25, v74, v46, v25 op_sel:[0,1,0]
	v_pk_fma_f16 v27, v74, v47, v27 op_sel_hi:[1,0,1]
	v_pk_fma_f16 v18, v74, v47, v18 op_sel:[0,1,0]
	v_pk_fma_f16 v26, v75, v46, v26 op_sel_hi:[1,0,1]
	v_pk_fma_f16 v4, v75, v46, v4 op_sel:[0,1,0]
	v_pk_fma_f16 v6, v75, v47, v6 op_sel_hi:[1,0,1]
	v_pk_fma_f16 v5, v75, v47, v5 op_sel:[0,1,0]
	;; [unrolled: 17-line block ×3, first 2 shown]
	v_pk_fma_f16 v7, v80, v122, v7 op_sel_hi:[1,0,1]
	v_pk_fma_f16 v19, v80, v122, v19 op_sel:[0,1,0]
	v_pk_fma_f16 v20, v80, v123, v20 op_sel_hi:[1,0,1]
	v_pk_fma_f16 v16, v80, v123, v16 op_sel:[0,1,0]
	;; [unrolled: 2-line block ×8, first 2 shown]
	s_waitcnt lgkmcnt(10)
	v_pk_fma_f16 v7, v84, v68, v7 op_sel_hi:[1,0,1]
	v_pk_fma_f16 v19, v84, v68, v19 op_sel:[0,1,0]
	v_pk_fma_f16 v20, v84, v69, v20 op_sel_hi:[1,0,1]
	v_pk_fma_f16 v16, v84, v69, v16 op_sel:[0,1,0]
	;; [unrolled: 2-line block ×8, first 2 shown]
	s_waitcnt lgkmcnt(9)
	v_pk_fma_f16 v7, v104, v70, v7 op_sel_hi:[1,0,1]
	v_pk_fma_f16 v19, v104, v70, v19 op_sel:[0,1,0]
	v_pk_fma_f16 v20, v104, v71, v20 op_sel_hi:[1,0,1]
	v_pk_fma_f16 v16, v104, v71, v16 op_sel:[0,1,0]
	;; [unrolled: 2-line block ×8, first 2 shown]
	ds_load_b128 v[156:159], v199 offset:448
	s_waitcnt lgkmcnt(6)
	v_pk_fma_f16 v7, v108, v144, v7 op_sel_hi:[1,0,1]
	v_pk_fma_f16 v19, v108, v144, v19 op_sel:[0,1,0]
	v_pk_fma_f16 v20, v108, v145, v20 op_sel_hi:[1,0,1]
	v_pk_fma_f16 v16, v108, v145, v16 op_sel:[0,1,0]
	;; [unrolled: 2-line block ×16, first 2 shown]
	s_waitcnt lgkmcnt(5)
	v_pk_fma_f16 v7, v116, v96, v7 op_sel_hi:[1,0,1]
	v_pk_fma_f16 v19, v116, v96, v19 op_sel:[0,1,0]
	v_pk_fma_f16 v20, v116, v97, v20 op_sel_hi:[1,0,1]
	v_pk_fma_f16 v16, v116, v97, v16 op_sel:[0,1,0]
	;; [unrolled: 2-line block ×8, first 2 shown]
	ds_load_b128 v[148:151], v199 offset:464
	ds_load_2addr_b64 v[152:155], v212 offset0:192 offset1:224
	s_waitcnt lgkmcnt(6)
	v_pk_fma_f16 v7, v124, v98, v7 op_sel_hi:[1,0,1]
	v_pk_fma_f16 v19, v124, v98, v19 op_sel:[0,1,0]
	v_pk_fma_f16 v20, v124, v99, v20 op_sel_hi:[1,0,1]
	v_pk_fma_f16 v16, v124, v99, v16 op_sel:[0,1,0]
	;; [unrolled: 2-line block ×8, first 2 shown]
	ds_load_2addr_b64 v[128:131], v213 offset1:32
	ds_load_2addr_b64 v[12:15], v213 offset0:64 offset1:96
	ds_load_2addr_b64 v[100:103], v213 offset0:128 offset1:160
	ds_load_b128 v[88:91], v199 offset:480
	s_waitcnt lgkmcnt(6)
	v_pk_fma_f16 v7, v132, v156, v7 op_sel_hi:[1,0,1]
	v_pk_fma_f16 v19, v132, v156, v19 op_sel:[0,1,0]
	v_pk_fma_f16 v20, v132, v157, v20 op_sel_hi:[1,0,1]
	v_pk_fma_f16 v16, v132, v157, v16 op_sel:[0,1,0]
	v_pk_fma_f16 v21, v133, v156, v21 op_sel_hi:[1,0,1]
	v_pk_fma_f16 v22, v133, v156, v22 op_sel:[0,1,0]
	v_pk_fma_f16 v23, v133, v157, v23 op_sel_hi:[1,0,1]
	v_pk_fma_f16 v17, v133, v157, v17 op_sel:[0,1,0]
	v_pk_fma_f16 v24, v134, v156, v24 op_sel_hi:[1,0,1]
	v_pk_fma_f16 v25, v134, v156, v25 op_sel:[0,1,0]
	v_pk_fma_f16 v27, v134, v157, v27 op_sel_hi:[1,0,1]
	v_pk_fma_f16 v18, v134, v157, v18 op_sel:[0,1,0]
	v_pk_fma_f16 v26, v135, v156, v26 op_sel_hi:[1,0,1]
	v_pk_fma_f16 v4, v135, v156, v4 op_sel:[0,1,0]
	v_pk_fma_f16 v6, v135, v157, v6 op_sel_hi:[1,0,1]
	v_pk_fma_f16 v5, v135, v157, v5 op_sel:[0,1,0]
	v_pk_fma_f16 v7, v136, v158, v7 op_sel_hi:[1,0,1]
	v_pk_fma_f16 v19, v136, v158, v19 op_sel:[0,1,0]
	v_pk_fma_f16 v20, v136, v159, v20 op_sel_hi:[1,0,1]
	v_pk_fma_f16 v16, v136, v159, v16 op_sel:[0,1,0]
	v_pk_fma_f16 v21, v137, v158, v21 op_sel_hi:[1,0,1]
	v_pk_fma_f16 v22, v137, v158, v22 op_sel:[0,1,0]
	v_pk_fma_f16 v23, v137, v159, v23 op_sel_hi:[1,0,1]
	v_pk_fma_f16 v17, v137, v159, v17 op_sel:[0,1,0]
	v_pk_fma_f16 v24, v138, v158, v24 op_sel_hi:[1,0,1]
	v_pk_fma_f16 v25, v138, v158, v25 op_sel:[0,1,0]
	v_pk_fma_f16 v27, v138, v159, v27 op_sel_hi:[1,0,1]
	v_pk_fma_f16 v18, v138, v159, v18 op_sel:[0,1,0]
	v_pk_fma_f16 v26, v139, v158, v26 op_sel_hi:[1,0,1]
	v_pk_fma_f16 v4, v139, v158, v4 op_sel:[0,1,0]
	v_pk_fma_f16 v6, v139, v159, v6 op_sel_hi:[1,0,1]
	v_pk_fma_f16 v5, v139, v159, v5 op_sel:[0,1,0]
	s_waitcnt lgkmcnt(5)
	v_pk_fma_f16 v7, v140, v148, v7 op_sel_hi:[1,0,1]
	v_pk_fma_f16 v19, v140, v148, v19 op_sel:[0,1,0]
	v_pk_fma_f16 v20, v140, v149, v20 op_sel_hi:[1,0,1]
	v_pk_fma_f16 v16, v140, v149, v16 op_sel:[0,1,0]
	;; [unrolled: 2-line block ×8, first 2 shown]
	ds_load_b128 v[8:11], v199 offset:496
	ds_load_2addr_b64 v[218:221], v213 offset0:192 offset1:224
	s_waitcnt lgkmcnt(0)
	s_barrier
	buffer_gl0_inv
	s_load_b32 s2, s[36:37], 0x4
	v_pk_fma_f16 v7, v152, v150, v7 op_sel_hi:[1,0,1]
	v_pk_fma_f16 v19, v152, v150, v19 op_sel:[0,1,0]
	v_pk_fma_f16 v20, v152, v151, v20 op_sel_hi:[1,0,1]
	v_pk_fma_f16 v16, v152, v151, v16 op_sel:[0,1,0]
	;; [unrolled: 2-line block ×32, first 2 shown]
	s_waitcnt lgkmcnt(0)
	s_lshl_b32 s2, s2, 6
	v_pk_fma_f16 v40, v218, v10, v7 op_sel_hi:[1,0,1]
	v_pk_fma_f16 v36, v218, v10, v15 op_sel:[0,1,0]
	v_pk_fma_f16 v32, v218, v11, v19 op_sel_hi:[1,0,1]
	v_pk_fma_f16 v30, v218, v11, v12 op_sel:[0,1,0]
	;; [unrolled: 2-line block ×8, first 2 shown]
	s_add_i32 s29, s2, s29
	s_delay_alu instid0(SALU_CYCLE_1)
	s_cmp_ge_i32 s29, s30
	s_cbranch_scc0 .LBB26_9
; %bb.10:
	v_dual_mov_b32 v7, 32 :: v_dual_mov_b32 v8, v184
.LBB26_11:
	s_delay_alu instid0(VALU_DEP_1)
	v_cmp_lt_i32_e32 vcc_lo, v189, v7
	s_cmp_lg_u64 s[44:45], 0
	s_cselect_b32 s2, -1, 0
	s_cmp_eq_u32 s14, 0
	v_cndmask_b32_e32 v4, v8, v189, vcc_lo
	v_cmp_lt_i32_e32 vcc_lo, v188, v7
	s_cselect_b32 s3, -1, 0
	s_delay_alu instid0(SALU_CYCLE_1) | instskip(NEXT) | instid1(VALU_DEP_2)
	s_and_b32 s2, s3, s2
	v_lshlrev_b32_e32 v4, 2, v4
	ds_bpermute_b32 v5, v4, v215
	s_waitcnt lgkmcnt(0)
	v_add_f32_e32 v5, v215, v5
	ds_bpermute_b32 v9, v4, v217
	v_cndmask_b32_e32 v10, v8, v188, vcc_lo
	ds_bpermute_b32 v6, v4, v216
	ds_bpermute_b32 v4, v4, v214
	v_cmp_lt_i32_e32 vcc_lo, v187, v7
	v_cndmask_b32_e32 v14, v8, v187, vcc_lo
	v_cmp_lt_i32_e32 vcc_lo, v186, v7
	s_waitcnt lgkmcnt(2)
	s_delay_alu instid0(VALU_DEP_2)
	v_dual_add_f32 v9, v217, v9 :: v_dual_lshlrev_b32 v14, 2, v14
	v_lshlrev_b32_e32 v10, 2, v10
	ds_bpermute_b32 v13, v10, v9
	s_waitcnt lgkmcnt(0)
	v_add_f32_e32 v9, v9, v13
	ds_bpermute_b32 v11, v10, v5
	v_add_f32_e32 v6, v216, v6
	ds_bpermute_b32 v12, v10, v6
	s_waitcnt lgkmcnt(1)
	v_dual_add_f32 v5, v5, v11 :: v_dual_add_f32 v4, v214, v4
	ds_bpermute_b32 v10, v10, v4
	s_waitcnt lgkmcnt(1)
	v_add_f32_e32 v6, v6, v12
	ds_bpermute_b32 v12, v14, v9
	ds_bpermute_b32 v11, v14, v6
	s_waitcnt lgkmcnt(2)
	v_add_f32_e32 v4, v4, v10
	ds_bpermute_b32 v10, v14, v5
	s_waitcnt lgkmcnt(2)
	v_add_f32_e32 v9, v9, v12
	ds_bpermute_b32 v13, v14, v4
	v_cndmask_b32_e32 v14, v8, v186, vcc_lo
	v_cmp_lt_i32_e32 vcc_lo, v185, v7
	v_cndmask_b32_e32 v7, v8, v185, vcc_lo
	s_and_b32 vcc_lo, exec_lo, s2
	s_delay_alu instid0(VALU_DEP_1)
	v_lshlrev_b32_e32 v7, 2, v7
	s_waitcnt lgkmcnt(1)
	v_dual_add_f32 v6, v6, v11 :: v_dual_add_f32 v5, v5, v10
	s_waitcnt lgkmcnt(0)
	v_add_f32_e32 v4, v4, v13
	v_lshlrev_b32_e32 v14, 2, v14
	ds_bpermute_b32 v12, v14, v9
	ds_bpermute_b32 v13, v14, v4
	s_waitcnt lgkmcnt(0)
	v_dual_add_f32 v8, v9, v12 :: v_dual_add_f32 v9, v4, v13
	ds_bpermute_b32 v10, v14, v5
	ds_bpermute_b32 v11, v14, v6
	s_waitcnt lgkmcnt(0)
	v_dual_add_f32 v5, v5, v10 :: v_dual_add_f32 v6, v6, v11
	ds_bpermute_b32 v11, v7, v8
	ds_bpermute_b32 v4, v7, v5
	;; [unrolled: 1-line block ×4, first 2 shown]
	s_waitcnt lgkmcnt(1)
	v_dual_add_f32 v4, v5, v4 :: v_dual_add_f32 v5, v6, v10
	v_add_f32_e32 v6, v8, v11
	s_waitcnt lgkmcnt(0)
	v_add_f32_e32 v7, v9, v7
	s_cbranch_vccz .LBB26_14
; %bb.12:
	s_ashr_i32 s29, s28, 31
	v_dual_mov_b32 v8, 0 :: v_dual_max_f32 v9, v1, v1
	s_lshl_b64 s[2:3], s[28:29], 2
	v_max_f32_e32 v15, v3, v3
	s_add_u32 s2, s44, s2
	s_addc_u32 s3, s45, s3
	global_load_b64 v[12:13], v8, s[2:3]
	s_waitcnt vmcnt(0)
	v_dual_max_f32 v8, v0, v0 :: v_dual_max_f32 v11, v13, v13
	v_max_f32_e32 v10, v12, v12
	s_delay_alu instid0(VALU_DEP_2) | instskip(NEXT) | instid1(VALU_DEP_2)
	v_dual_max_f32 v14, v2, v2 :: v_dual_max_f32 v9, v9, v11
	v_dual_max_f32 v8, v8, v10 :: v_dual_max_f32 v11, v15, v11
	s_delay_alu instid0(VALU_DEP_2) | instskip(NEXT) | instid1(VALU_DEP_3)
	v_max_f32_e32 v10, v14, v10
	v_sub_f32_e32 v16, v1, v9
	s_delay_alu instid0(VALU_DEP_3) | instskip(NEXT) | instid1(VALU_DEP_3)
	v_dual_sub_f32 v14, v0, v8 :: v_dual_sub_f32 v17, v13, v9
	v_dual_sub_f32 v15, v12, v8 :: v_dual_sub_f32 v18, v2, v10
	;; [unrolled: 1-line block ×3, first 2 shown]
	v_dual_sub_f32 v19, v3, v11 :: v_dual_mov_b32 v0, v8
	v_mov_b32_e32 v3, v11
	v_dual_mov_b32 v1, v9 :: v_dual_mov_b32 v2, v10
	v_dual_mul_f32 v9, 0x3fb8aa3b, v15 :: v_dual_mul_f32 v8, 0x3fb8aa3b, v14
	v_dual_mul_f32 v11, 0x3fb8aa3b, v17 :: v_dual_mul_f32 v10, 0x3fb8aa3b, v16
	;; [unrolled: 1-line block ×3, first 2 shown]
	v_mul_f32_e32 v21, 0x3fb8aa3b, v12
	s_delay_alu instid0(VALU_DEP_4)
	v_fma_f32 v24, 0x3fb8aa3b, v14, -v8
	v_rndne_f32_e32 v25, v8
	v_fma_f32 v44, 0x3fb8aa3b, v16, -v10
	v_fma_f32 v26, 0x3fb8aa3b, v15, -v9
	;; [unrolled: 1-line block ×3, first 2 shown]
	v_rndne_f32_e32 v51, v21
	v_rndne_f32_e32 v27, v9
	v_fma_f32 v46, 0x3fb8aa3b, v17, -v11
	v_rndne_f32_e32 v47, v11
	v_fmac_f32_e32 v24, 0x32a5705f, v14
	v_sub_f32_e32 v8, v8, v25
	v_dual_fmac_f32 v44, 0x32a5705f, v16 :: v_dual_sub_f32 v21, v21, v51
	v_dual_fmac_f32 v50, 0x32a5705f, v12 :: v_dual_sub_f32 v9, v9, v27
	;; [unrolled: 1-line block ×3, first 2 shown]
	s_delay_alu instid0(VALU_DEP_2) | instskip(SKIP_2) | instid1(VALU_DEP_4)
	v_dual_add_f32 v8, v8, v24 :: v_dual_add_f32 v21, v21, v50
	v_fmac_f32_e32 v26, 0x32a5705f, v15
	v_rndne_f32_e32 v45, v10
	v_dual_add_f32 v11, v11, v46 :: v_dual_mul_f32 v22, 0x3fb8aa3b, v19
	s_delay_alu instid0(VALU_DEP_4) | instskip(NEXT) | instid1(VALU_DEP_3)
	v_exp_f32_e32 v8, v8
	v_add_f32_e32 v9, v9, v26
	v_rndne_f32_e32 v55, v23
	v_cvt_i32_f32_e32 v25, v25
	v_sub_f32_e32 v10, v10, v45
	v_fma_f32 v48, 0x3fb8aa3b, v18, -v20
	v_exp_f32_e32 v9, v9
	v_rndne_f32_e32 v49, v20
	v_fma_f32 v54, 0x3fb8aa3b, v13, -v23
	v_sub_f32_e32 v23, v23, v55
	v_cvt_i32_f32_e32 v27, v27
	v_add_f32_e32 v10, v10, v44
	v_ldexp_f32 v8, v8, v25
	v_cmp_ngt_f32_e32 vcc_lo, 0xc2ce8ed0, v14
	v_fmac_f32_e32 v54, 0x32a5705f, v13
	v_sub_f32_e32 v20, v20, v49
	v_exp_f32_e32 v10, v10
	v_ldexp_f32 v9, v9, v27
	v_cndmask_b32_e32 v8, 0, v8, vcc_lo
	v_cmp_ngt_f32_e32 vcc_lo, 0xc2ce8ed0, v15
	v_fmac_f32_e32 v48, 0x32a5705f, v18
	v_cvt_i32_f32_e32 v45, v45
	v_add_f32_e32 v23, v23, v54
	v_exp_f32_e32 v11, v11
	s_delay_alu instid0(VALU_DEP_3)
	v_dual_cndmask_b32 v9, 0, v9 :: v_dual_add_f32 v20, v20, v48
	v_cvt_i32_f32_e32 v47, v47
	v_ldexp_f32 v10, v10, v45
	v_cmp_ngt_f32_e32 vcc_lo, 0xc2ce8ed0, v16
	v_cvt_i32_f32_e32 v49, v49
	v_exp_f32_e32 v20, v20
	v_exp_f32_e32 v21, v21
	;; [unrolled: 1-line block ×3, first 2 shown]
	v_ldexp_f32 v11, v11, v47
	v_cndmask_b32_e32 v10, 0, v10, vcc_lo
	v_cmp_ngt_f32_e32 vcc_lo, 0xc2ce8ed0, v17
	v_fma_f32 v52, 0x3fb8aa3b, v19, -v22
	v_rndne_f32_e32 v53, v22
	v_cvt_i32_f32_e32 v51, v51
	v_cvt_i32_f32_e32 v26, v55
	v_ldexp_f32 v20, v20, v49
	v_cndmask_b32_e32 v11, 0, v11, vcc_lo
	v_cmp_ngt_f32_e32 vcc_lo, 0xc2ce8ed0, v18
	v_ldexp_f32 v21, v21, v51
	v_ldexp_f32 v23, v23, v26
	v_sub_f32_e32 v22, v22, v53
	v_cvt_i32_f32_e32 v24, v53
	v_cndmask_b32_e32 v20, 0, v20, vcc_lo
	v_cmp_ngt_f32_e32 vcc_lo, 0xc2ce8ed0, v12
	v_dual_fmac_f32 v52, 0x32a5705f, v19 :: v_dual_cndmask_b32 v21, 0, v21
	s_delay_alu instid0(VALU_DEP_1) | instskip(SKIP_1) | instid1(VALU_DEP_2)
	v_add_f32_e32 v22, v22, v52
	v_cmp_ngt_f32_e32 vcc_lo, 0xc2ce8ed0, v19
	v_exp_f32_e32 v22, v22
	s_waitcnt_depctr 0xfff
	v_ldexp_f32 v22, v22, v24
	s_delay_alu instid0(VALU_DEP_1)
	v_cndmask_b32_e32 v22, 0, v22, vcc_lo
	v_cmp_ngt_f32_e32 vcc_lo, 0xc2ce8ed0, v13
	v_cndmask_b32_e32 v23, 0, v23, vcc_lo
	v_cmp_nlt_f32_e32 vcc_lo, 0x42b17218, v14
	v_cndmask_b32_e32 v14, 0x7f800000, v8, vcc_lo
	v_cmp_nlt_f32_e32 vcc_lo, 0x42b17218, v15
	;; [unrolled: 2-line block ×3, first 2 shown]
	s_delay_alu instid0(VALU_DEP_2)
	v_fmac_f32_e32 v8, v4, v14
	v_cndmask_b32_e32 v15, 0x7f800000, v10, vcc_lo
	v_cmp_nlt_f32_e32 vcc_lo, 0x42b17218, v17
	v_cvt_f16_f32_e32 v4, v14
	v_cndmask_b32_e32 v9, 0x7f800000, v11, vcc_lo
	v_cmp_nlt_f32_e32 vcc_lo, 0x42b17218, v18
	s_delay_alu instid0(VALU_DEP_3)
	v_pk_mul_f16 v40, v4, v40 op_sel_hi:[0,1]
	v_pk_mul_f16 v43, v4, v43 op_sel_hi:[0,1]
	;; [unrolled: 1-line block ×3, first 2 shown]
	v_dual_fmac_f32 v9, v5, v15 :: v_dual_cndmask_b32 v16, 0x7f800000, v20
	v_cmp_nlt_f32_e32 vcc_lo, 0x42b17218, v12
	v_cvt_f16_f32_e32 v5, v15
	v_pk_mul_f16 v42, v4, v42 op_sel_hi:[0,1]
	v_mov_b32_e32 v4, v8
	v_cndmask_b32_e32 v10, 0x7f800000, v21, vcc_lo
	v_cmp_nlt_f32_e32 vcc_lo, 0x42b17218, v19
	v_pk_mul_f16 v36, v5, v36 op_sel_hi:[0,1]
	v_pk_mul_f16 v39, v5, v39 op_sel_hi:[0,1]
	;; [unrolled: 1-line block ×3, first 2 shown]
	v_fmac_f32_e32 v10, v6, v16
	v_cndmask_b32_e32 v12, 0x7f800000, v22, vcc_lo
	v_cmp_nlt_f32_e32 vcc_lo, 0x42b17218, v13
	v_cvt_f16_f32_e32 v6, v16
	v_pk_mul_f16 v38, v5, v38 op_sel_hi:[0,1]
	v_mov_b32_e32 v5, v9
	v_cndmask_b32_e32 v11, 0x7f800000, v23, vcc_lo
	s_delay_alu instid0(VALU_DEP_4)
	v_pk_mul_f16 v32, v6, v32 op_sel_hi:[0,1]
	v_pk_mul_f16 v35, v6, v35 op_sel_hi:[0,1]
	;; [unrolled: 1-line block ×4, first 2 shown]
	v_fmac_f32_e32 v11, v7, v12
	v_cvt_f16_f32_e32 v7, v12
	v_mov_b32_e32 v6, v10
	s_delay_alu instid0(VALU_DEP_2)
	v_pk_mul_f16 v30, v7, v30 op_sel_hi:[0,1]
	v_pk_mul_f16 v31, v7, v31 op_sel_hi:[0,1]
	;; [unrolled: 1-line block ×4, first 2 shown]
	v_mov_b32_e32 v7, v11
	s_mov_b32 s2, exec_lo
	v_cmpx_gt_i32_e64 s26, v182
	s_cbranch_execnz .LBB26_15
.LBB26_13:
	s_nop 0
	s_sendmsg sendmsg(MSG_DEALLOC_VGPRS)
	s_endpgm
.LBB26_14:
	s_delay_alu instid0(VALU_DEP_1)
	v_dual_mov_b32 v11, v7 :: v_dual_mov_b32 v10, v6
	v_dual_mov_b32 v9, v5 :: v_dual_mov_b32 v8, v4
	s_mov_b32 s2, exec_lo
	v_cmpx_gt_i32_e64 s26, v182
	s_cbranch_execz .LBB26_13
.LBB26_15:
	s_load_b32 s1, s[0:1], 0xd4
	v_mov_b32_e32 v14, 1.0
	s_waitcnt lgkmcnt(0)
	s_cmp_lg_u32 s1, 1
	s_cselect_b32 s3, -1, 0
	s_cmp_eq_u32 s1, 1
	s_cselect_b32 s4, -1, 0
	s_and_b32 vcc_lo, exec_lo, s3
	s_cbranch_vccnz .LBB26_17
; %bb.16:
	v_div_scale_f32 v12, null, v4, v4, 1.0
	s_delay_alu instid0(VALU_DEP_1) | instskip(SKIP_2) | instid1(VALU_DEP_1)
	v_rcp_f32_e32 v13, v12
	s_waitcnt_depctr 0xfff
	v_fma_f32 v14, -v12, v13, 1.0
	v_fmac_f32_e32 v13, v14, v13
	v_div_scale_f32 v14, vcc_lo, 1.0, v4, 1.0
	s_delay_alu instid0(VALU_DEP_1) | instskip(NEXT) | instid1(VALU_DEP_1)
	v_mul_f32_e32 v15, v14, v13
	v_fma_f32 v16, -v12, v15, v14
	s_delay_alu instid0(VALU_DEP_1) | instskip(NEXT) | instid1(VALU_DEP_1)
	v_fmac_f32_e32 v15, v16, v13
	v_fma_f32 v12, -v12, v15, v14
	s_delay_alu instid0(VALU_DEP_1) | instskip(NEXT) | instid1(VALU_DEP_1)
	v_div_fmas_f32 v12, v12, v13, v15
	v_div_fixup_f32 v14, v12, v4, 1.0
.LBB26_17:
	s_mul_i32 s2, s33, s26
	v_cvt_f32_f16_e32 v16, v43
	s_add_i32 s2, s2, s31
	v_lshrrev_b32_e32 v15, 16, v43
	v_add_nc_u32_e32 v4, s2, v181
	v_lshrrev_b32_e32 v18, 16, v40
	v_cvt_f32_f16_e32 v19, v40
	v_lshrrev_b32_e32 v20, 16, v42
	v_lshrrev_b32_e32 v22, 16, v41
	v_mul_lo_u32 v4, v4, s27
	v_cvt_f32_f16_e32 v25, v41
	v_cvt_f32_f16_e32 v27, v15
	v_mul_f32_e32 v15, v14, v19
	v_cvt_f32_f16_e32 v20, v20
	v_cmp_eq_u32_e32 vcc_lo, 0, v183
	v_dual_mul_f32 v19, v14, v25 :: v_dual_mov_b32 v24, 0
	v_add_nc_u32_e32 v17, s28, v4
	s_and_b32 s3, vcc_lo, s3
	s_delay_alu instid0(VALU_DEP_1) | instskip(SKIP_4) | instid1(VALU_DEP_4)
	v_mad_u64_u32 v[12:13], null, s1, v17, s[14:15]
	v_cvt_f32_f16_e32 v13, v42
	v_mul_f32_e32 v17, v14, v16
	v_cvt_f32_f16_e32 v16, v18
	v_mul_f32_e32 v18, v14, v27
	v_mul_f32_e32 v21, v14, v13
	v_lshl_add_u32 v23, v12, 8, v179
	v_cvt_f32_f16_e32 v13, v22
	v_mul_f32_e32 v22, v14, v20
	v_mul_f32_e32 v16, v14, v16
	s_delay_alu instid0(VALU_DEP_4) | instskip(NEXT) | instid1(VALU_DEP_4)
	v_lshlrev_b64 v[25:26], 2, v[23:24]
	v_dual_mul_f32 v20, v14, v13 :: v_dual_add_nc_u32 v23, 0x80, v23
	s_delay_alu instid0(VALU_DEP_1) | instskip(NEXT) | instid1(VALU_DEP_3)
	v_lshlrev_b64 v[13:14], 2, v[23:24]
	v_add_co_u32 v23, s0, s48, v25
	s_delay_alu instid0(VALU_DEP_1) | instskip(NEXT) | instid1(VALU_DEP_3)
	v_add_co_ci_u32_e64 v24, s0, s49, v26, s0
	v_add_co_u32 v13, s0, s48, v13
	s_delay_alu instid0(VALU_DEP_1)
	v_add_co_ci_u32_e64 v14, s0, s49, v14, s0
	s_clause 0x1
	global_store_b128 v[23:24], v[15:18], off
	global_store_b128 v[13:14], v[19:22], off
	s_and_saveexec_b32 s0, s3
	s_cbranch_execz .LBB26_19
; %bb.18:
	v_ashrrev_i32_e32 v13, 31, v12
	v_mov_b32_e32 v14, v0
	v_mov_b32_e32 v15, v8
	s_delay_alu instid0(VALU_DEP_3) | instskip(NEXT) | instid1(VALU_DEP_1)
	v_lshlrev_b64 v[12:13], 3, v[12:13]
	v_add_co_u32 v12, vcc_lo, s50, v12
	s_delay_alu instid0(VALU_DEP_2)
	v_add_co_ci_u32_e32 v13, vcc_lo, s51, v13, vcc_lo
	global_store_b64 v[12:13], v[14:15], off
.LBB26_19:
	s_or_b32 exec_lo, exec_lo, s0
	v_cndmask_b32_e64 v12, 0, 1, s4
	v_mov_b32_e32 v0, 1.0
	s_and_not1_b32 vcc_lo, exec_lo, s4
	s_cbranch_vccnz .LBB26_21
; %bb.20:
	v_div_scale_f32 v0, null, v5, v5, 1.0
	s_delay_alu instid0(VALU_DEP_1) | instskip(SKIP_2) | instid1(VALU_DEP_1)
	v_rcp_f32_e32 v8, v0
	s_waitcnt_depctr 0xfff
	v_fma_f32 v13, -v0, v8, 1.0
	v_fmac_f32_e32 v8, v13, v8
	v_div_scale_f32 v13, vcc_lo, 1.0, v5, 1.0
	s_delay_alu instid0(VALU_DEP_1) | instskip(NEXT) | instid1(VALU_DEP_1)
	v_mul_f32_e32 v14, v13, v8
	v_fma_f32 v15, -v0, v14, v13
	s_delay_alu instid0(VALU_DEP_1) | instskip(NEXT) | instid1(VALU_DEP_1)
	v_fmac_f32_e32 v14, v15, v8
	v_fma_f32 v0, -v0, v14, v13
	s_delay_alu instid0(VALU_DEP_1) | instskip(NEXT) | instid1(VALU_DEP_1)
	v_div_fmas_f32 v0, v0, v8, v14
	v_div_fixup_f32 v0, v0, v5, 1.0
.LBB26_21:
	s_add_i32 s0, s28, 1
	v_cvt_f32_f16_e32 v14, v39
	v_add_nc_u32_e32 v8, s0, v4
	v_lshrrev_b32_e32 v13, 16, v39
	v_lshrrev_b32_e32 v16, 16, v38
	v_lshrrev_b32_e32 v21, 16, v37
	v_mul_f32_e32 v15, v0, v14
	v_mad_u64_u32 v[4:5], null, s1, v8, s[14:15]
	v_cvt_f32_f16_e32 v8, v36
	v_mov_b32_e32 v18, 0
	v_cvt_f32_f16_e32 v22, v13
	v_lshrrev_b32_e32 v5, 16, v36
	v_cvt_f32_f16_e32 v25, v38
	v_mul_f32_e32 v13, v0, v8
	v_lshl_add_u32 v17, v4, 8, v179
	v_cvt_f32_f16_e32 v8, v16
	v_mul_f32_e32 v16, v0, v22
	v_cvt_f32_f16_e32 v5, v5
	v_cvt_f32_f16_e32 v26, v21
	v_lshlrev_b64 v[19:20], 2, v[17:18]
	v_add_nc_u32_e32 v17, 0x80, v17
	s_delay_alu instid0(VALU_DEP_4) | instskip(SKIP_1) | instid1(VALU_DEP_3)
	v_mul_f32_e32 v14, v0, v5
	v_cvt_f32_f16_e32 v5, v37
	v_lshlrev_b64 v[23:24], 2, v[17:18]
	v_add_co_u32 v21, vcc_lo, s48, v19
	v_add_co_ci_u32_e32 v22, vcc_lo, s49, v20, vcc_lo
	v_mul_f32_e32 v20, v0, v8
	s_delay_alu instid0(VALU_DEP_4)
	v_add_co_u32 v23, vcc_lo, s48, v23
	v_mul_f32_e32 v19, v0, v25
	v_mul_f32_e32 v18, v0, v26
	;; [unrolled: 1-line block ×3, first 2 shown]
	v_add_co_ci_u32_e32 v24, vcc_lo, s49, v24, vcc_lo
	s_clause 0x1
	global_store_b128 v[21:22], v[13:16], off
	global_store_b128 v[23:24], v[17:20], off
	s_and_saveexec_b32 s4, s3
	s_cbranch_execz .LBB26_23
; %bb.22:
	v_ashrrev_i32_e32 v5, 31, v4
	v_mov_b32_e32 v8, v1
	s_delay_alu instid0(VALU_DEP_2) | instskip(NEXT) | instid1(VALU_DEP_1)
	v_lshlrev_b64 v[4:5], 3, v[4:5]
	v_add_co_u32 v4, vcc_lo, s50, v4
	s_delay_alu instid0(VALU_DEP_2)
	v_add_co_ci_u32_e32 v5, vcc_lo, s51, v5, vcc_lo
	global_store_b64 v[4:5], v[8:9], off
.LBB26_23:
	s_or_b32 exec_lo, exec_lo, s4
	v_cmp_gt_i32_e32 vcc_lo, s26, v180
	s_and_b32 exec_lo, exec_lo, vcc_lo
	s_cbranch_execz .LBB26_13
; %bb.24:
	v_cmp_ne_u32_e32 vcc_lo, 1, v12
	v_mov_b32_e32 v4, 1.0
	s_cbranch_vccnz .LBB26_26
; %bb.25:
	v_div_scale_f32 v0, null, v6, v6, 1.0
	s_delay_alu instid0(VALU_DEP_1) | instskip(SKIP_2) | instid1(VALU_DEP_1)
	v_rcp_f32_e32 v1, v0
	s_waitcnt_depctr 0xfff
	v_fma_f32 v4, -v0, v1, 1.0
	v_fmac_f32_e32 v1, v4, v1
	v_div_scale_f32 v4, vcc_lo, 1.0, v6, 1.0
	s_delay_alu instid0(VALU_DEP_1) | instskip(NEXT) | instid1(VALU_DEP_1)
	v_mul_f32_e32 v5, v4, v1
	v_fma_f32 v8, -v0, v5, v4
	s_delay_alu instid0(VALU_DEP_1) | instskip(NEXT) | instid1(VALU_DEP_1)
	v_fmac_f32_e32 v5, v8, v1
	v_fma_f32 v0, -v0, v5, v4
	s_delay_alu instid0(VALU_DEP_1) | instskip(NEXT) | instid1(VALU_DEP_1)
	v_div_fmas_f32 v0, v0, v1, v5
	v_div_fixup_f32 v4, v0, v6, 1.0
.LBB26_26:
	v_cvt_f32_f16_e32 v9, v35
	v_add_nc_u32_e32 v0, s2, v178
	v_lshrrev_b32_e32 v8, 16, v35
	v_lshrrev_b32_e32 v13, 16, v32
	v_cvt_f32_f16_e32 v14, v32
	v_mul_f32_e32 v15, v4, v9
	v_mad_u64_u32 v[5:6], null, v0, s27, s[28:29]
	v_mov_b32_e32 v6, 0
	v_lshrrev_b32_e32 v16, 16, v34
	v_lshrrev_b32_e32 v17, 16, v33
	v_cvt_f32_f16_e32 v18, v33
	v_cvt_f32_f16_e32 v20, v8
	;; [unrolled: 1-line block ×3, first 2 shown]
	v_mul_f32_e32 v13, v4, v14
	v_mad_u64_u32 v[0:1], null, s1, v5, s[14:15]
	v_cvt_f32_f16_e32 v1, v34
	v_cvt_f32_f16_e32 v22, v16
	v_mul_f32_e32 v14, v4, v21
	v_mul_f32_e32 v16, v4, v20
	s_delay_alu instid0(VALU_DEP_4) | instskip(SKIP_4) | instid1(VALU_DEP_4)
	v_mul_f32_e32 v19, v4, v1
	v_lshl_add_u32 v5, v0, 8, v179
	v_cvt_f32_f16_e32 v1, v17
	v_mul_f32_e32 v17, v4, v18
	v_mul_f32_e32 v20, v4, v22
	v_lshlrev_b64 v[8:9], 2, v[5:6]
	v_add_nc_u32_e32 v5, 0x80, v5
	v_mul_f32_e32 v18, v4, v1
	s_delay_alu instid0(VALU_DEP_2) | instskip(NEXT) | instid1(VALU_DEP_4)
	v_lshlrev_b64 v[4:5], 2, v[5:6]
	v_add_co_u32 v8, vcc_lo, s48, v8
	v_add_co_ci_u32_e32 v9, vcc_lo, s49, v9, vcc_lo
	s_delay_alu instid0(VALU_DEP_3) | instskip(NEXT) | instid1(VALU_DEP_4)
	v_add_co_u32 v4, vcc_lo, s48, v4
	v_add_co_ci_u32_e32 v5, vcc_lo, s49, v5, vcc_lo
	s_clause 0x1
	global_store_b128 v[8:9], v[13:16], off
	global_store_b128 v[4:5], v[17:20], off
	s_and_saveexec_b32 s4, s3
	s_cbranch_execz .LBB26_28
; %bb.27:
	v_ashrrev_i32_e32 v1, 31, v0
	v_mov_b32_e32 v9, v2
	s_delay_alu instid0(VALU_DEP_2) | instskip(NEXT) | instid1(VALU_DEP_1)
	v_lshlrev_b64 v[0:1], 3, v[0:1]
	v_add_co_u32 v0, vcc_lo, s50, v0
	s_delay_alu instid0(VALU_DEP_2)
	v_add_co_ci_u32_e32 v1, vcc_lo, s51, v1, vcc_lo
	global_store_b64 v[0:1], v[9:10], off
.LBB26_28:
	s_or_b32 exec_lo, exec_lo, s4
	v_cmp_gt_i32_e32 vcc_lo, s26, v177
	s_and_b32 exec_lo, exec_lo, vcc_lo
	s_cbranch_execz .LBB26_13
; %bb.29:
	v_cmp_ne_u32_e32 vcc_lo, 1, v12
	v_mov_b32_e32 v2, 1.0
	s_cbranch_vccnz .LBB26_31
; %bb.30:
	v_div_scale_f32 v0, null, v7, v7, 1.0
	s_delay_alu instid0(VALU_DEP_1) | instskip(SKIP_2) | instid1(VALU_DEP_1)
	v_rcp_f32_e32 v1, v0
	s_waitcnt_depctr 0xfff
	v_fma_f32 v2, -v0, v1, 1.0
	v_fmac_f32_e32 v1, v2, v1
	v_div_scale_f32 v2, vcc_lo, 1.0, v7, 1.0
	s_delay_alu instid0(VALU_DEP_1) | instskip(NEXT) | instid1(VALU_DEP_1)
	v_mul_f32_e32 v4, v2, v1
	v_fma_f32 v5, -v0, v4, v2
	s_delay_alu instid0(VALU_DEP_1) | instskip(NEXT) | instid1(VALU_DEP_1)
	v_fmac_f32_e32 v4, v5, v1
	v_fma_f32 v0, -v0, v4, v2
	s_delay_alu instid0(VALU_DEP_1) | instskip(NEXT) | instid1(VALU_DEP_1)
	v_div_fmas_f32 v0, v0, v1, v4
	v_div_fixup_f32 v2, v0, v7, 1.0
.LBB26_31:
	v_dual_mov_b32 v9, 0 :: v_dual_add_nc_u32 v0, s2, v176
	v_cvt_f32_f16_e32 v8, v30
	v_lshrrev_b32_e32 v7, 16, v30
	v_lshrrev_b32_e32 v10, 16, v28
	s_delay_alu instid0(VALU_DEP_4)
	v_mad_u64_u32 v[4:5], null, v0, s27, s[0:1]
	v_lshrrev_b32_e32 v5, 16, v31
	v_lshrrev_b32_e32 v12, 16, v29
	v_cvt_f32_f16_e32 v6, v31
	v_cvt_f32_f16_e32 v13, v29
	v_cvt_f32_f16_e32 v15, v7
	v_cvt_f32_f16_e32 v5, v5
	v_mad_u64_u32 v[0:1], null, s1, v4, s[14:15]
	v_cvt_f32_f16_e32 v1, v28
	v_mul_f32_e32 v4, v2, v8
	v_cvt_f32_f16_e32 v10, v10
	v_mul_f32_e32 v6, v2, v6
	v_mul_f32_e32 v7, v2, v5
	;; [unrolled: 1-line block ×3, first 2 shown]
	v_lshl_add_u32 v8, v0, 8, v179
	v_cvt_f32_f16_e32 v1, v12
	v_mul_f32_e32 v12, v2, v13
	v_mul_f32_e32 v5, v2, v15
	v_mul_f32_e32 v15, v2, v10
	v_lshlrev_b64 v[16:17], 2, v[8:9]
	v_dual_mul_f32 v13, v2, v1 :: v_dual_add_nc_u32 v8, 0x80, v8
	s_delay_alu instid0(VALU_DEP_1) | instskip(NEXT) | instid1(VALU_DEP_3)
	v_lshlrev_b64 v[1:2], 2, v[8:9]
	v_add_co_u32 v8, vcc_lo, s48, v16
	s_delay_alu instid0(VALU_DEP_4) | instskip(NEXT) | instid1(VALU_DEP_3)
	v_add_co_ci_u32_e32 v9, vcc_lo, s49, v17, vcc_lo
	v_add_co_u32 v1, vcc_lo, s48, v1
	s_delay_alu instid0(VALU_DEP_4)
	v_add_co_ci_u32_e32 v2, vcc_lo, s49, v2, vcc_lo
	s_clause 0x1
	global_store_b128 v[8:9], v[4:7], off
	global_store_b128 v[1:2], v[12:15], off
	s_and_b32 exec_lo, exec_lo, s3
	s_cbranch_execz .LBB26_13
; %bb.32:
	v_ashrrev_i32_e32 v1, 31, v0
	v_mov_b32_e32 v10, v3
	s_delay_alu instid0(VALU_DEP_2) | instskip(NEXT) | instid1(VALU_DEP_1)
	v_lshlrev_b64 v[0:1], 3, v[0:1]
	v_add_co_u32 v0, vcc_lo, s50, v0
	s_delay_alu instid0(VALU_DEP_2)
	v_add_co_ci_u32_e32 v1, vcc_lo, s51, v1, vcc_lo
	global_store_b64 v[0:1], v[10:11], off
	s_nop 0
	s_sendmsg sendmsg(MSG_DEALLOC_VGPRS)
	s_endpgm
	.section	.rodata,"a",@progbits
	.p2align	6, 0x0
	.amdhsa_kernel _ZL15flash_attn_tileILi256ELi256ELi16ELi2ELb0EEvPKcS1_S1_S1_S1_PKiPfP15HIP_vector_typeIfLj2EEffffjfiS5_IjLj3EEiiiiiiiiiiiliiliiiiil
		.amdhsa_group_segment_fixed_size 37888
		.amdhsa_private_segment_fixed_size 0
		.amdhsa_kernarg_size 464
		.amdhsa_user_sgpr_count 13
		.amdhsa_user_sgpr_dispatch_ptr 0
		.amdhsa_user_sgpr_queue_ptr 0
		.amdhsa_user_sgpr_kernarg_segment_ptr 1
		.amdhsa_user_sgpr_dispatch_id 0
		.amdhsa_user_sgpr_private_segment_size 0
		.amdhsa_wavefront_size32 1
		.amdhsa_uses_dynamic_stack 0
		.amdhsa_enable_private_segment 0
		.amdhsa_system_sgpr_workgroup_id_x 1
		.amdhsa_system_sgpr_workgroup_id_y 1
		.amdhsa_system_sgpr_workgroup_id_z 1
		.amdhsa_system_sgpr_workgroup_info 0
		.amdhsa_system_vgpr_workitem_id 1
		.amdhsa_next_free_vgpr 238
		.amdhsa_next_free_sgpr 52
		.amdhsa_reserve_vcc 1
		.amdhsa_float_round_mode_32 0
		.amdhsa_float_round_mode_16_64 0
		.amdhsa_float_denorm_mode_32 3
		.amdhsa_float_denorm_mode_16_64 3
		.amdhsa_dx10_clamp 1
		.amdhsa_ieee_mode 1
		.amdhsa_fp16_overflow 0
		.amdhsa_workgroup_processor_mode 1
		.amdhsa_memory_ordered 1
		.amdhsa_forward_progress 0
		.amdhsa_shared_vgpr_count 0
		.amdhsa_exception_fp_ieee_invalid_op 0
		.amdhsa_exception_fp_denorm_src 0
		.amdhsa_exception_fp_ieee_div_zero 0
		.amdhsa_exception_fp_ieee_overflow 0
		.amdhsa_exception_fp_ieee_underflow 0
		.amdhsa_exception_fp_ieee_inexact 0
		.amdhsa_exception_int_div_zero 0
	.end_amdhsa_kernel
	.section	.text._ZL15flash_attn_tileILi256ELi256ELi16ELi2ELb0EEvPKcS1_S1_S1_S1_PKiPfP15HIP_vector_typeIfLj2EEffffjfiS5_IjLj3EEiiiiiiiiiiiliiliiiiil,"axG",@progbits,_ZL15flash_attn_tileILi256ELi256ELi16ELi2ELb0EEvPKcS1_S1_S1_S1_PKiPfP15HIP_vector_typeIfLj2EEffffjfiS5_IjLj3EEiiiiiiiiiiiliiliiiiil,comdat
.Lfunc_end26:
	.size	_ZL15flash_attn_tileILi256ELi256ELi16ELi2ELb0EEvPKcS1_S1_S1_S1_PKiPfP15HIP_vector_typeIfLj2EEffffjfiS5_IjLj3EEiiiiiiiiiiiliiliiiiil, .Lfunc_end26-_ZL15flash_attn_tileILi256ELi256ELi16ELi2ELb0EEvPKcS1_S1_S1_S1_PKiPfP15HIP_vector_typeIfLj2EEffffjfiS5_IjLj3EEiiiiiiiiiiiliiliiiiil
                                        ; -- End function
	.section	.AMDGPU.csdata,"",@progbits
; Kernel info:
; codeLenInByte = 40508
; NumSgprs: 54
; NumVgprs: 238
; ScratchSize: 0
; MemoryBound: 0
; FloatMode: 240
; IeeeMode: 1
; LDSByteSize: 37888 bytes/workgroup (compile time only)
; SGPRBlocks: 6
; VGPRBlocks: 29
; NumSGPRsForWavesPerEU: 54
; NumVGPRsForWavesPerEU: 238
; Occupancy: 6
; WaveLimiterHint : 1
; COMPUTE_PGM_RSRC2:SCRATCH_EN: 0
; COMPUTE_PGM_RSRC2:USER_SGPR: 13
; COMPUTE_PGM_RSRC2:TRAP_HANDLER: 0
; COMPUTE_PGM_RSRC2:TGID_X_EN: 1
; COMPUTE_PGM_RSRC2:TGID_Y_EN: 1
; COMPUTE_PGM_RSRC2:TGID_Z_EN: 1
; COMPUTE_PGM_RSRC2:TIDIG_COMP_CNT: 1
	.section	.text._ZL25flash_attn_mask_to_KV_maxILi16EEvPK7__half2Piiii,"axG",@progbits,_ZL25flash_attn_mask_to_KV_maxILi16EEvPK7__half2Piiii,comdat
	.globl	_ZL25flash_attn_mask_to_KV_maxILi16EEvPK7__half2Piiii ; -- Begin function _ZL25flash_attn_mask_to_KV_maxILi16EEvPK7__half2Piiii
	.p2align	8
	.type	_ZL25flash_attn_mask_to_KV_maxILi16EEvPK7__half2Piiii,@function
_ZL25flash_attn_mask_to_KV_maxILi16EEvPK7__half2Piiii: ; @_ZL25flash_attn_mask_to_KV_maxILi16EEvPK7__half2Piiii
; %bb.0:
	s_load_b128 s[4:7], s[0:1], 0x0
	s_mov_b32 s2, exec_lo
	v_cmpx_gt_u32_e32 32, v0
	s_cbranch_execz .LBB27_2
; %bb.1:
	v_dual_mov_b32 v2, 1 :: v_dual_lshlrev_b32 v1, 2, v0
	ds_store_b32 v1, v2
.LBB27_2:
	s_or_b32 exec_lo, exec_lo, s2
	s_clause 0x1
	s_load_b128 s[8:11], s[0:1], 0x10
	s_load_b32 s1, s[0:1], 0x20
	v_dual_mov_b32 v2, 0 :: v_dual_and_b32 v1, 31, v0
	v_lshrrev_b32_e32 v5, 3, v0
	s_waitcnt lgkmcnt(0)
	s_barrier
	s_delay_alu instid0(VALU_DEP_2) | instskip(SKIP_4) | instid1(SALU_CYCLE_1)
	v_lshlrev_b32_e32 v6, 2, v1
	buffer_gl0_inv
	s_mul_i32 s0, s14, s9
	s_mul_i32 s2, s15, s10
	s_lshl_b32 s0, s0, 4
	s_add_i32 s2, s2, s0
	v_cmp_eq_u32_e64 s0, 0, v1
	s_ashr_i32 s3, s2, 31
	s_delay_alu instid0(SALU_CYCLE_1) | instskip(NEXT) | instid1(SALU_CYCLE_1)
	s_lshl_b64 s[10:11], s[2:3], 2
	s_add_u32 s3, s4, s10
	s_addc_u32 s4, s5, s11
	s_lshl_b32 s5, s8, 8
	s_branch .LBB27_4
.LBB27_3:                               ;   in Loop: Header=BB27_4 Depth=1
	s_or_b32 exec_lo, exec_lo, s10
	s_waitcnt lgkmcnt(0)
	s_barrier
	buffer_gl0_inv
	ds_load_b32 v1, v6
	s_waitcnt lgkmcnt(0)
	s_barrier
	buffer_gl0_inv
	;;#ASMSTART
	;;#ASMEND
	v_cmp_ne_u32_e32 vcc_lo, 0, v1
	s_cmp_lg_u32 vcc_lo, exec_lo
	s_cselect_b32 s8, -1, 0
	s_delay_alu instid0(SALU_CYCLE_1)
	s_and_b32 vcc_lo, exec_lo, s8
	s_cbranch_vccnz .LBB27_68
.LBB27_4:                               ; =>This Inner Loop Header: Depth=1
	s_mov_b32 s2, s5
	s_addk_i32 s5, 0xff00
	s_delay_alu instid0(SALU_CYCLE_1)
	s_cmp_lt_i32 s5, 0
	s_cbranch_scc1 .LBB27_67
; %bb.5:                                ;   in Loop: Header=BB27_4 Depth=1
	s_lshr_b32 s8, s5, 1
	s_mov_b32 s10, 0
	v_add_nc_u32_e32 v1, s8, v0
	s_delay_alu instid0(VALU_DEP_1) | instskip(NEXT) | instid1(VALU_DEP_1)
	v_lshlrev_b64 v[3:4], 2, v[1:2]
	v_add_co_u32 v3, vcc_lo, s3, v3
	s_delay_alu instid0(VALU_DEP_2) | instskip(SKIP_4) | instid1(VALU_DEP_2)
	v_add_co_ci_u32_e32 v4, vcc_lo, s4, v4, vcc_lo
	global_load_b32 v3, v[3:4], off
	s_waitcnt vmcnt(0)
	v_lshrrev_b32_e32 v4, 16, v3
	v_cmp_class_f16_e64 s8, v3, 0x204
	v_and_b32_e32 v4, 0x7fff, v4
	s_delay_alu instid0(VALU_DEP_1) | instskip(NEXT) | instid1(VALU_DEP_3)
	v_cmp_eq_f16_e32 vcc_lo, 0x7c00, v4
	s_and_b32 s11, s8, vcc_lo
	s_delay_alu instid0(SALU_CYCLE_1)
	s_and_saveexec_b32 s8, s11
	s_cbranch_execz .LBB27_65
; %bb.6:                                ;   in Loop: Header=BB27_4 Depth=1
	v_add_nc_u32_e32 v3, s9, v1
	s_mov_b32 s11, 0
	s_delay_alu instid0(VALU_DEP_1) | instskip(NEXT) | instid1(VALU_DEP_1)
	v_ashrrev_i32_e32 v4, 31, v3
	v_lshlrev_b64 v[7:8], 2, v[3:4]
	s_delay_alu instid0(VALU_DEP_1) | instskip(NEXT) | instid1(VALU_DEP_2)
	v_add_co_u32 v7, vcc_lo, s3, v7
	v_add_co_ci_u32_e32 v8, vcc_lo, s4, v8, vcc_lo
	global_load_b32 v1, v[7:8], off
	s_waitcnt vmcnt(0)
	v_cmp_class_f16_e64 s12, v1, 0x204
	s_delay_alu instid0(VALU_DEP_1)
	s_and_saveexec_b32 s10, s12
	s_cbranch_execz .LBB27_64
; %bb.7:                                ;   in Loop: Header=BB27_4 Depth=1
	v_lshrrev_b32_e32 v1, 16, v1
	s_mov_b32 s12, 0
	s_delay_alu instid0(VALU_DEP_1) | instskip(NEXT) | instid1(VALU_DEP_1)
	v_cmp_class_f16_e64 s13, v1, 0x204
	s_and_saveexec_b32 s11, s13
	s_cbranch_execz .LBB27_63
; %bb.8:                                ;   in Loop: Header=BB27_4 Depth=1
	v_add_nc_u32_e32 v3, s9, v3
	s_mov_b32 s13, 0
	s_delay_alu instid0(VALU_DEP_1) | instskip(NEXT) | instid1(VALU_DEP_1)
	v_ashrrev_i32_e32 v4, 31, v3
	v_lshlrev_b64 v[7:8], 2, v[3:4]
	s_delay_alu instid0(VALU_DEP_1) | instskip(NEXT) | instid1(VALU_DEP_2)
	v_add_co_u32 v7, vcc_lo, s3, v7
	v_add_co_ci_u32_e32 v8, vcc_lo, s4, v8, vcc_lo
	global_load_b32 v1, v[7:8], off
	s_waitcnt vmcnt(0)
	v_cmp_class_f16_e64 s16, v1, 0x204
	s_delay_alu instid0(VALU_DEP_1)
	s_and_saveexec_b32 s12, s16
	s_cbranch_execz .LBB27_62
; %bb.9:                                ;   in Loop: Header=BB27_4 Depth=1
	v_lshrrev_b32_e32 v1, 16, v1
	s_mov_b32 s16, 0
	s_delay_alu instid0(VALU_DEP_1) | instskip(NEXT) | instid1(VALU_DEP_1)
	v_cmp_class_f16_e64 s17, v1, 0x204
	s_and_saveexec_b32 s13, s17
	s_cbranch_execz .LBB27_61
; %bb.10:                               ;   in Loop: Header=BB27_4 Depth=1
	v_add_nc_u32_e32 v3, s9, v3
	s_mov_b32 s17, 0
	s_delay_alu instid0(VALU_DEP_1) | instskip(NEXT) | instid1(VALU_DEP_1)
	v_ashrrev_i32_e32 v4, 31, v3
	v_lshlrev_b64 v[7:8], 2, v[3:4]
	s_delay_alu instid0(VALU_DEP_1) | instskip(NEXT) | instid1(VALU_DEP_2)
	v_add_co_u32 v7, vcc_lo, s3, v7
	v_add_co_ci_u32_e32 v8, vcc_lo, s4, v8, vcc_lo
	global_load_b32 v1, v[7:8], off
	s_waitcnt vmcnt(0)
	v_cmp_class_f16_e64 s18, v1, 0x204
	s_delay_alu instid0(VALU_DEP_1)
	s_and_saveexec_b32 s16, s18
	s_cbranch_execz .LBB27_60
; %bb.11:                               ;   in Loop: Header=BB27_4 Depth=1
	v_lshrrev_b32_e32 v1, 16, v1
	s_mov_b32 s18, 0
	s_delay_alu instid0(VALU_DEP_1) | instskip(NEXT) | instid1(VALU_DEP_1)
	v_cmp_class_f16_e64 s19, v1, 0x204
	s_and_saveexec_b32 s17, s19
	s_cbranch_execz .LBB27_59
; %bb.12:                               ;   in Loop: Header=BB27_4 Depth=1
	v_add_nc_u32_e32 v3, s9, v3
	s_mov_b32 s19, 0
	s_delay_alu instid0(VALU_DEP_1) | instskip(NEXT) | instid1(VALU_DEP_1)
	v_ashrrev_i32_e32 v4, 31, v3
	v_lshlrev_b64 v[7:8], 2, v[3:4]
	s_delay_alu instid0(VALU_DEP_1) | instskip(NEXT) | instid1(VALU_DEP_2)
	v_add_co_u32 v7, vcc_lo, s3, v7
	v_add_co_ci_u32_e32 v8, vcc_lo, s4, v8, vcc_lo
	global_load_b32 v1, v[7:8], off
	s_waitcnt vmcnt(0)
	v_cmp_class_f16_e64 s20, v1, 0x204
	s_delay_alu instid0(VALU_DEP_1)
	s_and_saveexec_b32 s18, s20
	s_cbranch_execz .LBB27_58
; %bb.13:                               ;   in Loop: Header=BB27_4 Depth=1
	;; [unrolled: 22-line block ×12, first 2 shown]
	v_lshrrev_b32_e32 v1, 16, v1
	s_mov_b32 s41, 0
	s_delay_alu instid0(VALU_DEP_1) | instskip(NEXT) | instid1(VALU_DEP_1)
	v_cmp_class_f16_e64 s42, v1, 0x204
	s_and_saveexec_b32 s40, s42
	s_cbranch_execz .LBB27_37
; %bb.34:                               ;   in Loop: Header=BB27_4 Depth=1
	v_add_nc_u32_e32 v3, s9, v3
	s_delay_alu instid0(VALU_DEP_1) | instskip(NEXT) | instid1(VALU_DEP_1)
	v_ashrrev_i32_e32 v4, 31, v3
	v_lshlrev_b64 v[3:4], 2, v[3:4]
	s_delay_alu instid0(VALU_DEP_1) | instskip(NEXT) | instid1(VALU_DEP_2)
	v_add_co_u32 v3, vcc_lo, s3, v3
	v_add_co_ci_u32_e32 v4, vcc_lo, s4, v4, vcc_lo
	global_load_b32 v1, v[3:4], off
	s_waitcnt vmcnt(0)
	v_cmp_class_f16_e64 s43, v1, 0x204
	s_delay_alu instid0(VALU_DEP_1)
	s_and_saveexec_b32 s42, s43
; %bb.35:                               ;   in Loop: Header=BB27_4 Depth=1
	v_lshrrev_b32_e32 v1, 16, v1
	s_delay_alu instid0(VALU_DEP_1) | instskip(NEXT) | instid1(VALU_DEP_1)
	v_cmp_class_f16_e64 s41, v1, 0x204
	s_and_b32 s41, s41, exec_lo
; %bb.36:                               ;   in Loop: Header=BB27_4 Depth=1
	s_or_b32 exec_lo, exec_lo, s42
	s_delay_alu instid0(SALU_CYCLE_1)
	s_and_b32 s41, s41, exec_lo
.LBB27_37:                              ;   in Loop: Header=BB27_4 Depth=1
	s_or_b32 exec_lo, exec_lo, s40
	s_delay_alu instid0(SALU_CYCLE_1)
	s_and_b32 s40, s41, exec_lo
.LBB27_38:                              ;   in Loop: Header=BB27_4 Depth=1
	s_or_b32 exec_lo, exec_lo, s39
	s_delay_alu instid0(SALU_CYCLE_1)
	s_and_b32 s39, s40, exec_lo
.LBB27_39:                              ;   in Loop: Header=BB27_4 Depth=1
	s_or_b32 exec_lo, exec_lo, s38
	s_delay_alu instid0(SALU_CYCLE_1)
	s_and_b32 s38, s39, exec_lo
.LBB27_40:                              ;   in Loop: Header=BB27_4 Depth=1
	s_or_b32 exec_lo, exec_lo, s37
	s_delay_alu instid0(SALU_CYCLE_1)
	s_and_b32 s37, s38, exec_lo
.LBB27_41:                              ;   in Loop: Header=BB27_4 Depth=1
	s_or_b32 exec_lo, exec_lo, s36
	s_delay_alu instid0(SALU_CYCLE_1)
	s_and_b32 s36, s37, exec_lo
.LBB27_42:                              ;   in Loop: Header=BB27_4 Depth=1
	s_or_b32 exec_lo, exec_lo, s35
	s_delay_alu instid0(SALU_CYCLE_1)
	s_and_b32 s35, s36, exec_lo
.LBB27_43:                              ;   in Loop: Header=BB27_4 Depth=1
	s_or_b32 exec_lo, exec_lo, s34
	s_delay_alu instid0(SALU_CYCLE_1)
	s_and_b32 s34, s35, exec_lo
.LBB27_44:                              ;   in Loop: Header=BB27_4 Depth=1
	s_or_b32 exec_lo, exec_lo, s33
	s_delay_alu instid0(SALU_CYCLE_1)
	s_and_b32 s33, s34, exec_lo
.LBB27_45:                              ;   in Loop: Header=BB27_4 Depth=1
	s_or_b32 exec_lo, exec_lo, s31
	s_delay_alu instid0(SALU_CYCLE_1)
	s_and_b32 s31, s33, exec_lo
.LBB27_46:                              ;   in Loop: Header=BB27_4 Depth=1
	s_or_b32 exec_lo, exec_lo, s30
	s_delay_alu instid0(SALU_CYCLE_1)
	s_and_b32 s30, s31, exec_lo
.LBB27_47:                              ;   in Loop: Header=BB27_4 Depth=1
	s_or_b32 exec_lo, exec_lo, s29
	s_delay_alu instid0(SALU_CYCLE_1)
	s_and_b32 s29, s30, exec_lo
.LBB27_48:                              ;   in Loop: Header=BB27_4 Depth=1
	s_or_b32 exec_lo, exec_lo, s28
	s_delay_alu instid0(SALU_CYCLE_1)
	s_and_b32 s28, s29, exec_lo
.LBB27_49:                              ;   in Loop: Header=BB27_4 Depth=1
	s_or_b32 exec_lo, exec_lo, s27
	s_delay_alu instid0(SALU_CYCLE_1)
	s_and_b32 s27, s28, exec_lo
.LBB27_50:                              ;   in Loop: Header=BB27_4 Depth=1
	s_or_b32 exec_lo, exec_lo, s26
	s_delay_alu instid0(SALU_CYCLE_1)
	s_and_b32 s26, s27, exec_lo
.LBB27_51:                              ;   in Loop: Header=BB27_4 Depth=1
	s_or_b32 exec_lo, exec_lo, s25
	s_delay_alu instid0(SALU_CYCLE_1)
	s_and_b32 s25, s26, exec_lo
.LBB27_52:                              ;   in Loop: Header=BB27_4 Depth=1
	s_or_b32 exec_lo, exec_lo, s24
	s_delay_alu instid0(SALU_CYCLE_1)
	s_and_b32 s24, s25, exec_lo
.LBB27_53:                              ;   in Loop: Header=BB27_4 Depth=1
	s_or_b32 exec_lo, exec_lo, s23
	s_delay_alu instid0(SALU_CYCLE_1)
	s_and_b32 s23, s24, exec_lo
.LBB27_54:                              ;   in Loop: Header=BB27_4 Depth=1
	s_or_b32 exec_lo, exec_lo, s22
	s_delay_alu instid0(SALU_CYCLE_1)
	s_and_b32 s22, s23, exec_lo
.LBB27_55:                              ;   in Loop: Header=BB27_4 Depth=1
	s_or_b32 exec_lo, exec_lo, s21
	s_delay_alu instid0(SALU_CYCLE_1)
	s_and_b32 s21, s22, exec_lo
.LBB27_56:                              ;   in Loop: Header=BB27_4 Depth=1
	s_or_b32 exec_lo, exec_lo, s20
	s_delay_alu instid0(SALU_CYCLE_1)
	s_and_b32 s20, s21, exec_lo
.LBB27_57:                              ;   in Loop: Header=BB27_4 Depth=1
	s_or_b32 exec_lo, exec_lo, s19
	s_delay_alu instid0(SALU_CYCLE_1)
	s_and_b32 s19, s20, exec_lo
.LBB27_58:                              ;   in Loop: Header=BB27_4 Depth=1
	s_or_b32 exec_lo, exec_lo, s18
	s_delay_alu instid0(SALU_CYCLE_1)
	s_and_b32 s18, s19, exec_lo
.LBB27_59:                              ;   in Loop: Header=BB27_4 Depth=1
	s_or_b32 exec_lo, exec_lo, s17
	s_delay_alu instid0(SALU_CYCLE_1)
	s_and_b32 s17, s18, exec_lo
.LBB27_60:                              ;   in Loop: Header=BB27_4 Depth=1
	s_or_b32 exec_lo, exec_lo, s16
	s_delay_alu instid0(SALU_CYCLE_1)
	s_and_b32 s16, s17, exec_lo
.LBB27_61:                              ;   in Loop: Header=BB27_4 Depth=1
	s_or_b32 exec_lo, exec_lo, s13
	s_delay_alu instid0(SALU_CYCLE_1)
	s_and_b32 s13, s16, exec_lo
.LBB27_62:                              ;   in Loop: Header=BB27_4 Depth=1
	s_or_b32 exec_lo, exec_lo, s12
	s_delay_alu instid0(SALU_CYCLE_1)
	s_and_b32 s12, s13, exec_lo
.LBB27_63:                              ;   in Loop: Header=BB27_4 Depth=1
	s_or_b32 exec_lo, exec_lo, s11
	s_delay_alu instid0(SALU_CYCLE_1)
	s_and_b32 s11, s12, exec_lo
.LBB27_64:                              ;   in Loop: Header=BB27_4 Depth=1
	s_or_b32 exec_lo, exec_lo, s10
	s_delay_alu instid0(SALU_CYCLE_1)
	s_and_b32 s10, s11, exec_lo
.LBB27_65:                              ;   in Loop: Header=BB27_4 Depth=1
	s_or_b32 exec_lo, exec_lo, s8
	v_cndmask_b32_e64 v1, 0, 1, s10
	;;#ASMSTART
	;;#ASMEND
	s_delay_alu instid0(VALU_DEP_1)
	v_cmp_ne_u32_e32 vcc_lo, 0, v1
	s_mov_b32 s8, exec_lo
	s_and_saveexec_b32 s10, s0
	s_cbranch_execz .LBB27_3
; %bb.66:                               ;   in Loop: Header=BB27_4 Depth=1
	s_cmp_eq_u32 vcc_lo, s8
	s_cselect_b32 s8, -1, 0
	s_delay_alu instid0(SALU_CYCLE_1)
	v_cndmask_b32_e64 v1, 0, 1, s8
	ds_store_b32 v5, v1
	s_branch .LBB27_3
.LBB27_67:                              ;   in Loop: Header=BB27_4 Depth=1
                                        ; implicit-def: $sgpr5
	s_cbranch_execz .LBB27_4
.LBB27_68:
	s_mov_b32 s0, exec_lo
	v_cmpx_eq_u32_e32 0, v0
	s_cbranch_execz .LBB27_70
; %bb.69:
	s_mul_i32 s0, s1, s15
	v_dual_mov_b32 v0, 0 :: v_dual_mov_b32 v1, s2
	s_add_i32 s0, s0, s14
	s_delay_alu instid0(SALU_CYCLE_1) | instskip(NEXT) | instid1(SALU_CYCLE_1)
	s_ashr_i32 s1, s0, 31
	s_lshl_b64 s[0:1], s[0:1], 2
	s_delay_alu instid0(SALU_CYCLE_1)
	s_add_u32 s0, s6, s0
	s_addc_u32 s1, s7, s1
	global_store_b32 v0, v1, s[0:1]
.LBB27_70:
	s_nop 0
	s_sendmsg sendmsg(MSG_DEALLOC_VGPRS)
	s_endpgm
	.section	.rodata,"a",@progbits
	.p2align	6, 0x0
	.amdhsa_kernel _ZL25flash_attn_mask_to_KV_maxILi16EEvPK7__half2Piiii
		.amdhsa_group_segment_fixed_size 128
		.amdhsa_private_segment_fixed_size 0
		.amdhsa_kernarg_size 288
		.amdhsa_user_sgpr_count 14
		.amdhsa_user_sgpr_dispatch_ptr 0
		.amdhsa_user_sgpr_queue_ptr 0
		.amdhsa_user_sgpr_kernarg_segment_ptr 1
		.amdhsa_user_sgpr_dispatch_id 0
		.amdhsa_user_sgpr_private_segment_size 0
		.amdhsa_wavefront_size32 1
		.amdhsa_uses_dynamic_stack 0
		.amdhsa_enable_private_segment 0
		.amdhsa_system_sgpr_workgroup_id_x 1
		.amdhsa_system_sgpr_workgroup_id_y 1
		.amdhsa_system_sgpr_workgroup_id_z 0
		.amdhsa_system_sgpr_workgroup_info 0
		.amdhsa_system_vgpr_workitem_id 0
		.amdhsa_next_free_vgpr 9
		.amdhsa_next_free_sgpr 44
		.amdhsa_reserve_vcc 1
		.amdhsa_float_round_mode_32 0
		.amdhsa_float_round_mode_16_64 0
		.amdhsa_float_denorm_mode_32 3
		.amdhsa_float_denorm_mode_16_64 3
		.amdhsa_dx10_clamp 1
		.amdhsa_ieee_mode 1
		.amdhsa_fp16_overflow 0
		.amdhsa_workgroup_processor_mode 1
		.amdhsa_memory_ordered 1
		.amdhsa_forward_progress 0
		.amdhsa_shared_vgpr_count 0
		.amdhsa_exception_fp_ieee_invalid_op 0
		.amdhsa_exception_fp_denorm_src 0
		.amdhsa_exception_fp_ieee_div_zero 0
		.amdhsa_exception_fp_ieee_overflow 0
		.amdhsa_exception_fp_ieee_underflow 0
		.amdhsa_exception_fp_ieee_inexact 0
		.amdhsa_exception_int_div_zero 0
	.end_amdhsa_kernel
	.section	.text._ZL25flash_attn_mask_to_KV_maxILi16EEvPK7__half2Piiii,"axG",@progbits,_ZL25flash_attn_mask_to_KV_maxILi16EEvPK7__half2Piiii,comdat
.Lfunc_end27:
	.size	_ZL25flash_attn_mask_to_KV_maxILi16EEvPK7__half2Piiii, .Lfunc_end27-_ZL25flash_attn_mask_to_KV_maxILi16EEvPK7__half2Piiii
                                        ; -- End function
	.section	.AMDGPU.csdata,"",@progbits
; Kernel info:
; codeLenInByte = 2432
; NumSgprs: 46
; NumVgprs: 9
; ScratchSize: 0
; MemoryBound: 0
; FloatMode: 240
; IeeeMode: 1
; LDSByteSize: 128 bytes/workgroup (compile time only)
; SGPRBlocks: 5
; VGPRBlocks: 1
; NumSGPRsForWavesPerEU: 46
; NumVGPRsForWavesPerEU: 9
; Occupancy: 16
; WaveLimiterHint : 0
; COMPUTE_PGM_RSRC2:SCRATCH_EN: 0
; COMPUTE_PGM_RSRC2:USER_SGPR: 14
; COMPUTE_PGM_RSRC2:TRAP_HANDLER: 0
; COMPUTE_PGM_RSRC2:TGID_X_EN: 1
; COMPUTE_PGM_RSRC2:TGID_Y_EN: 1
; COMPUTE_PGM_RSRC2:TGID_Z_EN: 0
; COMPUTE_PGM_RSRC2:TIDIG_COMP_CNT: 0
	.section	.text._ZL33flash_attn_stream_k_fixup_uniformILi256ELi16ELi2EEvPfPK15HIP_vector_typeIfLj2EEiiiiiiS1_IjLj3EES5_S5_,"axG",@progbits,_ZL33flash_attn_stream_k_fixup_uniformILi256ELi16ELi2EEvPfPK15HIP_vector_typeIfLj2EEiiiiiiS1_IjLj3EES5_S5_,comdat
	.globl	_ZL33flash_attn_stream_k_fixup_uniformILi256ELi16ELi2EEvPfPK15HIP_vector_typeIfLj2EEiiiiiiS1_IjLj3EES5_S5_ ; -- Begin function _ZL33flash_attn_stream_k_fixup_uniformILi256ELi16ELi2EEvPfPK15HIP_vector_typeIfLj2EEiiiiiiS1_IjLj3EES5_S5_
	.p2align	8
	.type	_ZL33flash_attn_stream_k_fixup_uniformILi256ELi16ELi2EEvPfPK15HIP_vector_typeIfLj2EEiiiiiiS1_IjLj3EES5_S5_,@function
_ZL33flash_attn_stream_k_fixup_uniformILi256ELi16ELi2EEvPfPK15HIP_vector_typeIfLj2EEiiiiiiS1_IjLj3EES5_S5_: ; @_ZL33flash_attn_stream_k_fixup_uniformILi256ELi16ELi2EEvPfPK15HIP_vector_typeIfLj2EEiiiiiiS1_IjLj3EES5_S5_
; %bb.0:
	s_clause 0x1
	s_load_b256 s[4:11], s[0:1], 0x1c
	s_load_b128 s[16:19], s[0:1], 0x3c
	s_waitcnt lgkmcnt(0)
	s_mul_hi_u32 s2, s7, s13
	s_delay_alu instid0(SALU_CYCLE_1) | instskip(NEXT) | instid1(SALU_CYCLE_1)
	s_add_i32 s2, s13, s2
	s_lshr_b32 s2, s2, s8
	s_delay_alu instid0(SALU_CYCLE_1) | instskip(SKIP_2) | instid1(SALU_CYCLE_1)
	s_mul_i32 s3, s2, s9
	s_load_b64 s[8:9], s[0:1], 0x10
	s_sub_i32 s7, s13, s3
	s_mul_hi_u32 s3, s7, s10
	s_delay_alu instid0(SALU_CYCLE_1) | instskip(NEXT) | instid1(SALU_CYCLE_1)
	s_add_i32 s3, s7, s3
	s_lshr_b32 s3, s3, s11
	s_delay_alu instid0(SALU_CYCLE_1) | instskip(NEXT) | instid1(SALU_CYCLE_1)
	s_mul_i32 s10, s3, s16
	s_sub_i32 s7, s7, s10
	s_delay_alu instid0(SALU_CYCLE_1) | instskip(NEXT) | instid1(SALU_CYCLE_1)
	s_mul_hi_u32 s10, s7, s17
	s_add_i32 s10, s7, s10
	s_delay_alu instid0(SALU_CYCLE_1) | instskip(NEXT) | instid1(SALU_CYCLE_1)
	s_lshr_b32 s10, s10, s18
	s_mul_i32 s11, s10, s19
	s_lshl_b32 s10, s10, 1
	s_sub_i32 s7, s7, s11
	s_delay_alu instid0(SALU_CYCLE_1) | instskip(NEXT) | instid1(SALU_CYCLE_1)
	s_lshl_b32 s11, s7, 4
	s_add_i32 s11, s11, s14
	s_waitcnt lgkmcnt(0)
	s_cmp_lt_i32 s11, s8
	s_cselect_b32 s11, -1, 0
	s_add_i32 s12, s10, s15
	s_delay_alu instid0(SALU_CYCLE_1) | instskip(SKIP_1) | instid1(SALU_CYCLE_1)
	s_cmp_lt_i32 s12, s5
	s_cselect_b32 s12, -1, 0
	s_and_b32 s11, s11, s12
	s_delay_alu instid0(SALU_CYCLE_1)
	s_and_not1_b32 vcc_lo, exec_lo, s11
	s_cbranch_vccnz .LBB28_6
; %bb.1:
	s_mul_i32 s2, s2, s8
	s_mul_i32 s5, s3, s5
	s_add_i32 s2, s2, s14
	s_mul_i32 s7, s9, s7
	s_mul_i32 s2, s2, s9
	s_lshl_b32 s7, s7, 12
	s_add_i32 s8, s2, s15
	s_load_b128 s[0:3], s[0:1], 0x0
	s_add_i32 s5, s8, s5
	s_lshl_b32 s9, s14, 1
	s_add_i32 s5, s5, s10
	s_delay_alu instid0(SALU_CYCLE_1) | instskip(NEXT) | instid1(SALU_CYCLE_1)
	s_lshl_b32 s5, s5, 8
	s_add_i32 s7, s7, s5
	s_mul_i32 s5, s13, s6
	v_or_b32_e32 v1, s7, v0
	s_add_i32 s10, s5, s6
	s_delay_alu instid0(VALU_DEP_1) | instskip(NEXT) | instid1(VALU_DEP_1)
	v_ashrrev_i32_e32 v2, 31, v1
	v_lshlrev_b64 v[1:2], 2, v[1:2]
	s_waitcnt lgkmcnt(0)
	s_delay_alu instid0(VALU_DEP_1) | instskip(NEXT) | instid1(VALU_DEP_2)
	v_add_co_u32 v1, vcc_lo, s0, v1
	v_add_co_ci_u32_e32 v2, vcc_lo, s1, v2, vcc_lo
	s_add_i32 s0, s9, s15
	s_lshl_b32 s1, s10, 5
	s_delay_alu instid0(SALU_CYCLE_1) | instskip(SKIP_2) | instid1(SALU_CYCLE_1)
	s_add_i32 s0, s0, s1
	global_load_b32 v5, v[1:2], off
	s_sub_i32 s0, s0, 32
	s_ashr_i32 s1, s0, 31
	s_delay_alu instid0(SALU_CYCLE_1) | instskip(NEXT) | instid1(SALU_CYCLE_1)
	s_lshl_b64 s[0:1], s[0:1], 3
	s_add_u32 s0, s2, s0
	s_addc_u32 s1, s3, s1
	s_add_i32 s7, s10, -2
	s_load_b32 s11, s[0:1], 0x4
	s_cmp_lt_i32 s7, s5
	s_cbranch_scc1 .LBB28_4
; %bb.2:
	s_lshl_b32 s16, s4, 7
	s_load_b32 s12, s[0:1], 0x0
	s_ashr_i32 s17, s16, 31
	s_delay_alu instid0(SALU_CYCLE_1) | instskip(NEXT) | instid1(SALU_CYCLE_1)
	s_lshl_b64 s[0:1], s[16:17], 2
	s_add_u32 s7, s2, s0
	s_addc_u32 s8, s3, s1
	s_add_i32 s13, s13, 1
	s_lshl_b32 s0, s14, 9
	s_lshl_b32 s1, s15, 8
	s_mul_i32 s6, s6, s13
	s_add_i32 s0, s1, s0
	s_lshl_b32 s1, s6, 13
	s_delay_alu instid0(SALU_CYCLE_1)
	s_add_i32 s0, s0, s1
	s_lshl_b32 s1, s6, 5
	v_or_b32_e32 v0, s0, v0
	s_lshl_b32 s0, s4, 5
	s_add_i32 s1, s15, s1
	s_waitcnt lgkmcnt(0)
	v_mov_b32_e32 v6, s11
	s_add_i32 s0, s1, s0
	v_dual_mov_b32 v0, s12 :: v_dual_add_nc_u32 v3, 0xffffc000, v0
	s_add_i32 s0, s0, s9
	s_add_i32 s4, s10, -1
	s_sub_i32 s0, s0, 64
.LBB28_3:                               ; =>This Inner Loop Header: Depth=1
	s_delay_alu instid0(VALU_DEP_1) | instskip(SKIP_1) | instid1(SALU_CYCLE_1)
	v_ashrrev_i32_e32 v4, 31, v3
	s_ashr_i32 s1, s0, 31
	s_lshl_b64 s[10:11], s[0:1], 3
	s_delay_alu instid0(SALU_CYCLE_1) | instskip(NEXT) | instid1(VALU_DEP_1)
	s_add_u32 s10, s2, s10
	v_lshlrev_b64 v[7:8], 2, v[3:4]
	s_addc_u32 s11, s3, s11
	s_add_i32 s4, s4, -1
	s_sub_i32 s0, s0, 32
	s_cmp_le_i32 s4, s5
	s_load_b64 s[10:11], s[10:11], 0x0
	v_add_co_u32 v7, vcc_lo, s7, v7
	v_add_co_ci_u32_e32 v8, vcc_lo, s8, v8, vcc_lo
	global_load_b32 v4, v[7:8], off
	v_max_f32_e32 v7, v0, v0
	s_waitcnt lgkmcnt(0)
	v_max_f32_e64 v8, s10, s10
	s_delay_alu instid0(VALU_DEP_1) | instskip(NEXT) | instid1(VALU_DEP_1)
	v_max_f32_e32 v7, v7, v8
	v_sub_f32_e32 v8, s10, v7
	s_delay_alu instid0(VALU_DEP_1) | instskip(NEXT) | instid1(VALU_DEP_1)
	v_dual_sub_f32 v0, v0, v7 :: v_dual_mul_f32 v9, 0x3fb8aa3b, v8
	v_fma_f32 v10, 0x3fb8aa3b, v8, -v9
	v_rndne_f32_e32 v11, v9
	s_delay_alu instid0(VALU_DEP_3) | instskip(NEXT) | instid1(VALU_DEP_2)
	v_mul_f32_e32 v12, 0x3fb8aa3b, v0
	v_dual_fmac_f32 v10, 0x32a5705f, v8 :: v_dual_sub_f32 v9, v9, v11
	v_cvt_i32_f32_e32 v11, v11
	s_delay_alu instid0(VALU_DEP_3) | instskip(SKIP_1) | instid1(VALU_DEP_4)
	v_fma_f32 v13, 0x3fb8aa3b, v0, -v12
	v_rndne_f32_e32 v14, v12
	v_add_f32_e32 v9, v9, v10
	v_cmp_ngt_f32_e32 vcc_lo, 0xc2ce8ed0, v8
	s_delay_alu instid0(VALU_DEP_3) | instskip(NEXT) | instid1(VALU_DEP_3)
	v_sub_f32_e32 v10, v12, v14
	v_exp_f32_e32 v9, v9
	s_waitcnt_depctr 0xfff
	v_ldexp_f32 v9, v9, v11
	v_cvt_i32_f32_e32 v11, v14
	s_delay_alu instid0(VALU_DEP_2) | instskip(SKIP_1) | instid1(VALU_DEP_2)
	v_cndmask_b32_e32 v9, 0, v9, vcc_lo
	v_cmp_nlt_f32_e32 vcc_lo, 0x42b17218, v8
	v_cndmask_b32_e32 v9, 0x7f800000, v9, vcc_lo
	v_cmp_ngt_f32_e32 vcc_lo, 0xc2ce8ed0, v0
	v_fmac_f32_e32 v13, 0x32a5705f, v0
	s_delay_alu instid0(VALU_DEP_1) | instskip(NEXT) | instid1(VALU_DEP_1)
	v_add_f32_e32 v10, v10, v13
	v_exp_f32_e32 v10, v10
	s_waitcnt_depctr 0xfff
	v_ldexp_f32 v10, v10, v11
	s_delay_alu instid0(VALU_DEP_1)
	v_dual_mov_b32 v11, v6 :: v_dual_cndmask_b32 v10, 0, v10
	v_cmp_le_f32_e32 vcc_lo, 0xc1a00000, v8
	s_waitcnt vmcnt(1)
	v_dual_cndmask_b32 v8, 0, v9 :: v_dual_mov_b32 v9, v5
	v_cmp_nlt_f32_e32 vcc_lo, 0x42b17218, v0
	v_cndmask_b32_e32 v5, 0x7f800000, v10, vcc_lo
	s_delay_alu instid0(VALU_DEP_3) | instskip(SKIP_2) | instid1(VALU_DEP_3)
	v_mul_f32_e32 v10, s11, v8
	v_cmp_le_f32_e32 vcc_lo, 0xc1a00000, v0
	v_mov_b32_e32 v0, v7
	v_mov_b32_e32 v6, v10
	s_waitcnt vmcnt(0)
	v_dual_cndmask_b32 v12, 0, v5 :: v_dual_mul_f32 v5, v4, v8
	s_delay_alu instid0(VALU_DEP_1) | instskip(NEXT) | instid1(VALU_DEP_2)
	v_dual_fmac_f32 v6, v11, v12 :: v_dual_add_nc_u32 v3, 0xffffe000, v3
	v_fmac_f32_e32 v5, v9, v12
	s_cbranch_scc0 .LBB28_3
	s_branch .LBB28_5
.LBB28_4:
	s_waitcnt lgkmcnt(0)
	v_mov_b32_e32 v6, s11
.LBB28_5:
	s_waitcnt vmcnt(0)
	s_delay_alu instid0(VALU_DEP_1) | instskip(NEXT) | instid1(VALU_DEP_1)
	v_div_scale_f32 v0, null, v6, v6, v5
	v_rcp_f32_e32 v3, v0
	s_waitcnt_depctr 0xfff
	v_fma_f32 v4, -v0, v3, 1.0
	s_delay_alu instid0(VALU_DEP_1) | instskip(SKIP_1) | instid1(VALU_DEP_1)
	v_fmac_f32_e32 v3, v4, v3
	v_div_scale_f32 v4, vcc_lo, v5, v6, v5
	v_mul_f32_e32 v7, v4, v3
	s_delay_alu instid0(VALU_DEP_1) | instskip(NEXT) | instid1(VALU_DEP_1)
	v_fma_f32 v8, -v0, v7, v4
	v_fmac_f32_e32 v7, v8, v3
	s_delay_alu instid0(VALU_DEP_1) | instskip(NEXT) | instid1(VALU_DEP_1)
	v_fma_f32 v0, -v0, v7, v4
	v_div_fmas_f32 v0, v0, v3, v7
	s_delay_alu instid0(VALU_DEP_1)
	v_div_fixup_f32 v0, v0, v6, v5
	global_store_b32 v[1:2], v0, off
.LBB28_6:
	s_nop 0
	s_sendmsg sendmsg(MSG_DEALLOC_VGPRS)
	s_endpgm
	.section	.rodata,"a",@progbits
	.p2align	6, 0x0
	.amdhsa_kernel _ZL33flash_attn_stream_k_fixup_uniformILi256ELi16ELi2EEvPfPK15HIP_vector_typeIfLj2EEiiiiiiS1_IjLj3EES5_S5_
		.amdhsa_group_segment_fixed_size 0
		.amdhsa_private_segment_fixed_size 0
		.amdhsa_kernarg_size 76
		.amdhsa_user_sgpr_count 13
		.amdhsa_user_sgpr_dispatch_ptr 0
		.amdhsa_user_sgpr_queue_ptr 0
		.amdhsa_user_sgpr_kernarg_segment_ptr 1
		.amdhsa_user_sgpr_dispatch_id 0
		.amdhsa_user_sgpr_private_segment_size 0
		.amdhsa_wavefront_size32 1
		.amdhsa_uses_dynamic_stack 0
		.amdhsa_enable_private_segment 0
		.amdhsa_system_sgpr_workgroup_id_x 1
		.amdhsa_system_sgpr_workgroup_id_y 1
		.amdhsa_system_sgpr_workgroup_id_z 1
		.amdhsa_system_sgpr_workgroup_info 0
		.amdhsa_system_vgpr_workitem_id 0
		.amdhsa_next_free_vgpr 15
		.amdhsa_next_free_sgpr 20
		.amdhsa_reserve_vcc 1
		.amdhsa_float_round_mode_32 0
		.amdhsa_float_round_mode_16_64 0
		.amdhsa_float_denorm_mode_32 3
		.amdhsa_float_denorm_mode_16_64 3
		.amdhsa_dx10_clamp 1
		.amdhsa_ieee_mode 1
		.amdhsa_fp16_overflow 0
		.amdhsa_workgroup_processor_mode 1
		.amdhsa_memory_ordered 1
		.amdhsa_forward_progress 0
		.amdhsa_shared_vgpr_count 0
		.amdhsa_exception_fp_ieee_invalid_op 0
		.amdhsa_exception_fp_denorm_src 0
		.amdhsa_exception_fp_ieee_div_zero 0
		.amdhsa_exception_fp_ieee_overflow 0
		.amdhsa_exception_fp_ieee_underflow 0
		.amdhsa_exception_fp_ieee_inexact 0
		.amdhsa_exception_int_div_zero 0
	.end_amdhsa_kernel
	.section	.text._ZL33flash_attn_stream_k_fixup_uniformILi256ELi16ELi2EEvPfPK15HIP_vector_typeIfLj2EEiiiiiiS1_IjLj3EES5_S5_,"axG",@progbits,_ZL33flash_attn_stream_k_fixup_uniformILi256ELi16ELi2EEvPfPK15HIP_vector_typeIfLj2EEiiiiiiS1_IjLj3EES5_S5_,comdat
.Lfunc_end28:
	.size	_ZL33flash_attn_stream_k_fixup_uniformILi256ELi16ELi2EEvPfPK15HIP_vector_typeIfLj2EEiiiiiiS1_IjLj3EES5_S5_, .Lfunc_end28-_ZL33flash_attn_stream_k_fixup_uniformILi256ELi16ELi2EEvPfPK15HIP_vector_typeIfLj2EEiiiiiiS1_IjLj3EES5_S5_
                                        ; -- End function
	.section	.AMDGPU.csdata,"",@progbits
; Kernel info:
; codeLenInByte = 996
; NumSgprs: 22
; NumVgprs: 15
; ScratchSize: 0
; MemoryBound: 0
; FloatMode: 240
; IeeeMode: 1
; LDSByteSize: 0 bytes/workgroup (compile time only)
; SGPRBlocks: 2
; VGPRBlocks: 1
; NumSGPRsForWavesPerEU: 22
; NumVGPRsForWavesPerEU: 15
; Occupancy: 16
; WaveLimiterHint : 0
; COMPUTE_PGM_RSRC2:SCRATCH_EN: 0
; COMPUTE_PGM_RSRC2:USER_SGPR: 13
; COMPUTE_PGM_RSRC2:TRAP_HANDLER: 0
; COMPUTE_PGM_RSRC2:TGID_X_EN: 1
; COMPUTE_PGM_RSRC2:TGID_Y_EN: 1
; COMPUTE_PGM_RSRC2:TGID_Z_EN: 1
; COMPUTE_PGM_RSRC2:TIDIG_COMP_CNT: 0
	.section	.text._ZL33flash_attn_stream_k_fixup_generalILi256ELi16ELi2EEvPfPK15HIP_vector_typeIfLj2EEiiiiS1_IjLj3EES5_S5_S5_,"axG",@progbits,_ZL33flash_attn_stream_k_fixup_generalILi256ELi16ELi2EEvPfPK15HIP_vector_typeIfLj2EEiiiiS1_IjLj3EES5_S5_S5_,comdat
	.globl	_ZL33flash_attn_stream_k_fixup_generalILi256ELi16ELi2EEvPfPK15HIP_vector_typeIfLj2EEiiiiS1_IjLj3EES5_S5_S5_ ; -- Begin function _ZL33flash_attn_stream_k_fixup_generalILi256ELi16ELi2EEvPfPK15HIP_vector_typeIfLj2EEiiiiS1_IjLj3EES5_S5_S5_
	.p2align	8
	.type	_ZL33flash_attn_stream_k_fixup_generalILi256ELi16ELi2EEvPfPK15HIP_vector_typeIfLj2EEiiiiS1_IjLj3EES5_S5_S5_,@function
_ZL33flash_attn_stream_k_fixup_generalILi256ELi16ELi2EEvPfPK15HIP_vector_typeIfLj2EEiiiiS1_IjLj3EES5_S5_S5_: ; @_ZL33flash_attn_stream_k_fixup_generalILi256ELi16ELi2EEvPfPK15HIP_vector_typeIfLj2EEiiiiS1_IjLj3EES5_S5_S5_
; %bb.0:
	s_clause 0x1
	s_load_b128 s[4:7], s[0:1], 0x10
	s_load_b32 s20, s[0:1], 0x50
	s_mov_b32 s2, 0
	s_waitcnt lgkmcnt(0)
	s_mul_hi_i32 s3, s7, s13
	s_mul_i32 s12, s7, s13
	s_cmp_lg_u64 s[2:3], 0
	s_cbranch_scc0 .LBB29_21
; %bb.1:
	v_cvt_f32_ubyte0_e32 v1, 0
	v_cvt_f32_u32_e32 v2, s20
	s_sub_u32 s10, 0, s20
	s_subb_u32 s11, 0, 0
	s_delay_alu instid0(VALU_DEP_1) | instskip(NEXT) | instid1(VALU_DEP_1)
	v_fmamk_f32 v1, v1, 0x4f800000, v2
	v_rcp_f32_e32 v1, v1
	s_waitcnt_depctr 0xfff
	v_mul_f32_e32 v1, 0x5f7ffffc, v1
	s_delay_alu instid0(VALU_DEP_1) | instskip(NEXT) | instid1(VALU_DEP_1)
	v_mul_f32_e32 v2, 0x2f800000, v1
	v_trunc_f32_e32 v2, v2
	s_delay_alu instid0(VALU_DEP_1) | instskip(SKIP_1) | instid1(VALU_DEP_2)
	v_fmamk_f32 v1, v2, 0xcf800000, v1
	v_cvt_u32_f32_e32 v2, v2
	v_cvt_u32_f32_e32 v1, v1
	s_delay_alu instid0(VALU_DEP_2) | instskip(NEXT) | instid1(VALU_DEP_2)
	v_readfirstlane_b32 s8, v2
	v_readfirstlane_b32 s9, v1
	s_delay_alu instid0(VALU_DEP_2) | instskip(NEXT) | instid1(VALU_DEP_1)
	s_mul_i32 s16, s10, s8
	s_mul_hi_u32 s18, s10, s9
	s_mul_i32 s17, s11, s9
	s_add_i32 s16, s18, s16
	s_mul_i32 s19, s10, s9
	s_add_i32 s16, s16, s17
	s_mul_hi_u32 s18, s9, s19
	s_mul_hi_u32 s21, s8, s19
	s_mul_i32 s17, s8, s19
	s_mul_hi_u32 s19, s9, s16
	s_mul_i32 s9, s9, s16
	s_mul_hi_u32 s22, s8, s16
	s_add_u32 s9, s18, s9
	s_addc_u32 s18, 0, s19
	s_add_u32 s9, s9, s17
	s_mul_i32 s16, s8, s16
	s_addc_u32 s9, s18, s21
	s_addc_u32 s17, s22, 0
	s_add_u32 s9, s9, s16
	s_addc_u32 s16, 0, s17
	v_add_co_u32 v1, s9, v1, s9
	s_delay_alu instid0(VALU_DEP_1) | instskip(SKIP_1) | instid1(VALU_DEP_1)
	s_cmp_lg_u32 s9, 0
	s_addc_u32 s8, s8, s16
	v_readfirstlane_b32 s9, v1
	s_mul_i32 s16, s10, s8
	s_delay_alu instid0(VALU_DEP_1)
	s_mul_hi_u32 s17, s10, s9
	s_mul_i32 s11, s11, s9
	s_add_i32 s16, s17, s16
	s_mul_i32 s10, s10, s9
	s_add_i32 s16, s16, s11
	s_mul_hi_u32 s17, s8, s10
	s_mul_i32 s18, s8, s10
	s_mul_hi_u32 s10, s9, s10
	s_mul_hi_u32 s19, s9, s16
	s_mul_i32 s9, s9, s16
	s_mul_hi_u32 s11, s8, s16
	s_add_u32 s9, s10, s9
	s_addc_u32 s10, 0, s19
	s_add_u32 s9, s9, s18
	s_mul_i32 s16, s8, s16
	s_addc_u32 s9, s10, s17
	s_addc_u32 s10, s11, 0
	s_add_u32 s9, s9, s16
	s_addc_u32 s10, 0, s10
	v_add_co_u32 v1, s9, v1, s9
	s_delay_alu instid0(VALU_DEP_1) | instskip(SKIP_2) | instid1(SALU_CYCLE_1)
	s_cmp_lg_u32 s9, 0
	s_addc_u32 s16, s8, s10
	s_ashr_i32 s8, s3, 31
	s_add_u32 s10, s12, s8
	s_addc_u32 s11, s3, s8
	v_readfirstlane_b32 s3, v1
	s_mov_b32 s9, s8
	s_delay_alu instid0(SALU_CYCLE_1) | instskip(NEXT) | instid1(SALU_CYCLE_1)
	s_xor_b64 s[10:11], s[10:11], s[8:9]
	s_mul_i32 s18, s10, s16
	s_delay_alu instid0(VALU_DEP_1)
	s_mul_hi_u32 s19, s10, s3
	s_mul_hi_u32 s17, s10, s16
	;; [unrolled: 1-line block ×3, first 2 shown]
	s_mul_i32 s3, s11, s3
	s_add_u32 s18, s19, s18
	s_addc_u32 s17, 0, s17
	s_mul_hi_u32 s21, s11, s16
	s_add_u32 s3, s18, s3
	s_mul_i32 s16, s11, s16
	s_addc_u32 s3, s17, s22
	s_addc_u32 s17, s21, 0
	s_add_u32 s3, s3, s16
	s_addc_u32 s16, 0, s17
	s_mul_i32 s18, s20, s3
	s_add_u32 s17, s3, 1
	v_sub_co_u32 v1, s10, s10, s18
	s_mul_hi_u32 s18, s20, s3
	s_addc_u32 s19, s16, 0
	s_mul_i32 s21, s20, s16
	s_delay_alu instid0(VALU_DEP_1)
	v_sub_co_u32 v2, s22, v1, s20
	s_add_u32 s23, s3, 2
	s_addc_u32 s24, s16, 0
	s_add_i32 s18, s18, s21
	s_cmp_lg_u32 s10, 0
	v_readfirstlane_b32 s10, v2
	s_subb_u32 s11, s11, s18
	s_cmp_lg_u32 s22, 0
	s_subb_u32 s18, s11, 0
	s_delay_alu instid0(VALU_DEP_1) | instskip(SKIP_4) | instid1(SALU_CYCLE_1)
	s_cmp_ge_u32 s10, s20
	s_cselect_b32 s10, -1, 0
	s_cmp_eq_u32 s18, 0
	v_readfirstlane_b32 s18, v1
	s_cselect_b32 s10, s10, -1
	s_cmp_lg_u32 s10, 0
	s_cselect_b32 s10, s23, s17
	s_cselect_b32 s17, s24, s19
	s_cmp_ge_u32 s18, s20
	s_cselect_b32 s18, -1, 0
	s_cmp_eq_u32 s11, 0
	s_cselect_b32 s11, s18, -1
	s_delay_alu instid0(SALU_CYCLE_1) | instskip(SKIP_2) | instid1(SALU_CYCLE_1)
	s_cmp_lg_u32 s11, 0
	s_cselect_b32 s11, s17, s16
	s_cselect_b32 s10, s10, s3
	s_xor_b64 s[10:11], s[10:11], s[8:9]
	s_delay_alu instid0(SALU_CYCLE_1)
	s_sub_u32 s16, s10, s8
	s_load_b128 s[8:11], s[0:1], 0x44
	s_and_not1_b32 vcc_lo, exec_lo, s2
	s_cbranch_vccnz .LBB29_3
.LBB29_2:
	v_cvt_f32_u32_e32 v1, s20
	s_sub_i32 s3, 0, s20
	s_delay_alu instid0(VALU_DEP_1) | instskip(SKIP_2) | instid1(VALU_DEP_1)
	v_rcp_iflag_f32_e32 v1, v1
	s_waitcnt_depctr 0xfff
	v_mul_f32_e32 v1, 0x4f7ffffe, v1
	v_cvt_u32_f32_e32 v1, v1
	s_delay_alu instid0(VALU_DEP_1) | instskip(NEXT) | instid1(VALU_DEP_1)
	v_readfirstlane_b32 s2, v1
	s_mul_i32 s3, s3, s2
	s_delay_alu instid0(SALU_CYCLE_1) | instskip(NEXT) | instid1(SALU_CYCLE_1)
	s_mul_hi_u32 s3, s2, s3
	s_add_i32 s2, s2, s3
	s_delay_alu instid0(SALU_CYCLE_1) | instskip(NEXT) | instid1(SALU_CYCLE_1)
	s_mul_hi_u32 s2, s12, s2
	s_mul_i32 s3, s2, s20
	s_waitcnt lgkmcnt(0)
	s_add_i32 s11, s2, 1
	s_sub_i32 s3, s12, s3
	s_delay_alu instid0(SALU_CYCLE_1)
	s_sub_i32 s12, s3, s20
	s_cmp_ge_u32 s3, s20
	s_cselect_b32 s2, s11, s2
	s_cselect_b32 s3, s12, s3
	s_add_i32 s11, s2, 1
	s_cmp_ge_u32 s3, s20
	s_cselect_b32 s16, s11, s2
.LBB29_3:
	s_waitcnt lgkmcnt(0)
	s_add_i32 s11, s13, 1
	s_mov_b32 s2, 0
	s_mul_hi_i32 s3, s7, s11
	s_mul_i32 s11, s7, s11
	s_cmp_lg_u64 s[2:3], 0
	s_cbranch_scc0 .LBB29_22
; %bb.4:
	v_cvt_f32_ubyte0_e32 v1, 0
	v_cvt_f32_u32_e32 v2, s20
	s_sub_u32 s18, 0, s20
	s_subb_u32 s19, 0, 0
	s_delay_alu instid0(VALU_DEP_1) | instskip(NEXT) | instid1(VALU_DEP_1)
	v_fmamk_f32 v1, v1, 0x4f800000, v2
	v_rcp_f32_e32 v1, v1
	s_waitcnt_depctr 0xfff
	v_mul_f32_e32 v1, 0x5f7ffffc, v1
	s_delay_alu instid0(VALU_DEP_1) | instskip(NEXT) | instid1(VALU_DEP_1)
	v_mul_f32_e32 v2, 0x2f800000, v1
	v_trunc_f32_e32 v2, v2
	s_delay_alu instid0(VALU_DEP_1) | instskip(SKIP_1) | instid1(VALU_DEP_2)
	v_fmamk_f32 v1, v2, 0xcf800000, v1
	v_cvt_u32_f32_e32 v2, v2
	v_cvt_u32_f32_e32 v1, v1
	s_delay_alu instid0(VALU_DEP_2) | instskip(NEXT) | instid1(VALU_DEP_2)
	v_readfirstlane_b32 s12, v2
	v_readfirstlane_b32 s17, v1
	s_delay_alu instid0(VALU_DEP_2) | instskip(NEXT) | instid1(VALU_DEP_1)
	s_mul_i32 s21, s18, s12
	s_mul_hi_u32 s23, s18, s17
	s_mul_i32 s22, s19, s17
	s_add_i32 s21, s23, s21
	s_mul_i32 s24, s18, s17
	s_add_i32 s21, s21, s22
	s_mul_hi_u32 s23, s17, s24
	s_mul_hi_u32 s25, s12, s24
	s_mul_i32 s22, s12, s24
	s_mul_hi_u32 s24, s17, s21
	s_mul_i32 s17, s17, s21
	s_mul_hi_u32 s26, s12, s21
	s_add_u32 s17, s23, s17
	s_addc_u32 s23, 0, s24
	s_add_u32 s17, s17, s22
	s_mul_i32 s21, s12, s21
	s_addc_u32 s17, s23, s25
	s_addc_u32 s22, s26, 0
	s_add_u32 s17, s17, s21
	s_addc_u32 s21, 0, s22
	v_add_co_u32 v1, s17, v1, s17
	s_delay_alu instid0(VALU_DEP_1) | instskip(SKIP_1) | instid1(VALU_DEP_1)
	s_cmp_lg_u32 s17, 0
	s_addc_u32 s12, s12, s21
	v_readfirstlane_b32 s17, v1
	s_mul_i32 s21, s18, s12
	s_delay_alu instid0(VALU_DEP_1)
	s_mul_hi_u32 s22, s18, s17
	s_mul_i32 s19, s19, s17
	s_add_i32 s21, s22, s21
	s_mul_i32 s18, s18, s17
	s_add_i32 s21, s21, s19
	s_mul_hi_u32 s22, s12, s18
	s_mul_i32 s23, s12, s18
	s_mul_hi_u32 s18, s17, s18
	s_mul_hi_u32 s24, s17, s21
	s_mul_i32 s17, s17, s21
	s_mul_hi_u32 s19, s12, s21
	s_add_u32 s17, s18, s17
	s_addc_u32 s18, 0, s24
	s_add_u32 s17, s17, s23
	s_mul_i32 s21, s12, s21
	s_addc_u32 s17, s18, s22
	s_addc_u32 s18, s19, 0
	s_add_u32 s17, s17, s21
	s_addc_u32 s18, 0, s18
	v_add_co_u32 v1, s17, v1, s17
	s_delay_alu instid0(VALU_DEP_1) | instskip(SKIP_2) | instid1(SALU_CYCLE_1)
	s_cmp_lg_u32 s17, 0
	s_addc_u32 s12, s12, s18
	s_ashr_i32 s18, s3, 31
	s_add_u32 s22, s11, s18
	s_addc_u32 s23, s3, s18
	v_readfirstlane_b32 s3, v1
	s_mov_b32 s19, s18
	s_delay_alu instid0(SALU_CYCLE_1) | instskip(NEXT) | instid1(SALU_CYCLE_1)
	s_xor_b64 s[22:23], s[22:23], s[18:19]
	s_mul_i32 s21, s22, s12
	s_delay_alu instid0(VALU_DEP_1)
	s_mul_hi_u32 s24, s22, s3
	s_mul_hi_u32 s17, s22, s12
	;; [unrolled: 1-line block ×3, first 2 shown]
	s_mul_i32 s3, s23, s3
	s_add_u32 s21, s24, s21
	s_addc_u32 s17, 0, s17
	s_mul_hi_u32 s25, s23, s12
	s_add_u32 s3, s21, s3
	s_mul_i32 s12, s23, s12
	s_addc_u32 s3, s17, s26
	s_addc_u32 s17, s25, 0
	s_add_u32 s3, s3, s12
	s_addc_u32 s12, 0, s17
	s_mul_i32 s21, s20, s3
	s_add_u32 s17, s3, 1
	v_sub_co_u32 v1, s21, s22, s21
	s_mul_hi_u32 s22, s20, s3
	s_addc_u32 s24, s12, 0
	s_mul_i32 s25, s20, s12
	s_delay_alu instid0(VALU_DEP_1)
	v_sub_co_u32 v2, s26, v1, s20
	s_add_u32 s27, s3, 2
	s_addc_u32 s28, s12, 0
	s_add_i32 s22, s22, s25
	s_cmp_lg_u32 s21, 0
	v_readfirstlane_b32 s21, v2
	s_subb_u32 s22, s23, s22
	s_cmp_lg_u32 s26, 0
	s_subb_u32 s23, s22, 0
	s_delay_alu instid0(VALU_DEP_1) | instskip(SKIP_4) | instid1(SALU_CYCLE_1)
	s_cmp_ge_u32 s21, s20
	s_cselect_b32 s21, -1, 0
	s_cmp_eq_u32 s23, 0
	v_readfirstlane_b32 s23, v1
	s_cselect_b32 s21, s21, -1
	s_cmp_lg_u32 s21, 0
	s_cselect_b32 s17, s27, s17
	s_cselect_b32 s21, s28, s24
	s_cmp_ge_u32 s23, s20
	s_cselect_b32 s23, -1, 0
	s_cmp_eq_u32 s22, 0
	s_cselect_b32 s22, s23, -1
	s_delay_alu instid0(SALU_CYCLE_1) | instskip(SKIP_2) | instid1(SALU_CYCLE_1)
	s_cmp_lg_u32 s22, 0
	s_cselect_b32 s23, s21, s12
	s_cselect_b32 s22, s17, s3
	s_xor_b64 s[22:23], s[22:23], s[18:19]
	s_delay_alu instid0(SALU_CYCLE_1)
	s_sub_u32 s18, s22, s18
	s_and_not1_b32 vcc_lo, exec_lo, s2
	s_cbranch_vccnz .LBB29_6
.LBB29_5:
	v_cvt_f32_u32_e32 v1, s20
	s_sub_i32 s3, 0, s20
	s_delay_alu instid0(VALU_DEP_1) | instskip(SKIP_2) | instid1(VALU_DEP_1)
	v_rcp_iflag_f32_e32 v1, v1
	s_waitcnt_depctr 0xfff
	v_mul_f32_e32 v1, 0x4f7ffffe, v1
	v_cvt_u32_f32_e32 v1, v1
	s_delay_alu instid0(VALU_DEP_1) | instskip(NEXT) | instid1(VALU_DEP_1)
	v_readfirstlane_b32 s2, v1
	s_mul_i32 s3, s3, s2
	s_delay_alu instid0(SALU_CYCLE_1) | instskip(NEXT) | instid1(SALU_CYCLE_1)
	s_mul_hi_u32 s3, s2, s3
	s_add_i32 s2, s2, s3
	s_delay_alu instid0(SALU_CYCLE_1) | instskip(NEXT) | instid1(SALU_CYCLE_1)
	s_mul_hi_u32 s2, s11, s2
	s_mul_i32 s3, s2, s20
	s_delay_alu instid0(SALU_CYCLE_1)
	s_sub_i32 s3, s11, s3
	s_add_i32 s11, s2, 1
	s_sub_i32 s12, s3, s20
	s_cmp_ge_u32 s3, s20
	s_cselect_b32 s2, s11, s2
	s_cselect_b32 s3, s12, s3
	s_add_i32 s11, s2, 1
	s_cmp_ge_u32 s3, s20
	s_cselect_b32 s18, s11, s2
.LBB29_6:
	s_delay_alu instid0(SALU_CYCLE_1) | instskip(SKIP_3) | instid1(SALU_CYCLE_1)
	s_cmp_eq_u32 s16, s18
	s_mul_hi_u32 s2, s16, s8
	s_cselect_b32 s3, -1, 0
	s_add_i32 s2, s2, s16
	s_lshr_b32 s11, s2, s9
	s_delay_alu instid0(SALU_CYCLE_1) | instskip(NEXT) | instid1(SALU_CYCLE_1)
	s_mul_i32 s2, s11, s10
	s_cmp_eq_u32 s2, s16
	s_mul_hi_u32 s2, s18, s8
	s_cselect_b32 s12, -1, 0
	s_add_i32 s2, s2, s18
	s_delay_alu instid0(SALU_CYCLE_1) | instskip(NEXT) | instid1(SALU_CYCLE_1)
	s_lshr_b32 s2, s2, s9
	s_cmp_eq_u32 s11, s2
	s_mul_i32 s2, s2, s10
	s_cselect_b32 s17, -1, 0
	s_cmp_lg_u32 s2, s18
	s_cselect_b32 s2, -1, 0
	s_or_b32 s3, s3, s12
	s_and_b32 s2, s17, s2
	s_delay_alu instid0(SALU_CYCLE_1) | instskip(NEXT) | instid1(SALU_CYCLE_1)
	s_or_b32 s2, s3, s2
	s_and_b32 vcc_lo, exec_lo, s2
	s_cbranch_vccnz .LBB29_24
; %bb.7:
	s_load_b256 s[24:31], s[0:1], 0x20
	s_waitcnt lgkmcnt(0)
	s_mul_hi_u32 s2, s16, s24
	s_delay_alu instid0(SALU_CYCLE_1) | instskip(NEXT) | instid1(SALU_CYCLE_1)
	s_add_i32 s2, s2, s16
	s_lshr_b32 s17, s2, s25
	s_load_b32 s2, s[0:1], 0x40
	s_mul_i32 s3, s17, s26
	s_delay_alu instid0(SALU_CYCLE_1) | instskip(NEXT) | instid1(SALU_CYCLE_1)
	s_sub_i32 s3, s16, s3
	s_mul_hi_u32 s12, s3, s27
	s_delay_alu instid0(SALU_CYCLE_1) | instskip(NEXT) | instid1(SALU_CYCLE_1)
	s_add_i32 s12, s3, s12
	s_lshr_b32 s21, s12, s28
	s_delay_alu instid0(SALU_CYCLE_1) | instskip(NEXT) | instid1(SALU_CYCLE_1)
	s_mul_i32 s12, s21, s29
	s_sub_i32 s3, s3, s12
	s_delay_alu instid0(SALU_CYCLE_1) | instskip(NEXT) | instid1(SALU_CYCLE_1)
	s_mul_hi_u32 s12, s3, s30
	s_add_i32 s12, s3, s12
	s_delay_alu instid0(SALU_CYCLE_1)
	s_lshr_b32 s12, s12, s31
	s_waitcnt lgkmcnt(0)
	s_mul_i32 s2, s12, s2
	s_lshl_b32 s23, s12, 1
	s_sub_i32 s2, s3, s2
	s_mov_b32 s12, 0
	s_mul_hi_u32 s3, s2, s8
	s_delay_alu instid0(SALU_CYCLE_1) | instskip(NEXT) | instid1(SALU_CYCLE_1)
	s_add_i32 s2, s2, s3
	s_lshr_b32 s22, s2, s9
	s_delay_alu instid0(SALU_CYCLE_1) | instskip(NEXT) | instid1(SALU_CYCLE_1)
	s_lshl_b32 s2, s22, 4
	s_add_i32 s2, s2, s14
	s_delay_alu instid0(SALU_CYCLE_1) | instskip(SKIP_2) | instid1(SALU_CYCLE_1)
	s_cmp_lt_i32 s2, s4
	s_cselect_b32 s2, -1, 0
	s_add_i32 s3, s23, s15
	s_cmp_lt_i32 s3, s6
	s_cselect_b32 s3, -1, 0
	s_delay_alu instid0(SALU_CYCLE_1) | instskip(NEXT) | instid1(SALU_CYCLE_1)
	s_and_b32 s2, s2, s3
	s_and_not1_b32 vcc_lo, exec_lo, s2
	s_cbranch_vccnz .LBB29_24
; %bb.8:
	s_load_b128 s[0:3], s[0:1], 0x0
	s_lshl_b32 s18, s20, 7
	s_mov_b32 s19, s12
	s_lshl_b32 s24, s14, 1
	s_lshl_b64 s[18:19], s[18:19], 2
	s_mul_i32 s4, s17, s4
	s_add_i32 s17, s24, s15
	s_mul_i32 s21, s21, s6
	v_cvt_f32_ubyte0_e32 v4, 0
	v_cvt_f32_u32_e32 v5, s20
	s_waitcnt lgkmcnt(0)
	s_add_u32 s18, s2, s18
	s_addc_u32 s19, s3, s19
	s_add_i32 s4, s4, s14
	s_delay_alu instid0(SALU_CYCLE_1) | instskip(SKIP_4) | instid1(SALU_CYCLE_1)
	s_mul_i32 s4, s4, s5
	s_mul_i32 s5, s5, s22
	s_add_i32 s4, s4, s15
	s_lshl_b32 s5, s5, 12
	s_add_i32 s4, s4, s21
	s_add_i32 s4, s4, s23
	s_delay_alu instid0(SALU_CYCLE_1) | instskip(NEXT) | instid1(SALU_CYCLE_1)
	s_lshl_b32 s4, s4, 8
	s_add_i32 s5, s5, s4
	s_delay_alu instid0(SALU_CYCLE_1) | instskip(SKIP_1) | instid1(VALU_DEP_2)
	v_or_b32_e32 v1, s5, v0
	v_lshl_or_b32 v0, s17, 8, v0
	v_ashrrev_i32_e32 v2, 31, v1
	s_delay_alu instid0(VALU_DEP_1) | instskip(NEXT) | instid1(VALU_DEP_1)
	v_lshlrev_b64 v[1:2], 2, v[1:2]
	v_add_co_u32 v1, vcc_lo, s0, v1
	s_delay_alu instid0(VALU_DEP_2) | instskip(SKIP_1) | instid1(SALU_CYCLE_1)
	v_add_co_ci_u32_e32 v2, vcc_lo, s1, v2, vcc_lo
	s_lshl_b32 s0, s13, 5
	s_add_i32 s0, s17, s0
	global_load_b32 v3, v[1:2], off
	s_ashr_i32 s1, s0, 31
	s_delay_alu instid0(SALU_CYCLE_1) | instskip(NEXT) | instid1(SALU_CYCLE_1)
	s_lshl_b64 s[0:1], s[0:1], 3
	s_add_u32 s0, s2, s0
	s_addc_u32 s1, s3, s1
	s_add_i32 s14, s13, -1
	s_load_b64 s[0:1], s[0:1], 0x0
	v_fmac_f32_e32 v5, 0x4f800000, v4
	s_sub_i32 s6, 0, s20
	s_waitcnt lgkmcnt(0)
	v_mov_b32_e32 v8, s0
	s_delay_alu instid0(VALU_DEP_2) | instskip(SKIP_2) | instid1(VALU_DEP_2)
	v_rcp_f32_e32 v4, v5
	v_cvt_f32_u32_e32 v5, s20
	v_mov_b32_e32 v7, s1
	v_rcp_iflag_f32_e32 v5, v5
	s_waitcnt_depctr 0xfff
	v_mul_f32_e32 v4, 0x5f7ffffc, v4
	s_delay_alu instid0(VALU_DEP_1) | instskip(SKIP_1) | instid1(VALU_DEP_2)
	v_mul_f32_e32 v6, 0x2f800000, v4
	v_mul_f32_e32 v9, 0x4f7ffffe, v5
	v_trunc_f32_e32 v6, v6
	s_delay_alu instid0(VALU_DEP_1) | instskip(SKIP_1) | instid1(VALU_DEP_4)
	v_fmac_f32_e32 v4, 0xcf800000, v6
	v_cvt_u32_f32_e32 v5, v6
	v_cvt_u32_f32_e32 v6, v9
	s_delay_alu instid0(VALU_DEP_3)
	v_cvt_u32_f32_e32 v4, v4
.LBB29_9:                               ; =>This Inner Loop Header: Depth=1
	s_mul_hi_i32 s13, s14, s7
	s_mul_i32 s4, s14, s7
	s_cmp_lg_u64 s[12:13], 0
	s_mov_b32 s5, -1
                                        ; implicit-def: $sgpr0_sgpr1
	s_cbranch_scc0 .LBB29_11
; %bb.10:                               ;   in Loop: Header=BB29_9 Depth=1
	v_readfirstlane_b32 s0, v4
	v_readfirstlane_b32 s1, v5
	s_sub_u32 s5, 0, s20
	s_subb_u32 s15, 0, 0
	s_delay_alu instid0(VALU_DEP_2) | instskip(NEXT) | instid1(VALU_DEP_1)
	s_mul_hi_u32 s21, s5, s0
	s_mul_i32 s22, s5, s1
	s_mul_i32 s23, s15, s0
	s_add_i32 s21, s21, s22
	s_mul_i32 s22, s5, s0
	s_add_i32 s21, s21, s23
	s_mul_hi_u32 s23, s0, s22
	s_mul_i32 s24, s0, s21
	s_mul_hi_u32 s0, s0, s21
	s_add_u32 s23, s23, s24
	s_mul_i32 s25, s1, s22
	s_addc_u32 s0, 0, s0
	s_mul_hi_u32 s22, s1, s22
	s_mul_hi_u32 s24, s1, s21
	s_add_u32 s23, s23, s25
	s_addc_u32 s0, s0, s22
	s_mul_i32 s21, s1, s21
	s_addc_u32 s22, s24, 0
	s_add_u32 s0, s0, s21
	s_addc_u32 s21, 0, s22
	v_add_co_u32 v9, s0, v4, s0
	s_delay_alu instid0(VALU_DEP_1) | instskip(SKIP_1) | instid1(VALU_DEP_1)
	s_cmp_lg_u32 s0, 0
	s_addc_u32 s1, s1, s21
	v_readfirstlane_b32 s0, v9
	s_mul_i32 s21, s5, s1
	s_delay_alu instid0(VALU_DEP_1)
	s_mul_hi_u32 s22, s5, s0
	s_mul_i32 s15, s15, s0
	s_add_i32 s21, s22, s21
	s_mul_i32 s5, s5, s0
	s_add_i32 s21, s21, s15
	s_mul_hi_u32 s15, s1, s5
	s_mul_i32 s23, s1, s5
	s_mul_i32 s24, s0, s21
	s_mul_hi_u32 s5, s0, s5
	s_mul_hi_u32 s0, s0, s21
	s_add_u32 s5, s5, s24
	s_addc_u32 s0, 0, s0
	s_mul_hi_u32 s22, s1, s21
	s_add_u32 s5, s5, s23
	s_addc_u32 s0, s0, s15
	s_mul_i32 s5, s1, s21
	s_addc_u32 s15, s22, 0
	s_add_u32 s0, s0, s5
	s_addc_u32 s5, 0, s15
	v_add_co_u32 v9, s0, v9, s0
	s_delay_alu instid0(VALU_DEP_1) | instskip(SKIP_2) | instid1(SALU_CYCLE_1)
	s_cmp_lg_u32 s0, 0
	s_addc_u32 s5, s1, s5
	s_ashr_i32 s0, s13, 31
	s_add_u32 s22, s4, s0
	s_addc_u32 s23, s13, s0
	v_readfirstlane_b32 s13, v9
	s_mov_b32 s1, s0
	s_delay_alu instid0(SALU_CYCLE_1) | instskip(NEXT) | instid1(SALU_CYCLE_1)
	s_xor_b64 s[22:23], s[22:23], s[0:1]
	s_mul_i32 s15, s22, s5
	s_delay_alu instid0(VALU_DEP_1)
	s_mul_hi_u32 s21, s22, s13
	s_mul_hi_u32 s24, s22, s5
	s_add_u32 s15, s21, s15
	s_mul_i32 s25, s23, s13
	s_addc_u32 s21, 0, s24
	s_mul_hi_u32 s13, s23, s13
	s_mul_hi_u32 s24, s23, s5
	s_add_u32 s15, s15, s25
	s_addc_u32 s13, s21, s13
	s_mul_i32 s5, s23, s5
	s_addc_u32 s15, s24, 0
	s_add_u32 s5, s13, s5
	s_addc_u32 s13, 0, s15
	s_mul_i32 s21, s20, s5
	s_add_u32 s15, s5, 1
	v_sub_co_u32 v9, s21, s22, s21
	s_addc_u32 s22, s13, 0
	s_mul_i32 s25, s20, s13
	s_mul_hi_u32 s27, s20, s5
	s_delay_alu instid0(VALU_DEP_1)
	v_sub_co_u32 v10, s26, v9, s20
	s_add_u32 s24, s5, 2
	s_addc_u32 s28, s13, 0
	s_add_i32 s27, s27, s25
	s_cmp_lg_u32 s21, 0
	v_readfirstlane_b32 s21, v10
	s_subb_u32 s23, s23, s27
	s_cmp_lg_u32 s26, 0
	s_subb_u32 s25, s23, 0
	s_delay_alu instid0(VALU_DEP_1) | instskip(SKIP_4) | instid1(SALU_CYCLE_1)
	s_cmp_ge_u32 s21, s20
	s_cselect_b32 s21, -1, 0
	s_cmp_eq_u32 s25, 0
	v_readfirstlane_b32 s25, v9
	s_cselect_b32 s21, s21, -1
	s_cmp_lg_u32 s21, 0
	s_cselect_b32 s15, s24, s15
	s_cselect_b32 s21, s28, s22
	s_cmp_ge_u32 s25, s20
	s_cselect_b32 s22, -1, 0
	s_cmp_eq_u32 s23, 0
	s_cselect_b32 s22, s22, -1
	s_delay_alu instid0(SALU_CYCLE_1) | instskip(SKIP_4) | instid1(SALU_CYCLE_1)
	s_cmp_lg_u32 s22, 0
	s_cselect_b32 s23, s21, s13
	s_cselect_b32 s22, s15, s5
	s_mov_b32 s5, 0
	s_xor_b64 s[22:23], s[22:23], s[0:1]
	s_sub_u32 s0, s22, s0
.LBB29_11:                              ;   in Loop: Header=BB29_9 Depth=1
	s_and_not1_b32 vcc_lo, exec_lo, s5
	s_cbranch_vccnz .LBB29_13
; %bb.12:                               ;   in Loop: Header=BB29_9 Depth=1
	v_readfirstlane_b32 s0, v6
	s_delay_alu instid0(VALU_DEP_1) | instskip(NEXT) | instid1(SALU_CYCLE_1)
	s_mul_i32 s1, s6, s0
	s_mul_hi_u32 s1, s0, s1
	s_delay_alu instid0(SALU_CYCLE_1) | instskip(NEXT) | instid1(SALU_CYCLE_1)
	s_add_i32 s0, s0, s1
	s_mul_hi_u32 s0, s4, s0
	s_delay_alu instid0(SALU_CYCLE_1) | instskip(NEXT) | instid1(SALU_CYCLE_1)
	s_mul_i32 s1, s0, s20
	s_sub_i32 s1, s4, s1
	s_add_i32 s4, s0, 1
	s_sub_i32 s5, s1, s20
	s_cmp_ge_u32 s1, s20
	s_cselect_b32 s0, s4, s0
	s_cselect_b32 s1, s5, s1
	s_add_i32 s4, s0, 1
	s_cmp_ge_u32 s1, s20
	s_cselect_b32 s0, s4, s0
.LBB29_13:                              ;   in Loop: Header=BB29_9 Depth=1
	s_delay_alu instid0(SALU_CYCLE_1)
	s_cmp_lg_u32 s16, s0
	s_cbranch_scc0 .LBB29_17
; %bb.14:                               ;   in Loop: Header=BB29_9 Depth=1
	s_add_i32 s1, s14, s20
	s_mov_b32 s5, s12
	s_lshl_b32 s1, s1, 5
	s_mov_b32 s15, s16
	s_add_i32 s4, s1, s17
	s_mul_hi_u32 s1, s0, s8
	s_lshl_b64 s[4:5], s[4:5], 3
	s_delay_alu instid0(SALU_CYCLE_1) | instskip(SKIP_2) | instid1(SALU_CYCLE_1)
	s_add_u32 s4, s2, s4
	s_addc_u32 s5, s3, s5
	s_add_i32 s1, s1, s0
	s_lshr_b32 s1, s1, s9
	s_delay_alu instid0(SALU_CYCLE_1) | instskip(NEXT) | instid1(SALU_CYCLE_1)
	s_mul_i32 s13, s1, s10
	s_cmp_eq_u32 s13, s0
	s_cselect_b32 s13, -1, 0
	s_cmp_lt_u32 s1, s11
	s_cselect_b32 s1, -1, 0
	s_delay_alu instid0(SALU_CYCLE_1)
	s_or_b32 s1, s1, s13
	s_mov_b32 s13, -1
	s_and_b32 vcc_lo, exec_lo, s1
	s_mov_b32 s1, s14
	s_cbranch_vccnz .LBB29_16
; %bb.15:                               ;   in Loop: Header=BB29_9 Depth=1
	s_add_i32 s1, s14, -1
	s_mov_b32 s13, 0
	s_mov_b32 s15, s0
.LBB29_16:                              ;   in Loop: Header=BB29_9 Depth=1
	v_lshl_add_u32 v9, s14, 13, v0
	s_load_b64 s[4:5], s[4:5], 0x0
	s_delay_alu instid0(VALU_DEP_1) | instskip(NEXT) | instid1(VALU_DEP_1)
	v_ashrrev_i32_e32 v10, 31, v9
	v_lshlrev_b64 v[9:10], 2, v[9:10]
	s_delay_alu instid0(VALU_DEP_1) | instskip(NEXT) | instid1(VALU_DEP_2)
	v_add_co_u32 v9, vcc_lo, s18, v9
	v_add_co_ci_u32_e32 v10, vcc_lo, s19, v10, vcc_lo
	s_waitcnt lgkmcnt(0)
	v_max_f32_e64 v11, s4, s4
	global_load_b32 v10, v[9:10], off
	v_max_f32_e32 v9, v8, v8
	s_delay_alu instid0(VALU_DEP_1) | instskip(NEXT) | instid1(VALU_DEP_1)
	v_max_f32_e32 v9, v9, v11
	v_sub_f32_e32 v12, v8, v9
	s_delay_alu instid0(VALU_DEP_1) | instskip(NEXT) | instid1(VALU_DEP_1)
	v_dual_mul_f32 v14, 0x3fb8aa3b, v12 :: v_dual_sub_f32 v11, s4, v9
	v_rndne_f32_e32 v18, v14
	s_delay_alu instid0(VALU_DEP_2) | instskip(SKIP_2) | instid1(VALU_DEP_4)
	v_mul_f32_e32 v13, 0x3fb8aa3b, v11
	v_fma_f32 v17, 0x3fb8aa3b, v12, -v14
	v_cmp_ngt_f32_e32 vcc_lo, 0xc2ce8ed0, v11
	v_sub_f32_e32 v14, v14, v18
	s_delay_alu instid0(VALU_DEP_4) | instskip(SKIP_2) | instid1(VALU_DEP_3)
	v_fma_f32 v15, 0x3fb8aa3b, v11, -v13
	v_rndne_f32_e32 v16, v13
	v_fmac_f32_e32 v17, 0x32a5705f, v12
	v_fmac_f32_e32 v15, 0x32a5705f, v11
	s_delay_alu instid0(VALU_DEP_2) | instskip(NEXT) | instid1(VALU_DEP_1)
	v_dual_sub_f32 v13, v13, v16 :: v_dual_add_f32 v14, v14, v17
	v_add_f32_e32 v13, v13, v15
	s_delay_alu instid0(VALU_DEP_2) | instskip(SKIP_2) | instid1(VALU_DEP_3)
	v_exp_f32_e32 v14, v14
	v_cvt_i32_f32_e32 v15, v16
	v_cvt_i32_f32_e32 v16, v18
	v_exp_f32_e32 v13, v13
	s_waitcnt_depctr 0xfff
	v_ldexp_f32 v14, v14, v16
	v_ldexp_f32 v13, v13, v15
	s_delay_alu instid0(VALU_DEP_1) | instskip(SKIP_1) | instid1(VALU_DEP_4)
	v_cndmask_b32_e32 v13, 0, v13, vcc_lo
	v_cmp_ngt_f32_e32 vcc_lo, 0xc2ce8ed0, v12
	v_cndmask_b32_e32 v14, 0, v14, vcc_lo
	v_cmp_nlt_f32_e32 vcc_lo, 0x42b17218, v11
	s_delay_alu instid0(VALU_DEP_4) | instskip(SKIP_1) | instid1(VALU_DEP_4)
	v_cndmask_b32_e32 v13, 0x7f800000, v13, vcc_lo
	v_cmp_nlt_f32_e32 vcc_lo, 0x42b17218, v12
	v_cndmask_b32_e32 v14, 0x7f800000, v14, vcc_lo
	v_cmp_le_f32_e32 vcc_lo, 0xc1a00000, v11
	s_delay_alu instid0(VALU_DEP_4) | instskip(SKIP_1) | instid1(VALU_DEP_4)
	v_cndmask_b32_e32 v11, 0, v13, vcc_lo
	v_cmp_le_f32_e32 vcc_lo, 0xc1a00000, v12
	v_cndmask_b32_e32 v12, 0, v14, vcc_lo
	s_waitcnt vmcnt(0)
	s_delay_alu instid0(VALU_DEP_3) | instskip(NEXT) | instid1(VALU_DEP_1)
	v_mul_f32_e32 v10, v10, v11
	v_dual_mul_f32 v11, s5, v11 :: v_dual_fmac_f32 v10, v3, v12
	s_delay_alu instid0(VALU_DEP_1)
	v_fmac_f32_e32 v11, v7, v12
	s_cbranch_execz .LBB29_18
	s_branch .LBB29_19
.LBB29_17:                              ;   in Loop: Header=BB29_9 Depth=1
                                        ; implicit-def: $sgpr13
                                        ; implicit-def: $vgpr10
                                        ; implicit-def: $vgpr9
                                        ; implicit-def: $vgpr11
                                        ; implicit-def: $sgpr1
                                        ; implicit-def: $sgpr15
.LBB29_18:                              ;   in Loop: Header=BB29_9 Depth=1
	v_mov_b32_e32 v11, v7
	s_waitcnt vmcnt(0)
	v_dual_mov_b32 v9, v8 :: v_dual_mov_b32 v10, v3
	s_add_i32 s1, s14, -1
	s_mov_b32 s13, 0
	s_mov_b32 s15, s16
.LBB29_19:                              ;   in Loop: Header=BB29_9 Depth=1
	s_and_not1_b32 vcc_lo, exec_lo, s13
	s_cbranch_vccz .LBB29_23
; %bb.20:                               ;   in Loop: Header=BB29_9 Depth=1
	v_dual_mov_b32 v7, v11 :: v_dual_mov_b32 v8, v9
	s_waitcnt vmcnt(0)
	v_mov_b32_e32 v3, v10
	s_mov_b32 s16, s15
	s_mov_b32 s14, s1
	s_branch .LBB29_9
.LBB29_21:
                                        ; implicit-def: $sgpr16_sgpr17
	s_load_b128 s[8:11], s[0:1], 0x44
	s_branch .LBB29_2
.LBB29_22:
                                        ; implicit-def: $sgpr18_sgpr19
	s_branch .LBB29_5
.LBB29_23:
	v_div_scale_f32 v0, null, v11, v11, v10
	s_waitcnt vmcnt(0)
	s_delay_alu instid0(VALU_DEP_1) | instskip(SKIP_2) | instid1(VALU_DEP_1)
	v_rcp_f32_e32 v3, v0
	s_waitcnt_depctr 0xfff
	v_fma_f32 v4, -v0, v3, 1.0
	v_fmac_f32_e32 v3, v4, v3
	v_div_scale_f32 v4, vcc_lo, v10, v11, v10
	s_delay_alu instid0(VALU_DEP_1) | instskip(NEXT) | instid1(VALU_DEP_1)
	v_mul_f32_e32 v5, v4, v3
	v_fma_f32 v6, -v0, v5, v4
	s_delay_alu instid0(VALU_DEP_1) | instskip(NEXT) | instid1(VALU_DEP_1)
	v_fmac_f32_e32 v5, v6, v3
	v_fma_f32 v0, -v0, v5, v4
	s_delay_alu instid0(VALU_DEP_1) | instskip(NEXT) | instid1(VALU_DEP_1)
	v_div_fmas_f32 v0, v0, v3, v5
	v_div_fixup_f32 v0, v0, v11, v10
	global_store_b32 v[1:2], v0, off
.LBB29_24:
	s_nop 0
	s_sendmsg sendmsg(MSG_DEALLOC_VGPRS)
	s_endpgm
	.section	.rodata,"a",@progbits
	.p2align	6, 0x0
	.amdhsa_kernel _ZL33flash_attn_stream_k_fixup_generalILi256ELi16ELi2EEvPfPK15HIP_vector_typeIfLj2EEiiiiS1_IjLj3EES5_S5_S5_
		.amdhsa_group_segment_fixed_size 0
		.amdhsa_private_segment_fixed_size 0
		.amdhsa_kernarg_size 336
		.amdhsa_user_sgpr_count 13
		.amdhsa_user_sgpr_dispatch_ptr 0
		.amdhsa_user_sgpr_queue_ptr 0
		.amdhsa_user_sgpr_kernarg_segment_ptr 1
		.amdhsa_user_sgpr_dispatch_id 0
		.amdhsa_user_sgpr_private_segment_size 0
		.amdhsa_wavefront_size32 1
		.amdhsa_uses_dynamic_stack 0
		.amdhsa_enable_private_segment 0
		.amdhsa_system_sgpr_workgroup_id_x 1
		.amdhsa_system_sgpr_workgroup_id_y 1
		.amdhsa_system_sgpr_workgroup_id_z 1
		.amdhsa_system_sgpr_workgroup_info 0
		.amdhsa_system_vgpr_workitem_id 0
		.amdhsa_next_free_vgpr 19
		.amdhsa_next_free_sgpr 32
		.amdhsa_reserve_vcc 1
		.amdhsa_float_round_mode_32 0
		.amdhsa_float_round_mode_16_64 0
		.amdhsa_float_denorm_mode_32 3
		.amdhsa_float_denorm_mode_16_64 3
		.amdhsa_dx10_clamp 1
		.amdhsa_ieee_mode 1
		.amdhsa_fp16_overflow 0
		.amdhsa_workgroup_processor_mode 1
		.amdhsa_memory_ordered 1
		.amdhsa_forward_progress 0
		.amdhsa_shared_vgpr_count 0
		.amdhsa_exception_fp_ieee_invalid_op 0
		.amdhsa_exception_fp_denorm_src 0
		.amdhsa_exception_fp_ieee_div_zero 0
		.amdhsa_exception_fp_ieee_overflow 0
		.amdhsa_exception_fp_ieee_underflow 0
		.amdhsa_exception_fp_ieee_inexact 0
		.amdhsa_exception_int_div_zero 0
	.end_amdhsa_kernel
	.section	.text._ZL33flash_attn_stream_k_fixup_generalILi256ELi16ELi2EEvPfPK15HIP_vector_typeIfLj2EEiiiiS1_IjLj3EES5_S5_S5_,"axG",@progbits,_ZL33flash_attn_stream_k_fixup_generalILi256ELi16ELi2EEvPfPK15HIP_vector_typeIfLj2EEiiiiS1_IjLj3EES5_S5_S5_,comdat
.Lfunc_end29:
	.size	_ZL33flash_attn_stream_k_fixup_generalILi256ELi16ELi2EEvPfPK15HIP_vector_typeIfLj2EEiiiiS1_IjLj3EES5_S5_S5_, .Lfunc_end29-_ZL33flash_attn_stream_k_fixup_generalILi256ELi16ELi2EEvPfPK15HIP_vector_typeIfLj2EEiiiiS1_IjLj3EES5_S5_S5_
                                        ; -- End function
	.section	.AMDGPU.csdata,"",@progbits
; Kernel info:
; codeLenInByte = 3224
; NumSgprs: 34
; NumVgprs: 19
; ScratchSize: 0
; MemoryBound: 0
; FloatMode: 240
; IeeeMode: 1
; LDSByteSize: 0 bytes/workgroup (compile time only)
; SGPRBlocks: 4
; VGPRBlocks: 2
; NumSGPRsForWavesPerEU: 34
; NumVGPRsForWavesPerEU: 19
; Occupancy: 16
; WaveLimiterHint : 0
; COMPUTE_PGM_RSRC2:SCRATCH_EN: 0
; COMPUTE_PGM_RSRC2:USER_SGPR: 13
; COMPUTE_PGM_RSRC2:TRAP_HANDLER: 0
; COMPUTE_PGM_RSRC2:TGID_X_EN: 1
; COMPUTE_PGM_RSRC2:TGID_Y_EN: 1
; COMPUTE_PGM_RSRC2:TGID_Z_EN: 1
; COMPUTE_PGM_RSRC2:TIDIG_COMP_CNT: 0
	.section	.text._ZL15flash_attn_tileILi256ELi256ELi8ELi2ELb0EEvPKcS1_S1_S1_S1_PKiPfP15HIP_vector_typeIfLj2EEffffjfiS5_IjLj3EEiiiiiiiiiiiliiliiiiil,"axG",@progbits,_ZL15flash_attn_tileILi256ELi256ELi8ELi2ELb0EEvPKcS1_S1_S1_S1_PKiPfP15HIP_vector_typeIfLj2EEffffjfiS5_IjLj3EEiiiiiiiiiiiliiliiiiil,comdat
	.globl	_ZL15flash_attn_tileILi256ELi256ELi8ELi2ELb0EEvPKcS1_S1_S1_S1_PKiPfP15HIP_vector_typeIfLj2EEffffjfiS5_IjLj3EEiiiiiiiiiiiliiliiiiil ; -- Begin function _ZL15flash_attn_tileILi256ELi256ELi8ELi2ELb0EEvPKcS1_S1_S1_S1_PKiPfP15HIP_vector_typeIfLj2EEffffjfiS5_IjLj3EEiiiiiiiiiiiliiliiiiil
	.p2align	8
	.type	_ZL15flash_attn_tileILi256ELi256ELi8ELi2ELb0EEvPKcS1_S1_S1_S1_PKiPfP15HIP_vector_typeIfLj2EEffffjfiS5_IjLj3EEiiiiiiiiiiiliiliiiiil,@function
_ZL15flash_attn_tileILi256ELi256ELi8ELi2ELb0EEvPKcS1_S1_S1_S1_PKiPfP15HIP_vector_typeIfLj2EEffffjfiS5_IjLj3EEiiiiiiiiiiiliiliiiiil: ; @_ZL15flash_attn_tileILi256ELi256ELi8ELi2ELb0EEvPKcS1_S1_S1_S1_PKiPfP15HIP_vector_typeIfLj2EEffffjfiS5_IjLj3EEiiiiiiiiiiiliiliiiiil
; %bb.0:
	s_clause 0x1
	s_load_b128 s[8:11], s[0:1], 0x5c
	s_load_b64 s[34:35], s[0:1], 0x80
	s_mov_b64 s[36:37], 0
	s_waitcnt lgkmcnt(0)
	s_lshr_b32 s2, s11, 31
	s_delay_alu instid0(SALU_CYCLE_1) | instskip(NEXT) | instid1(SALU_CYCLE_1)
	s_add_i32 s2, s11, s2
	s_ashr_i32 s2, s2, 1
	s_delay_alu instid0(SALU_CYCLE_1) | instskip(SKIP_1) | instid1(VALU_DEP_1)
	v_cvt_f32_u32_e32 v1, s2
	s_sub_i32 s4, 0, s2
	v_rcp_iflag_f32_e32 v1, v1
	s_waitcnt_depctr 0xfff
	v_mul_f32_e32 v1, 0x4f7ffffe, v1
	s_delay_alu instid0(VALU_DEP_1) | instskip(NEXT) | instid1(VALU_DEP_1)
	v_cvt_u32_f32_e32 v1, v1
	v_readfirstlane_b32 s3, v1
	s_delay_alu instid0(VALU_DEP_1) | instskip(NEXT) | instid1(SALU_CYCLE_1)
	s_mul_i32 s4, s4, s3
	s_mul_hi_u32 s4, s3, s4
	s_delay_alu instid0(SALU_CYCLE_1) | instskip(NEXT) | instid1(SALU_CYCLE_1)
	s_add_i32 s3, s3, s4
	s_mul_hi_u32 s3, s15, s3
	s_delay_alu instid0(SALU_CYCLE_1) | instskip(SKIP_2) | instid1(SALU_CYCLE_1)
	s_mul_i32 s4, s3, s2
	s_add_i32 s5, s3, 1
	s_sub_i32 s4, s15, s4
	s_sub_i32 s6, s4, s2
	s_cmp_ge_u32 s4, s2
	s_cselect_b32 s3, s5, s3
	s_cselect_b32 s4, s6, s4
	s_add_i32 s5, s3, 1
	s_cmp_ge_u32 s4, s2
	s_cselect_b32 s33, s5, s3
	s_abs_i32 s2, s35
	s_abs_i32 s7, s11
	v_cvt_f32_u32_e32 v1, s2
	s_sub_i32 s4, 0, s2
	s_lshl_b32 s5, s15, 1
	s_mul_i32 s6, s33, s11
	s_delay_alu instid0(VALU_DEP_1) | instskip(SKIP_3) | instid1(VALU_DEP_1)
	v_rcp_iflag_f32_e32 v1, v1
	s_sub_i32 s12, s5, s6
	s_waitcnt_depctr 0xfff
	v_mul_f32_e32 v1, 0x4f7ffffe, v1
	v_cvt_u32_f32_e32 v1, v1
	s_delay_alu instid0(VALU_DEP_1) | instskip(NEXT) | instid1(VALU_DEP_1)
	v_readfirstlane_b32 s3, v1
	s_mul_i32 s4, s4, s3
	s_delay_alu instid0(SALU_CYCLE_1) | instskip(NEXT) | instid1(SALU_CYCLE_1)
	s_mul_hi_u32 s4, s3, s4
	s_add_i32 s3, s3, s4
	s_xor_b32 s4, s11, s35
	s_mul_hi_u32 s3, s7, s3
	s_ashr_i32 s4, s4, 31
	s_mul_i32 s5, s3, s2
	s_add_i32 s6, s3, 1
	s_sub_i32 s5, s7, s5
	s_delay_alu instid0(SALU_CYCLE_1)
	s_sub_i32 s7, s5, s2
	s_cmp_ge_u32 s5, s2
	s_cselect_b32 s3, s6, s3
	s_cselect_b32 s5, s7, s5
	s_add_i32 s6, s3, 1
	s_cmp_ge_u32 s5, s2
	s_cselect_b32 s2, s6, s3
	s_delay_alu instid0(SALU_CYCLE_1) | instskip(NEXT) | instid1(SALU_CYCLE_1)
	s_xor_b32 s2, s2, s4
	s_sub_i32 s15, s2, s4
	s_clause 0x1
	s_load_b512 s[16:31], s[0:1], 0x0
	s_load_b64 s[2:3], s[0:1], 0xb8
	s_abs_i32 s35, s15
	s_delay_alu instid0(SALU_CYCLE_1) | instskip(NEXT) | instid1(VALU_DEP_1)
	v_cvt_f32_u32_e32 v1, s35
	v_rcp_iflag_f32_e32 v1, v1
	s_waitcnt_depctr 0xfff
	v_mul_f32_e32 v1, 0x4f7ffffe, v1
	s_waitcnt lgkmcnt(0)
	s_cmp_eq_u64 s[22:23], 0
	s_delay_alu instid0(VALU_DEP_1) | instskip(NEXT) | instid1(VALU_DEP_1)
	v_cvt_u32_f32_e32 v1, v1
	v_readfirstlane_b32 s38, v1
	s_cbranch_scc1 .LBB30_2
; %bb.1:
	s_abs_i32 s2, s2
	s_abs_i32 s6, s33
	v_cvt_f32_u32_e32 v1, s2
	s_sub_i32 s5, 0, s2
	s_delay_alu instid0(VALU_DEP_1) | instskip(SKIP_2) | instid1(VALU_DEP_1)
	v_rcp_iflag_f32_e32 v1, v1
	s_waitcnt_depctr 0xfff
	v_mul_f32_e32 v1, 0x4f7ffffe, v1
	v_cvt_u32_f32_e32 v1, v1
	s_delay_alu instid0(VALU_DEP_1) | instskip(NEXT) | instid1(VALU_DEP_1)
	v_readfirstlane_b32 s4, v1
	s_mul_i32 s5, s5, s4
	s_delay_alu instid0(SALU_CYCLE_1) | instskip(NEXT) | instid1(SALU_CYCLE_1)
	s_mul_hi_u32 s5, s4, s5
	s_add_i32 s7, s4, s5
	s_load_b64 s[4:5], s[0:1], 0xc8
	s_mul_hi_u32 s7, s6, s7
	s_delay_alu instid0(SALU_CYCLE_1) | instskip(NEXT) | instid1(SALU_CYCLE_1)
	s_mul_i32 s7, s7, s2
	s_sub_i32 s6, s6, s7
	s_ashr_i32 s7, s33, 31
	s_sub_i32 s36, s6, s2
	s_cmp_ge_u32 s6, s2
	s_cselect_b32 s6, s36, s6
	s_delay_alu instid0(SALU_CYCLE_1) | instskip(SKIP_2) | instid1(SALU_CYCLE_1)
	s_sub_i32 s36, s6, s2
	s_cmp_ge_u32 s6, s2
	s_cselect_b32 s2, s36, s6
	s_xor_b32 s2, s2, s7
	s_delay_alu instid0(SALU_CYCLE_1)
	s_sub_i32 s2, s2, s7
	s_waitcnt lgkmcnt(0)
	s_mul_i32 s5, s2, s5
	s_mul_hi_u32 s6, s2, s4
	s_ashr_i32 s7, s2, 31
	s_add_i32 s5, s6, s5
	s_mul_i32 s7, s7, s4
	s_mul_i32 s2, s2, s4
	s_add_i32 s5, s5, s7
	s_add_u32 s36, s22, s2
	s_addc_u32 s37, s23, s5
.LBB30_2:
	v_bfe_u32 v1, v0, 10, 10
	s_load_b128 s[4:7], s[0:1], 0x70
	v_and_b32_e32 v17, 0x3ff, v0
	s_delay_alu instid0(VALU_DEP_2) | instskip(SKIP_1) | instid1(VALU_DEP_3)
	v_lshl_add_u32 v16, s13, 3, v1
	v_lshlrev_b32_e32 v15, 8, v1
	v_lshlrev_b32_e32 v0, 4, v17
	s_delay_alu instid0(VALU_DEP_3) | instskip(NEXT) | instid1(VALU_DEP_1)
	v_mul_hi_u32 v2, s8, v16
	v_add_nc_u32_e32 v2, v16, v2
	s_waitcnt lgkmcnt(0)
	s_mul_i32 s2, s33, s6
	s_mul_i32 s6, s12, s5
	s_delay_alu instid0(VALU_DEP_1)
	v_lshrrev_b32_e32 v2, s9, v2
	s_ashr_i32 s7, s2, 31
	s_add_u32 s2, s16, s2
	s_addc_u32 s7, s17, s7
	s_ashr_i32 s8, s6, 31
	v_mul_lo_u32 v2, v2, s10
	s_add_u32 s2, s2, s6
	s_addc_u32 s6, s7, s8
	s_ashr_i32 s7, s4, 31
	s_delay_alu instid0(SALU_CYCLE_1) | instskip(SKIP_1) | instid1(VALU_DEP_2)
	v_alignbit_b32 v5, s7, s4, 2
	s_lshr_b32 s4, s7, 2
	v_sub_nc_u32_e32 v2, v16, v2
	s_delay_alu instid0(VALU_DEP_1) | instskip(NEXT) | instid1(VALU_DEP_1)
	v_mad_u64_u32 v[3:4], null, v5, v2, 0
	v_mad_u64_u32 v[5:6], null, s4, v2, v[4:5]
	s_and_b32 s4, s5, -4
	s_delay_alu instid0(VALU_DEP_1) | instskip(NEXT) | instid1(VALU_DEP_1)
	v_mov_b32_e32 v4, v5
	v_lshlrev_b64 v[3:4], 2, v[3:4]
	s_delay_alu instid0(VALU_DEP_1) | instskip(NEXT) | instid1(VALU_DEP_2)
	v_add_co_u32 v3, vcc_lo, s2, v3
	v_add_co_ci_u32_e32 v4, vcc_lo, s6, v4, vcc_lo
	s_ashr_i32 s2, s5, 31
	s_delay_alu instid0(VALU_DEP_2) | instskip(NEXT) | instid1(VALU_DEP_2)
	v_add_co_u32 v11, vcc_lo, v3, v0
	v_add_co_ci_u32_e32 v12, vcc_lo, 0, v4, vcc_lo
	v_lshlrev_b32_e32 v0, 1, v17
	s_delay_alu instid0(VALU_DEP_3) | instskip(NEXT) | instid1(VALU_DEP_3)
	v_add_co_u32 v18, vcc_lo, v11, s4
	v_add_co_ci_u32_e32 v19, vcc_lo, s2, v12, vcc_lo
	s_clause 0x1
	global_load_b128 v[3:6], v[11:12], off
	global_load_b128 v[7:10], v[11:12], off offset:512
	s_load_b32 s2, s[0:1], 0x40
	v_add_lshl_u32 v15, v0, v15, 2
	s_clause 0x1
	global_load_b128 v[11:14], v[18:19], off
	global_load_b128 v[18:21], v[18:19], off offset:512
	s_mov_b32 s5, 0
	s_cmp_eq_u64 s[26:27], 0
	s_waitcnt vmcnt(3) lgkmcnt(0)
	v_fma_mixlo_f16 v23, v5, s2, 0
	v_fma_mixlo_f16 v22, v3, s2, 0
	s_waitcnt vmcnt(2)
	v_fma_mixlo_f16 v25, v9, s2, 0
	v_fma_mixlo_f16 v24, v7, s2, 0
	s_waitcnt vmcnt(1)
	v_fma_mixlo_f16 v3, v11, s2, 0
	v_fma_mixhi_f16 v23, v6, s2, 0
	v_fma_mixhi_f16 v22, v4, s2, 0
	v_fma_mixlo_f16 v4, v13, s2, 0
	s_waitcnt vmcnt(0)
	v_fma_mixlo_f16 v6, v20, s2, 0
	v_fma_mixlo_f16 v5, v18, s2, 0
	v_add_nc_u32_e32 v9, 0x4000, v15
	v_fma_mixhi_f16 v25, v10, s2, 0
	v_fma_mixhi_f16 v24, v8, s2, 0
	;; [unrolled: 1-line block ×6, first 2 shown]
	ds_store_2addr_b64 v9, v[22:23], v[24:25] offset0:64 offset1:96
	ds_store_2addr_b64 v9, v[3:4], v[5:6] offset0:128 offset1:160
	s_waitcnt lgkmcnt(0)
	s_barrier
	buffer_gl0_inv
	s_cbranch_scc1 .LBB30_4
; %bb.3:
	s_load_b32 s2, s[0:1], 0xd0
	s_waitcnt lgkmcnt(0)
	s_mul_i32 s2, s2, s33
	s_delay_alu instid0(SALU_CYCLE_1) | instskip(NEXT) | instid1(SALU_CYCLE_1)
	s_add_i32 s4, s2, s13
	s_lshl_b64 s[4:5], s[4:5], 2
	s_delay_alu instid0(SALU_CYCLE_1)
	s_add_u32 s4, s26, s4
	s_addc_u32 s5, s27, s5
	s_load_b32 s34, s[4:5], 0x0
.LBB30_4:
	v_lshlrev_b32_e32 v37, 2, v17
	v_mbcnt_lo_u32_b32 v38, -1, 0
	s_lshl_b32 s9, s14, 5
	s_waitcnt lgkmcnt(0)
	s_cmp_lt_i32 s9, s34
	s_cbranch_scc1 .LBB30_6
; %bb.5:
	v_mbcnt_lo_u32_b32 v3, -1, 0
	v_mov_b32_e32 v39, 32
	s_mov_b32 s2, 0
	s_mov_b32 s4, 0xfeffffff
	s_delay_alu instid0(VALU_DEP_2)
	v_xor_b32_e32 v44, 16, v3
	v_xor_b32_e32 v43, 8, v3
	v_xor_b32_e32 v42, 4, v3
	v_xor_b32_e32 v41, 2, v3
	v_xor_b32_e32 v40, 1, v3
	s_branch .LBB30_7
.LBB30_6:
	s_mov_b32 s2, -1
                                        ; implicit-def: $sgpr4
                                        ; implicit-def: $vgpr3
                                        ; implicit-def: $vgpr39
                                        ; implicit-def: $vgpr44
                                        ; implicit-def: $vgpr43
                                        ; implicit-def: $vgpr42
                                        ; implicit-def: $vgpr41
                                        ; implicit-def: $vgpr40
.LBB30_7:
	s_delay_alu instid0(SALU_CYCLE_1) | instskip(SKIP_2) | instid1(VALU_DEP_3)
	v_cndmask_b32_e64 v4, 0, 1, s2
	v_dual_mov_b32 v19, s4 :: v_dual_mov_b32 v68, s2
	v_dual_mov_b32 v71, s2 :: v_dual_mov_b32 v18, s4
	v_cmp_ne_u32_e32 vcc_lo, 1, v4
	v_dual_mov_b32 v45, s2 :: v_dual_mov_b32 v74, s2
	v_dual_mov_b32 v69, s2 :: v_dual_mov_b32 v60, s2
	;; [unrolled: 1-line block ×4, first 2 shown]
	s_cbranch_vccnz .LBB30_11
; %bb.8:
	s_clause 0x1
	s_load_b128 s[4:7], s[0:1], 0x98
	s_load_b64 s[16:17], s[0:1], 0x8c
	s_sub_i32 s2, 0, s35
	s_abs_i32 s8, s12
	s_mul_i32 s2, s2, s38
	s_ashr_i32 s27, s15, 31
	s_mul_hi_u32 s2, s38, s2
	s_ashr_i32 s26, s12, 31
	s_add_i32 s38, s38, s2
	s_ashr_i32 s2, s3, 1
	s_mul_hi_u32 s3, s8, s38
	s_ashr_i32 s38, s33, 31
	s_load_b64 s[22:23], s[0:1], 0xa8
	s_mul_i32 s39, s3, s35
	v_dual_mov_b32 v45, 0 :: v_dual_lshlrev_b32 v46, 2, v37
	v_lshl_add_u32 v52, v1, 10, 0x4200
	v_lshl_add_u32 v53, v1, 7, 0x6200
	v_mad_u64_u32 v[20:21], null, v2, s2, v[17:18]
	s_waitcnt lgkmcnt(0)
	s_ashr_i32 s13, s6, 2
	s_mul_i32 s5, s33, s5
	s_mul_hi_u32 s6, s33, s4
	s_ashr_i32 s15, s16, 2
	s_mul_i32 s16, s38, s4
	s_add_i32 s5, s6, s5
	s_mul_i32 s4, s33, s4
	s_add_i32 s5, s5, s16
	s_add_u32 s4, s18, s4
	s_addc_u32 s5, s19, s5
	s_sub_i32 s8, s8, s39
	s_xor_b32 s6, s26, s27
	s_add_i32 s16, s3, 1
	s_sub_i32 s18, s8, s35
	s_cmp_ge_u32 s8, s35
	s_mul_i32 s38, s38, s22
	s_cselect_b32 s3, s16, s3
	s_cselect_b32 s8, s18, s8
	s_add_i32 s16, s3, 1
	s_cmp_ge_u32 s8, s35
	s_mul_i32 s8, s33, s23
	s_cselect_b32 s3, s16, s3
	s_mul_hi_u32 s16, s33, s22
	s_xor_b32 s3, s3, s6
	v_mul_lo_u32 v3, s15, v1
	s_sub_i32 s3, s3, s6
	v_mul_lo_u32 v7, s13, v1
	s_mul_i32 s17, s3, s17
	s_mul_i32 s6, s33, s22
	s_ashr_i32 s19, s17, 31
	s_add_u32 s18, s4, s17
	s_addc_u32 s19, s5, s19
	s_add_i32 s4, s16, s8
	s_mul_i32 s3, s3, s7
	s_add_i32 s4, s4, s38
	s_add_u32 s5, s20, s6
	s_addc_u32 s4, s21, s4
	s_ashr_i32 s6, s3, 31
	s_add_u32 s20, s5, s3
	s_addc_u32 s21, s4, s6
	s_lshl_b32 s3, s15, 3
	s_lshl_b32 s4, s13, 3
	v_dual_mov_b32 v70, 0 :: v_dual_add_nc_u32 v5, s3, v3
	v_dual_mov_b32 v68, 0 :: v_dual_add_nc_u32 v13, s4, v7
	v_mad_u32_u24 v47, 0x210, v1, v46
	s_delay_alu instid0(VALU_DEP_3) | instskip(SKIP_1) | instid1(VALU_DEP_4)
	v_dual_mov_b32 v18, 0xfeffffff :: v_dual_add_nc_u32 v9, s3, v5
	v_lshl_add_u32 v54, v1, 9, v46
	v_add_nc_u32_e32 v1, s4, v13
	v_ashrrev_i32_e32 v4, 31, v3
	s_delay_alu instid0(VALU_DEP_4) | instskip(SKIP_1) | instid1(VALU_DEP_4)
	v_dual_mov_b32 v74, 0 :: v_dual_add_nc_u32 v11, s3, v9
	v_ashrrev_i32_e32 v6, 31, v5
	v_add_nc_u32_e32 v35, s4, v1
	v_ashrrev_i32_e32 v10, 31, v9
	s_delay_alu instid0(VALU_DEP_4)
	v_ashrrev_i32_e32 v12, 31, v11
	v_ashrrev_i32_e32 v8, 31, v7
	;; [unrolled: 1-line block ×5, first 2 shown]
	v_lshlrev_b32_e32 v59, 2, v0
	v_lshlrev_b64 v[21:22], 2, v[3:4]
	v_lshlrev_b64 v[23:24], 2, v[5:6]
	;; [unrolled: 1-line block ×8, first 2 shown]
	v_mul_u32_u24_e32 v48, 0x210, v17
	v_dual_mov_b32 v72, 0 :: v_dual_add_nc_u32 v49, 0x1080, v47
	v_dual_mov_b32 v39, 32 :: v_dual_add_nc_u32 v50, 0x2100, v47
	;; [unrolled: 1-line block ×3, first 2 shown]
	v_lshl_add_u32 v55, v0, 1, v53
	v_dual_mov_b32 v73, 0 :: v_dual_add_nc_u32 v56, 0x1000, v54
	v_add_nc_u32_e32 v57, 0x2000, v54
	v_dual_mov_b32 v75, 0 :: v_dual_add_nc_u32 v58, 0x3000, v54
	v_xor_b32_e32 v44, 16, v38
	v_xor_b32_e32 v43, 8, v38
	;; [unrolled: 1-line block ×5, first 2 shown]
	v_add_nc_u32_e32 v61, 0x800, v59
	v_dual_mov_b32 v69, 0 :: v_dual_add_nc_u32 v62, 0x1000, v59
	v_add_nc_u32_e32 v63, 0x1800, v59
	v_dual_mov_b32 v71, 0 :: v_dual_add_nc_u32 v64, 0x2000, v59
	v_add_nc_u32_e32 v65, 0x2800, v59
	v_add_nc_u32_e32 v66, 0x3000, v59
	;; [unrolled: 1-line block ×3, first 2 shown]
	v_mov_b32_e32 v19, 0xfeffffff
	s_add_u32 s16, s0, 0xd0
	s_addc_u32 s17, s1, 0
.LBB30_9:                               ; =>This Inner Loop Header: Depth=1
	s_mul_hi_i32 s3, s9, s15
	s_mul_i32 s2, s9, s15
	v_mov_b32_e32 v76, 0
	s_lshl_b64 s[2:3], s[2:3], 2
	v_dual_mov_b32 v77, 0 :: v_dual_add_nc_u32 v78, s9, v20
	s_add_u32 s4, s18, s2
	s_addc_u32 s5, s19, s3
	v_add_co_u32 v0, vcc_lo, s4, v23
	v_add_co_u32 v1, s2, s4, v25
	v_add_co_u32 v2, s3, s4, v27
	;; [unrolled: 1-line block ×3, first 2 shown]
	s_delay_alu instid0(VALU_DEP_1)
	v_add_co_ci_u32_e64 v5, s4, s5, v22, s4
	v_add_co_ci_u32_e32 v6, vcc_lo, s5, v24, vcc_lo
	v_add_co_ci_u32_e64 v7, vcc_lo, s5, v26, s2
	v_add_co_ci_u32_e64 v10, vcc_lo, s5, v28, s3
	v_add_co_u32 v4, vcc_lo, v0, v46
	v_add_co_u32 v0, s4, v3, v46
	v_add_co_u32 v8, s2, v1, v46
	v_add_co_ci_u32_e64 v1, s4, 0, v5, s4
	v_add_co_u32 v12, s3, v2, v46
	v_add_co_ci_u32_e32 v5, vcc_lo, 0, v6, vcc_lo
	v_add_co_ci_u32_e64 v9, vcc_lo, 0, v7, s2
	v_add_co_ci_u32_e64 v13, vcc_lo, 0, v10, s3
	s_clause 0x3
	global_load_b128 v[0:3], v[0:1], off
	global_load_b128 v[4:7], v[4:5], off
	;; [unrolled: 1-line block ×4, first 2 shown]
	v_ashrrev_i32_e32 v79, 31, v78
	v_cmp_gt_i32_e64 s3, 32, v42
	v_cmp_gt_i32_e64 s2, 32, v43
	;; [unrolled: 1-line block ×3, first 2 shown]
	s_mul_hi_i32 s7, s9, s13
	v_lshlrev_b64 v[78:79], 1, v[78:79]
	s_mul_i32 s6, s9, s13
	v_cmp_gt_i32_e64 s5, 32, v40
	v_dual_mov_b32 v80, v18 :: v_dual_mov_b32 v81, v71
	s_waitcnt vmcnt(3)
	ds_store_b128 v47, v[0:3]
	s_waitcnt vmcnt(2)
	ds_store_b128 v49, v[4:7]
	;; [unrolled: 2-line block ×4, first 2 shown]
	s_waitcnt lgkmcnt(0)
	s_barrier
	buffer_gl0_inv
	ds_load_b128 v[0:3], v48
	ds_load_b128 v[4:7], v52
	ds_load_b128 v[8:11], v52 offset:512
	s_waitcnt lgkmcnt(1)
	;;#ASMSTART
	v_dot2_f32_f16 v76, v0, v4, v76
	;;#ASMEND
	;;#ASMSTART
	v_dot2_f32_f16 v76, v1, v5, v76
	;;#ASMEND
	;;#ASMSTART
	v_dot2_f32_f16 v76, v2, v6, v76
	;;#ASMEND
	;;#ASMSTART
	v_dot2_f32_f16 v76, v3, v7, v76
	;;#ASMEND
	s_waitcnt lgkmcnt(0)
	;;#ASMSTART
	v_dot2_f32_f16 v77, v0, v8, v77
	;;#ASMEND
	;;#ASMSTART
	v_dot2_f32_f16 v77, v1, v9, v77
	;;#ASMEND
	;;#ASMSTART
	v_dot2_f32_f16 v77, v2, v10, v77
	;;#ASMEND
	;;#ASMSTART
	v_dot2_f32_f16 v77, v3, v11, v77
	;;#ASMEND
	ds_load_b128 v[0:3], v48 offset:16
	ds_load_b128 v[4:7], v52 offset:16
	ds_load_b128 v[8:11], v52 offset:528
	s_waitcnt lgkmcnt(1)
	;;#ASMSTART
	v_dot2_f32_f16 v76, v0, v4, v76
	;;#ASMEND
	;;#ASMSTART
	v_dot2_f32_f16 v76, v1, v5, v76
	;;#ASMEND
	;;#ASMSTART
	v_dot2_f32_f16 v76, v2, v6, v76
	;;#ASMEND
	;;#ASMSTART
	v_dot2_f32_f16 v76, v3, v7, v76
	;;#ASMEND
	s_waitcnt lgkmcnt(0)
	;;#ASMSTART
	v_dot2_f32_f16 v77, v0, v8, v77
	;;#ASMEND
	;;#ASMSTART
	v_dot2_f32_f16 v77, v1, v9, v77
	;;#ASMEND
	;;#ASMSTART
	v_dot2_f32_f16 v77, v2, v10, v77
	;;#ASMEND
	;;#ASMSTART
	v_dot2_f32_f16 v77, v3, v11, v77
	;;#ASMEND
	ds_load_b128 v[0:3], v48 offset:32
	ds_load_b128 v[4:7], v52 offset:32
	;; [unrolled: 29-line block ×31, first 2 shown]
	ds_load_b128 v[8:11], v52 offset:1008
	v_add_co_u32 v78, vcc_lo, s36, v78
	s_waitcnt lgkmcnt(1)
	;;#ASMSTART
	v_dot2_f32_f16 v76, v0, v4, v76
	;;#ASMEND
	v_add_co_ci_u32_e32 v79, vcc_lo, s37, v79, vcc_lo
	;;#ASMSTART
	v_dot2_f32_f16 v76, v1, v5, v76
	;;#ASMEND
	;;#ASMSTART
	v_dot2_f32_f16 v76, v2, v6, v76
	;;#ASMEND
	;;#ASMSTART
	v_dot2_f32_f16 v76, v3, v7, v76
	;;#ASMEND
	s_waitcnt lgkmcnt(0)
	;;#ASMSTART
	v_dot2_f32_f16 v77, v0, v8, v77
	;;#ASMEND
	;;#ASMSTART
	v_dot2_f32_f16 v77, v1, v9, v77
	;;#ASMEND
	;; [unrolled: 3-line block ×4, first 2 shown]
	flat_load_u16 v78, v[78:79]
	v_cmp_gt_i32_e32 vcc_lo, 32, v44
	v_cndmask_b32_e64 v2, v38, v42, s3
	v_cndmask_b32_e64 v1, v38, v43, s2
	s_lshl_b64 s[2:3], s[6:7], 2
	v_cndmask_b32_e64 v3, v38, v41, s4
	s_delay_alu instid0(VALU_DEP_3)
	v_dual_cndmask_b32 v0, v38, v44 :: v_dual_lshlrev_b32 v83, 2, v2
	s_add_u32 s4, s20, s2
	v_mov_b32_e32 v79, v19
	v_cndmask_b32_e64 v4, v38, v40, s5
	s_addc_u32 s5, s21, s3
	v_add_co_u32 v5, vcc_lo, s4, v31
	v_add_co_u32 v6, s2, s4, v33
	v_add_co_u32 v7, s3, s4, v35
	;; [unrolled: 1-line block ×3, first 2 shown]
	v_add_co_ci_u32_e32 v2, vcc_lo, s5, v32, vcc_lo
	v_dual_max_f32 v18, v79, v79 :: v_dual_max_f32 v19, v80, v80
	v_add_co_ci_u32_e64 v10, vcc_lo, s5, v36, s3
	v_add_co_u32 v12, s3, v7, v46
	s_waitcnt vmcnt(0) lgkmcnt(0)
	s_barrier
	buffer_gl0_inv
	v_cvt_f32_f16_e32 v78, v78
	v_lshlrev_b32_e32 v71, 2, v0
	v_lshlrev_b32_e32 v82, 2, v1
	v_add_co_ci_u32_e64 v1, s4, s5, v30, s4
	s_delay_alu instid0(VALU_DEP_4) | instskip(SKIP_2) | instid1(VALU_DEP_3)
	v_add_f32_e32 v77, v77, v78
	v_add_f32_e32 v76, v76, v78
	v_add_co_u32 v0, s4, v9, v46
	v_dual_add_f32 v86, 0x40051340, v77 :: v_dual_lshlrev_b32 v85, 2, v4
	s_delay_alu instid0(VALU_DEP_3) | instskip(SKIP_3) | instid1(VALU_DEP_4)
	v_add_f32_e32 v78, 0x40051340, v76
	v_lshlrev_b32_e32 v84, 2, v3
	v_add_co_ci_u32_e64 v3, vcc_lo, s5, v34, s2
	v_add_co_u32 v4, vcc_lo, v5, v46
	v_max_f32_e32 v19, v19, v78
	v_add_co_u32 v8, s2, v6, v46
	v_add_co_ci_u32_e64 v1, s4, 0, v1, s4
	v_add_co_ci_u32_e32 v5, vcc_lo, 0, v2, vcc_lo
	v_add_co_ci_u32_e64 v9, vcc_lo, 0, v3, s2
	v_add_co_ci_u32_e64 v13, vcc_lo, 0, v10, s3
	s_clause 0x3
	global_load_b128 v[0:3], v[0:1], off
	global_load_b128 v[4:7], v[4:5], off
	;; [unrolled: 1-line block ×4, first 2 shown]
	v_max_f32_e32 v18, v18, v86
	ds_bpermute_b32 v78, v71, v19
	ds_bpermute_b32 v71, v71, v18
	s_waitcnt lgkmcnt(0)
	v_dual_max_f32 v78, v78, v78 :: v_dual_max_f32 v71, v71, v71
	s_delay_alu instid0(VALU_DEP_1) | instskip(SKIP_4) | instid1(VALU_DEP_1)
	v_dual_max_f32 v19, v19, v78 :: v_dual_max_f32 v18, v18, v71
	ds_bpermute_b32 v71, v82, v19
	ds_bpermute_b32 v78, v82, v18
	s_waitcnt lgkmcnt(1)
	v_max_f32_e32 v71, v71, v71
	v_max_f32_e32 v19, v19, v71
	ds_bpermute_b32 v71, v83, v19
	s_waitcnt lgkmcnt(0)
	v_dual_max_f32 v78, v78, v78 :: v_dual_max_f32 v71, v71, v71
	s_delay_alu instid0(VALU_DEP_1) | instskip(SKIP_4) | instid1(VALU_DEP_1)
	v_dual_max_f32 v18, v18, v78 :: v_dual_max_f32 v19, v19, v71
	ds_bpermute_b32 v78, v83, v18
	ds_bpermute_b32 v71, v84, v19
	s_waitcnt lgkmcnt(0)
	v_dual_max_f32 v78, v78, v78 :: v_dual_max_f32 v71, v71, v71
	v_dual_max_f32 v18, v18, v78 :: v_dual_max_f32 v19, v19, v71
	ds_bpermute_b32 v78, v84, v18
	s_waitcnt lgkmcnt(0)
	v_max_f32_e32 v78, v78, v78
	s_delay_alu instid0(VALU_DEP_1)
	v_max_f32_e32 v71, v18, v78
	ds_bpermute_b32 v18, v85, v19
	ds_bpermute_b32 v78, v85, v71
	s_waitcnt lgkmcnt(1)
	v_max_f32_e32 v18, v18, v18
	s_waitcnt lgkmcnt(0)
	v_max_f32_e32 v78, v78, v78
	s_delay_alu instid0(VALU_DEP_2) | instskip(NEXT) | instid1(VALU_DEP_2)
	v_max_f32_e32 v18, v19, v18
	v_max_f32_e32 v19, v71, v78
	s_delay_alu instid0(VALU_DEP_2) | instskip(NEXT) | instid1(VALU_DEP_2)
	v_sub_f32_e32 v71, v80, v18
	v_sub_f32_e32 v77, v77, v19
	s_delay_alu instid0(VALU_DEP_1) | instskip(SKIP_3) | instid1(VALU_DEP_4)
	v_mul_f32_e32 v80, 0x3fb8aa3b, v77
	v_cmp_ngt_f32_e32 vcc_lo, 0xc2ce8ed0, v77
	v_cmp_nlt_f32_e64 s5, 0x42b17218, v77
	v_sub_f32_e32 v78, v79, v19
	v_fma_f32 v86, 0x3fb8aa3b, v77, -v80
	v_rndne_f32_e32 v87, v80
	s_delay_alu instid0(VALU_DEP_3) | instskip(SKIP_1) | instid1(VALU_DEP_3)
	v_cmp_ngt_f32_e64 s3, 0xc2ce8ed0, v78
	v_cmp_nlt_f32_e64 s7, 0x42b17218, v78
	v_dual_fmac_f32 v86, 0x32a5705f, v77 :: v_dual_sub_f32 v77, v80, v87
	v_sub_f32_e32 v76, v76, v18
	v_cvt_i32_f32_e32 v80, v87
	s_delay_alu instid0(VALU_DEP_2) | instskip(SKIP_3) | instid1(VALU_DEP_4)
	v_dual_add_f32 v77, v77, v86 :: v_dual_mul_f32 v82, 0x3fb8aa3b, v76
	v_mul_f32_e32 v79, 0x3fb8aa3b, v71
	v_cmp_ngt_f32_e64 s4, 0xc2ce8ed0, v71
	v_cmp_nlt_f32_e64 s8, 0x42b17218, v71
	v_exp_f32_e32 v77, v77
	v_rndne_f32_e32 v89, v82
	v_fma_f32 v84, 0x3fb8aa3b, v71, -v79
	v_rndne_f32_e32 v85, v79
	v_mul_f32_e32 v83, 0x3fb8aa3b, v78
	s_delay_alu instid0(VALU_DEP_2) | instskip(SKIP_1) | instid1(TRANS32_DEP_1)
	v_dual_fmac_f32 v84, 0x32a5705f, v71 :: v_dual_sub_f32 v71, v79, v85
	v_cvt_i32_f32_e32 v79, v85
	v_ldexp_f32 v77, v77, v80
	s_delay_alu instid0(VALU_DEP_3)
	v_add_f32_e32 v71, v71, v84
	v_fma_f32 v88, 0x3fb8aa3b, v76, -v82
	v_cmp_ngt_f32_e64 s2, 0xc2ce8ed0, v76
	v_cmp_nlt_f32_e64 s6, 0x42b17218, v76
	v_cndmask_b32_e32 v77, 0, v77, vcc_lo
	v_exp_f32_e32 v71, v71
	v_fmac_f32_e32 v88, 0x32a5705f, v76
	v_sub_f32_e32 v76, v82, v89
	v_fma_f32 v90, 0x3fb8aa3b, v78, -v83
	v_rndne_f32_e32 v91, v83
	v_cvt_i32_f32_e32 v82, v89
	v_cndmask_b32_e64 v77, 0x7f800000, v77, s5
	s_delay_alu instid0(VALU_DEP_4) | instskip(NEXT) | instid1(VALU_DEP_4)
	v_fmac_f32_e32 v90, 0x32a5705f, v78
	v_sub_f32_e32 v78, v83, v91
	v_cvt_i32_f32_e32 v83, v91
	v_ldexp_f32 v71, v71, v79
	v_cvt_f16_f32_e32 v79, v77
	s_delay_alu instid0(VALU_DEP_4) | instskip(NEXT) | instid1(VALU_DEP_3)
	v_add_f32_e32 v78, v78, v90
	v_cndmask_b32_e64 v71, 0, v71, s4
	s_delay_alu instid0(VALU_DEP_2) | instskip(NEXT) | instid1(VALU_DEP_1)
	v_exp_f32_e32 v78, v78
	v_cndmask_b32_e64 v71, 0x7f800000, v71, s8
	s_delay_alu instid0(VALU_DEP_1) | instskip(SKIP_4) | instid1(VALU_DEP_3)
	v_cvt_f16_f32_e64 v128, v71
	s_waitcnt_depctr 0xfff
	v_ldexp_f32 v78, v78, v83
	v_pk_mul_f16 v130, v128, v74 op_sel_hi:[0,1]
	v_pk_mul_f16 v131, v128, v75 op_sel_hi:[0,1]
	v_cndmask_b32_e64 v78, 0, v78, s3
	s_delay_alu instid0(VALU_DEP_1) | instskip(SKIP_1) | instid1(VALU_DEP_2)
	v_cndmask_b32_e64 v78, 0x7f800000, v78, s7
	v_add_f32_e32 v76, v76, v88
	v_cvt_f16_f32_e64 v129, v78
	s_delay_alu instid0(VALU_DEP_2) | instskip(NEXT) | instid1(VALU_DEP_1)
	v_exp_f32_e32 v76, v76
	v_pk_mul_f16 v132, v129, v73 op_sel_hi:[0,1]
	v_pk_mul_f16 v133, v129, v72 op_sel_hi:[0,1]
	;; [unrolled: 1-line block ×3, first 2 shown]
	s_waitcnt_depctr 0xfff
	v_ldexp_f32 v76, v76, v82
	s_delay_alu instid0(VALU_DEP_1) | instskip(NEXT) | instid1(VALU_DEP_1)
	v_cndmask_b32_e64 v76, 0, v76, s2
	v_cndmask_b32_e64 v76, 0x7f800000, v76, s6
	s_delay_alu instid0(VALU_DEP_1) | instskip(SKIP_2) | instid1(VALU_DEP_2)
	v_fma_f32 v45, v45, v71, v76
	v_cvt_f16_f32_e32 v76, v76
	v_mov_b32_e32 v71, v77
	v_pack_b32_f16 v74, v76, v79
	s_delay_alu instid0(VALU_DEP_2)
	v_fmac_f32_e32 v71, v81, v78
	ds_store_b32 v55, v74
	s_waitcnt vmcnt(3)
	ds_store_b128 v54, v[0:3]
	s_waitcnt vmcnt(2)
	ds_store_b128 v56, v[4:7]
	s_waitcnt vmcnt(1)
	ds_store_b128 v57, v[8:11]
	s_waitcnt vmcnt(0)
	ds_store_b128 v58, v[12:15]
	s_waitcnt lgkmcnt(0)
	s_barrier
	buffer_gl0_inv
	ds_load_2addr_b64 v[0:3], v59 offset1:32
	ds_load_b128 v[4:7], v53
	ds_load_b128 v[8:11], v53 offset:16
	ds_load_b128 v[12:15], v53 offset:32
	;; [unrolled: 1-line block ×3, first 2 shown]
	ds_load_2addr_b64 v[76:79], v59 offset0:64 offset1:96
	ds_load_2addr_b64 v[80:83], v59 offset0:128 offset1:160
	ds_load_2addr_b64 v[84:87], v59 offset0:192 offset1:224
	ds_load_2addr_b64 v[88:91], v61 offset1:32
	ds_load_2addr_b64 v[92:95], v61 offset0:64 offset1:96
	ds_load_2addr_b64 v[96:99], v61 offset0:128 offset1:160
	ds_load_2addr_b64 v[100:103], v61 offset0:192 offset1:224
	ds_load_2addr_b64 v[104:107], v62 offset1:32
	;; [unrolled: 4-line block ×3, first 2 shown]
	ds_load_2addr_b64 v[124:127], v63 offset0:64 offset1:96
	s_waitcnt lgkmcnt(16)
	v_pk_mul_f16 v134, v0, v4 op_sel_hi:[1,0]
	v_pk_mul_f16 v0, v0, v4 op_sel:[0,1]
	v_pk_fma_f16 v132, v1, v4, v132 op_sel:[0,1,0]
	v_pk_fma_f16 v135, v2, v4, v130 op_sel_hi:[1,0,1]
	v_pk_fma_f16 v133, v2, v4, v133 op_sel:[0,1,0]
	v_pk_fma_f16 v136, v3, v4, v131 op_sel_hi:[1,0,1]
	v_pk_fma_f16 v70, v3, v4, v70 op_sel:[0,1,0]
	v_pk_mul_f16 v4, v1, v4 op_sel_hi:[1,0]
	v_pk_fma_f16 v60, v129, v60, v0 op_sel_hi:[0,1,1]
	v_pk_fma_f16 v68, v128, v68, v134 op_sel_hi:[0,1,1]
	s_waitcnt lgkmcnt(12)
	v_pk_fma_f16 v133, v78, v5, v133 op_sel:[0,1,0]
	v_pk_fma_f16 v134, v79, v5, v136 op_sel_hi:[1,0,1]
	v_pk_fma_f16 v4, v128, v69, v4 op_sel_hi:[0,1,1]
	v_pk_fma_f16 v69, v77, v5, v132 op_sel:[0,1,0]
	v_pk_fma_f16 v132, v78, v5, v135 op_sel_hi:[1,0,1]
	v_pk_fma_f16 v70, v79, v5, v70 op_sel:[0,1,0]
	v_pk_fma_f16 v68, v76, v5, v68 op_sel_hi:[1,0,1]
	v_pk_fma_f16 v60, v76, v5, v60 op_sel:[0,1,0]
	v_pk_fma_f16 v4, v77, v5, v4 op_sel_hi:[1,0,1]
	s_waitcnt lgkmcnt(11)
	v_pk_fma_f16 v5, v81, v6, v69 op_sel:[0,1,0]
	v_pk_fma_f16 v69, v82, v6, v132 op_sel_hi:[1,0,1]
	v_pk_fma_f16 v132, v82, v6, v133 op_sel:[0,1,0]
	v_pk_fma_f16 v133, v83, v6, v134 op_sel_hi:[1,0,1]
	v_pk_fma_f16 v70, v83, v6, v70 op_sel:[0,1,0]
	v_pk_fma_f16 v68, v80, v6, v68 op_sel_hi:[1,0,1]
	v_pk_fma_f16 v60, v80, v6, v60 op_sel:[0,1,0]
	v_pk_fma_f16 v4, v81, v6, v4 op_sel_hi:[1,0,1]
	s_waitcnt lgkmcnt(10)
	v_pk_fma_f16 v134, v85, v7, v5 op_sel:[0,1,0]
	;; [unrolled: 9-line block ×8, first 2 shown]
	v_pk_fma_f16 v69, v110, v13, v69 op_sel_hi:[1,0,1]
	v_pk_fma_f16 v132, v110, v13, v132 op_sel:[0,1,0]
	v_pk_fma_f16 v133, v111, v13, v133 op_sel_hi:[1,0,1]
	v_pk_fma_f16 v70, v111, v13, v70 op_sel:[0,1,0]
	;; [unrolled: 2-line block ×3, first 2 shown]
	v_pk_fma_f16 v12, v109, v13, v12 op_sel_hi:[1,0,1]
	ds_load_2addr_b64 v[0:3], v63 offset0:128 offset1:160
	s_waitcnt lgkmcnt(4)
	v_pk_fma_f16 v13, v113, v14, v134 op_sel:[0,1,0]
	v_pk_fma_f16 v69, v114, v14, v69 op_sel_hi:[1,0,1]
	v_pk_fma_f16 v132, v114, v14, v132 op_sel:[0,1,0]
	v_pk_fma_f16 v133, v115, v14, v133 op_sel_hi:[1,0,1]
	;; [unrolled: 2-line block ×4, first 2 shown]
	ds_load_2addr_b64 v[128:131], v63 offset0:192 offset1:224
	s_waitcnt lgkmcnt(4)
	v_pk_fma_f16 v134, v117, v15, v13 op_sel:[0,1,0]
	v_pk_fma_f16 v69, v118, v15, v69 op_sel_hi:[1,0,1]
	v_pk_fma_f16 v132, v118, v15, v132 op_sel:[0,1,0]
	v_pk_fma_f16 v133, v119, v15, v133 op_sel_hi:[1,0,1]
	;; [unrolled: 2-line block ×4, first 2 shown]
	ds_load_2addr_b64 v[76:79], v64 offset1:32
	ds_load_2addr_b64 v[80:83], v64 offset0:64 offset1:96
	ds_load_2addr_b64 v[4:7], v64 offset0:128 offset1:160
	;; [unrolled: 1-line block ×3, first 2 shown]
	ds_load_b128 v[92:95], v53 offset:64
	ds_load_b128 v[96:99], v53 offset:80
	s_waitcnt lgkmcnt(9)
	v_pk_fma_f16 v134, v121, v72, v134 op_sel:[0,1,0]
	v_pk_fma_f16 v69, v122, v72, v69 op_sel_hi:[1,0,1]
	v_pk_fma_f16 v132, v122, v72, v132 op_sel:[0,1,0]
	v_pk_fma_f16 v133, v123, v72, v133 op_sel_hi:[1,0,1]
	v_pk_fma_f16 v70, v123, v72, v70 op_sel:[0,1,0]
	v_pk_fma_f16 v68, v120, v72, v68 op_sel_hi:[1,0,1]
	v_pk_fma_f16 v60, v120, v72, v60 op_sel:[0,1,0]
	v_pk_fma_f16 v72, v121, v72, v135 op_sel_hi:[1,0,1]
	s_waitcnt lgkmcnt(8)
	v_pk_fma_f16 v134, v125, v73, v134 op_sel:[0,1,0]
	v_pk_fma_f16 v69, v126, v73, v69 op_sel_hi:[1,0,1]
	v_pk_fma_f16 v132, v126, v73, v132 op_sel:[0,1,0]
	v_pk_fma_f16 v133, v127, v73, v133 op_sel_hi:[1,0,1]
	v_pk_fma_f16 v70, v127, v73, v70 op_sel:[0,1,0]
	v_pk_fma_f16 v68, v124, v73, v68 op_sel_hi:[1,0,1]
	v_pk_fma_f16 v60, v124, v73, v60 op_sel:[0,1,0]
	v_pk_fma_f16 v72, v125, v73, v72 op_sel_hi:[1,0,1]
	;; [unrolled: 9-line block ×4, first 2 shown]
	ds_load_2addr_b64 v[88:91], v65 offset1:32
	s_waitcnt lgkmcnt(2)
	v_pk_fma_f16 v134, v77, v92, v134 op_sel:[0,1,0]
	v_pk_fma_f16 v69, v78, v92, v69 op_sel_hi:[1,0,1]
	v_pk_fma_f16 v132, v78, v92, v132 op_sel:[0,1,0]
	v_pk_fma_f16 v133, v79, v92, v133 op_sel_hi:[1,0,1]
	;; [unrolled: 2-line block ×8, first 2 shown]
	ds_load_2addr_b64 v[8:11], v65 offset0:64 offset1:96
	ds_load_2addr_b64 v[100:103], v65 offset0:128 offset1:160
	v_pk_fma_f16 v81, v5, v94, v134 op_sel:[0,1,0]
	v_pk_fma_f16 v69, v6, v94, v69 op_sel_hi:[1,0,1]
	v_pk_fma_f16 v6, v6, v94, v82 op_sel:[0,1,0]
	v_pk_fma_f16 v82, v7, v94, v132 op_sel_hi:[1,0,1]
	;; [unrolled: 2-line block ×4, first 2 shown]
	ds_load_2addr_b64 v[104:107], v65 offset0:192 offset1:224
	v_pk_fma_f16 v60, v85, v95, v81 op_sel:[0,1,0]
	v_pk_fma_f16 v69, v86, v95, v69 op_sel_hi:[1,0,1]
	v_pk_fma_f16 v6, v86, v95, v6 op_sel:[0,1,0]
	v_pk_fma_f16 v70, v87, v95, v82 op_sel_hi:[1,0,1]
	;; [unrolled: 2-line block ×4, first 2 shown]
	ds_load_2addr_b64 v[108:111], v66 offset1:32
	ds_load_2addr_b64 v[112:115], v66 offset0:64 offset1:96
	ds_load_2addr_b64 v[12:15], v66 offset0:128 offset1:160
	;; [unrolled: 1-line block ×3, first 2 shown]
	ds_load_b128 v[124:127], v53 offset:96
	ds_load_b128 v[0:3], v53 offset:112
	s_waitcnt lgkmcnt(9)
	v_pk_fma_f16 v60, v89, v96, v60 op_sel:[0,1,0]
	v_pk_fma_f16 v69, v90, v96, v69 op_sel_hi:[1,0,1]
	v_pk_fma_f16 v6, v90, v96, v6 op_sel:[0,1,0]
	v_pk_fma_f16 v70, v91, v96, v70 op_sel_hi:[1,0,1]
	v_pk_fma_f16 v7, v91, v96, v7 op_sel:[0,1,0]
	v_pk_fma_f16 v68, v88, v96, v68 op_sel_hi:[1,0,1]
	v_pk_fma_f16 v4, v88, v96, v4 op_sel:[0,1,0]
	v_pk_fma_f16 v5, v89, v96, v5 op_sel_hi:[1,0,1]
	s_waitcnt lgkmcnt(8)
	v_pk_fma_f16 v60, v9, v97, v60 op_sel:[0,1,0]
	v_pk_fma_f16 v69, v10, v97, v69 op_sel_hi:[1,0,1]
	v_pk_fma_f16 v6, v10, v97, v6 op_sel:[0,1,0]
	v_pk_fma_f16 v10, v11, v97, v70 op_sel_hi:[1,0,1]
	v_pk_fma_f16 v7, v11, v97, v7 op_sel:[0,1,0]
	v_pk_fma_f16 v11, v8, v97, v68 op_sel_hi:[1,0,1]
	v_pk_fma_f16 v4, v8, v97, v4 op_sel:[0,1,0]
	v_pk_fma_f16 v5, v9, v97, v5 op_sel_hi:[1,0,1]
	;; [unrolled: 9-line block ×4, first 2 shown]
	ds_load_2addr_b64 v[120:123], v67 offset1:32
	s_waitcnt lgkmcnt(2)
	v_pk_fma_f16 v8, v109, v124, v8 op_sel:[0,1,0]
	v_pk_fma_f16 v9, v110, v124, v9 op_sel_hi:[1,0,1]
	v_pk_fma_f16 v6, v110, v124, v6 op_sel:[0,1,0]
	v_pk_fma_f16 v10, v111, v124, v10 op_sel_hi:[1,0,1]
	;; [unrolled: 2-line block ×8, first 2 shown]
	ds_load_2addr_b64 v[72:75], v67 offset0:64 offset1:96
	ds_load_2addr_b64 v[128:131], v67 offset0:128 offset1:160
	v_pk_fma_f16 v8, v13, v126, v8 op_sel:[0,1,0]
	v_pk_fma_f16 v9, v14, v126, v9 op_sel_hi:[1,0,1]
	v_pk_fma_f16 v6, v14, v126, v6 op_sel:[0,1,0]
	v_pk_fma_f16 v10, v15, v126, v10 op_sel_hi:[1,0,1]
	;; [unrolled: 2-line block ×4, first 2 shown]
	ds_load_2addr_b64 v[76:79], v67 offset0:192 offset1:224
	s_waitcnt lgkmcnt(0)
	s_barrier
	buffer_gl0_inv
	s_load_b32 s2, s[16:17], 0x4
	v_pk_fma_f16 v8, v117, v127, v8 op_sel:[0,1,0]
	v_pk_fma_f16 v9, v118, v127, v9 op_sel_hi:[1,0,1]
	v_pk_fma_f16 v6, v118, v127, v6 op_sel:[0,1,0]
	v_pk_fma_f16 v10, v119, v127, v10 op_sel_hi:[1,0,1]
	v_pk_fma_f16 v7, v119, v127, v7 op_sel:[0,1,0]
	v_pk_fma_f16 v11, v116, v127, v11 op_sel_hi:[1,0,1]
	v_pk_fma_f16 v4, v116, v127, v4 op_sel:[0,1,0]
	v_pk_fma_f16 v5, v117, v127, v5 op_sel_hi:[1,0,1]
	v_pk_fma_f16 v8, v121, v0, v8 op_sel:[0,1,0]
	v_pk_fma_f16 v9, v122, v0, v9 op_sel_hi:[1,0,1]
	v_pk_fma_f16 v6, v122, v0, v6 op_sel:[0,1,0]
	v_pk_fma_f16 v10, v123, v0, v10 op_sel_hi:[1,0,1]
	v_pk_fma_f16 v7, v123, v0, v7 op_sel:[0,1,0]
	v_pk_fma_f16 v11, v120, v0, v11 op_sel_hi:[1,0,1]
	v_pk_fma_f16 v4, v120, v0, v4 op_sel:[0,1,0]
	v_pk_fma_f16 v0, v121, v0, v5 op_sel_hi:[1,0,1]
	v_pk_fma_f16 v5, v73, v1, v8 op_sel:[0,1,0]
	v_pk_fma_f16 v8, v74, v1, v9 op_sel_hi:[1,0,1]
	v_pk_fma_f16 v6, v74, v1, v6 op_sel:[0,1,0]
	v_pk_fma_f16 v9, v75, v1, v10 op_sel_hi:[1,0,1]
	v_pk_fma_f16 v7, v75, v1, v7 op_sel:[0,1,0]
	v_pk_fma_f16 v10, v72, v1, v11 op_sel_hi:[1,0,1]
	v_pk_fma_f16 v4, v72, v1, v4 op_sel:[0,1,0]
	v_pk_fma_f16 v0, v73, v1, v0 op_sel_hi:[1,0,1]
	v_pk_fma_f16 v1, v129, v2, v5 op_sel:[0,1,0]
	v_pk_fma_f16 v5, v130, v2, v8 op_sel_hi:[1,0,1]
	v_pk_fma_f16 v6, v130, v2, v6 op_sel:[0,1,0]
	v_pk_fma_f16 v8, v131, v2, v9 op_sel_hi:[1,0,1]
	v_pk_fma_f16 v7, v131, v2, v7 op_sel:[0,1,0]
	v_pk_fma_f16 v9, v128, v2, v10 op_sel_hi:[1,0,1]
	v_pk_fma_f16 v4, v128, v2, v4 op_sel:[0,1,0]
	v_pk_fma_f16 v0, v129, v2, v0 op_sel_hi:[1,0,1]
	s_waitcnt lgkmcnt(0)
	s_lshl_b32 s2, s2, 5
	v_pk_fma_f16 v73, v77, v3, v1 op_sel:[0,1,0]
	v_pk_fma_f16 v74, v78, v3, v5 op_sel_hi:[1,0,1]
	v_pk_fma_f16 v72, v78, v3, v6 op_sel:[0,1,0]
	v_pk_fma_f16 v75, v79, v3, v8 op_sel_hi:[1,0,1]
	;; [unrolled: 2-line block ×4, first 2 shown]
	s_add_i32 s9, s2, s9
	s_delay_alu instid0(SALU_CYCLE_1)
	s_cmp_ge_i32 s9, s34
	s_cbranch_scc0 .LBB30_9
; %bb.10:
	v_mov_b32_e32 v3, v38
.LBB30_11:
	v_cmp_lt_i32_e32 vcc_lo, v44, v39
	s_cmp_lg_u64 s[24:25], 0
	s_cselect_b32 s2, -1, 0
	s_cmp_eq_u32 s14, 0
	v_cndmask_b32_e32 v0, v3, v44, vcc_lo
	v_cmp_lt_i32_e32 vcc_lo, v43, v39
	s_cselect_b32 s3, -1, 0
	s_delay_alu instid0(SALU_CYCLE_1)
	s_and_b32 s2, s3, s2
	v_cndmask_b32_e32 v2, v3, v43, vcc_lo
	v_cmp_lt_i32_e32 vcc_lo, v42, v39
	v_dual_cndmask_b32 v5, v3, v42 :: v_dual_lshlrev_b32 v0, 2, v0
	ds_bpermute_b32 v1, v0, v45
	ds_bpermute_b32 v0, v0, v71
	v_cmp_lt_i32_e32 vcc_lo, v41, v39
	v_lshlrev_b32_e32 v5, 2, v5
	s_waitcnt lgkmcnt(1)
	v_dual_add_f32 v1, v45, v1 :: v_dual_lshlrev_b32 v2, 2, v2
	s_waitcnt lgkmcnt(0)
	v_add_f32_e32 v0, v71, v0
	ds_bpermute_b32 v4, v2, v1
	s_waitcnt lgkmcnt(0)
	v_add_f32_e32 v1, v1, v4
	ds_bpermute_b32 v2, v2, v0
	;; [unrolled: 3-line block ×3, first 2 shown]
	ds_bpermute_b32 v4, v5, v0
	v_cndmask_b32_e32 v5, v3, v41, vcc_lo
	v_cmp_lt_i32_e32 vcc_lo, v40, v39
	s_delay_alu instid0(VALU_DEP_2)
	v_lshlrev_b32_e32 v5, 2, v5
	v_cndmask_b32_e32 v3, v3, v40, vcc_lo
	s_and_b32 vcc_lo, exec_lo, s2
	s_waitcnt lgkmcnt(0)
	v_dual_add_f32 v1, v1, v2 :: v_dual_add_f32 v0, v0, v4
	ds_bpermute_b32 v2, v5, v1
	ds_bpermute_b32 v4, v5, v0
	v_lshlrev_b32_e32 v3, 2, v3
	s_waitcnt lgkmcnt(0)
	v_dual_add_f32 v1, v1, v2 :: v_dual_add_f32 v2, v0, v4
	ds_bpermute_b32 v0, v3, v1
	ds_bpermute_b32 v3, v3, v2
	s_waitcnt lgkmcnt(0)
	v_dual_add_f32 v0, v1, v0 :: v_dual_add_f32 v1, v2, v3
	s_cbranch_vccz .LBB30_14
; %bb.12:
	s_ashr_i32 s13, s12, 31
	v_mov_b32_e32 v2, 0
	s_lshl_b64 s[2:3], s[12:13], 2
	v_max_f32_e32 v4, v18, v18
	s_add_u32 s2, s24, s2
	s_addc_u32 s3, s25, s3
	v_max_f32_e32 v6, v19, v19
	global_load_b64 v[2:3], v2, s[2:3]
	s_waitcnt vmcnt(0)
	v_max_f32_e32 v5, v2, v2
	s_delay_alu instid0(VALU_DEP_1) | instskip(NEXT) | instid1(VALU_DEP_1)
	v_dual_max_f32 v7, v3, v3 :: v_dual_max_f32 v4, v4, v5
	v_max_f32_e32 v5, v6, v7
	s_delay_alu instid0(VALU_DEP_1) | instskip(SKIP_1) | instid1(VALU_DEP_2)
	v_dual_sub_f32 v6, v18, v4 :: v_dual_sub_f32 v3, v3, v5
	v_dual_sub_f32 v2, v2, v4 :: v_dual_sub_f32 v7, v19, v5
	v_cmp_ngt_f32_e32 vcc_lo, 0xc2ce8ed0, v6
	s_delay_alu instid0(VALU_DEP_3) | instskip(NEXT) | instid1(VALU_DEP_3)
	v_mul_f32_e32 v11, 0x3fb8aa3b, v3
	v_dual_mul_f32 v9, 0x3fb8aa3b, v2 :: v_dual_mul_f32 v10, 0x3fb8aa3b, v7
	s_delay_alu instid0(VALU_DEP_2) | instskip(NEXT) | instid1(VALU_DEP_2)
	v_fma_f32 v20, 0x3fb8aa3b, v3, -v11
	v_rndne_f32_e32 v15, v9
	v_mul_f32_e32 v8, 0x3fb8aa3b, v6
	v_fma_f32 v14, 0x3fb8aa3b, v2, -v9
	v_rndne_f32_e32 v21, v11
	v_fmac_f32_e32 v20, 0x32a5705f, v3
	v_sub_f32_e32 v9, v9, v15
	v_fma_f32 v12, 0x3fb8aa3b, v6, -v8
	v_rndne_f32_e32 v13, v8
	v_dual_sub_f32 v11, v11, v21 :: v_dual_fmac_f32 v14, 0x32a5705f, v2
	v_fma_f32 v18, 0x3fb8aa3b, v7, -v10
	s_delay_alu instid0(VALU_DEP_4) | instskip(SKIP_1) | instid1(VALU_DEP_4)
	v_fmac_f32_e32 v12, 0x32a5705f, v6
	v_rndne_f32_e32 v19, v10
	v_dual_add_f32 v11, v11, v20 :: v_dual_sub_f32 v8, v8, v13
	s_delay_alu instid0(VALU_DEP_2) | instskip(NEXT) | instid1(VALU_DEP_2)
	v_dual_add_f32 v9, v9, v14 :: v_dual_sub_f32 v10, v10, v19
	v_exp_f32_e32 v11, v11
	s_delay_alu instid0(VALU_DEP_2) | instskip(NEXT) | instid1(VALU_DEP_2)
	v_add_f32_e32 v8, v8, v12
	v_exp_f32_e32 v9, v9
	v_cvt_i32_f32_e32 v12, v13
	v_cvt_i32_f32_e32 v13, v15
	;; [unrolled: 1-line block ×3, first 2 shown]
	v_exp_f32_e32 v8, v8
	v_cvt_i32_f32_e32 v15, v21
	s_waitcnt_depctr 0xfff
	v_ldexp_f32 v9, v9, v13
	v_ldexp_f32 v11, v11, v15
	;; [unrolled: 1-line block ×3, first 2 shown]
	s_delay_alu instid0(VALU_DEP_1) | instskip(SKIP_2) | instid1(VALU_DEP_1)
	v_cndmask_b32_e32 v8, 0, v8, vcc_lo
	v_cmp_ngt_f32_e32 vcc_lo, 0xc2ce8ed0, v2
	v_dual_fmac_f32 v18, 0x32a5705f, v7 :: v_dual_cndmask_b32 v9, 0, v9
	v_add_f32_e32 v10, v10, v18
	v_cmp_ngt_f32_e32 vcc_lo, 0xc2ce8ed0, v7
	v_dual_mov_b32 v19, v5 :: v_dual_mov_b32 v18, v4
	s_delay_alu instid0(VALU_DEP_3) | instskip(SKIP_2) | instid1(VALU_DEP_1)
	v_exp_f32_e32 v10, v10
	s_waitcnt_depctr 0xfff
	v_ldexp_f32 v10, v10, v14
	v_cndmask_b32_e32 v10, 0, v10, vcc_lo
	v_cmp_ngt_f32_e32 vcc_lo, 0xc2ce8ed0, v3
	v_cndmask_b32_e32 v11, 0, v11, vcc_lo
	v_cmp_nlt_f32_e32 vcc_lo, 0x42b17218, v6
	v_cndmask_b32_e32 v6, 0x7f800000, v8, vcc_lo
	v_cmp_nlt_f32_e32 vcc_lo, 0x42b17218, v2
	s_delay_alu instid0(VALU_DEP_2) | instskip(SKIP_2) | instid1(VALU_DEP_3)
	v_cvt_f16_f32_e32 v8, v6
	v_cndmask_b32_e32 v2, 0x7f800000, v9, vcc_lo
	v_cmp_nlt_f32_e32 vcc_lo, 0x42b17218, v7
	v_pk_mul_f16 v68, v8, v68 op_sel_hi:[0,1]
	s_delay_alu instid0(VALU_DEP_3)
	v_fmac_f32_e32 v2, v0, v6
	v_cndmask_b32_e32 v7, 0x7f800000, v10, vcc_lo
	v_cmp_nlt_f32_e32 vcc_lo, 0x42b17218, v3
	v_pk_mul_f16 v69, v8, v69 op_sel_hi:[0,1]
	v_pk_mul_f16 v74, v8, v74 op_sel_hi:[0,1]
	;; [unrolled: 1-line block ×3, first 2 shown]
	v_cvt_f16_f32_e32 v0, v7
	v_cndmask_b32_e32 v3, 0x7f800000, v11, vcc_lo
	s_delay_alu instid0(VALU_DEP_2) | instskip(NEXT) | instid1(VALU_DEP_2)
	v_pk_mul_f16 v60, v0, v60 op_sel_hi:[0,1]
	v_fmac_f32_e32 v3, v1, v7
	v_pk_mul_f16 v73, v0, v73 op_sel_hi:[0,1]
	v_pk_mul_f16 v72, v0, v72 op_sel_hi:[0,1]
	;; [unrolled: 1-line block ×3, first 2 shown]
	s_delay_alu instid0(VALU_DEP_4)
	v_dual_mov_b32 v0, v2 :: v_dual_mov_b32 v1, v3
	s_mov_b32 s2, exec_lo
	v_cmpx_gt_i32_e64 s10, v16
	s_cbranch_execnz .LBB30_15
.LBB30_13:
	s_nop 0
	s_sendmsg sendmsg(MSG_DEALLOC_VGPRS)
	s_endpgm
.LBB30_14:
	s_delay_alu instid0(VALU_DEP_1)
	v_dual_mov_b32 v3, v1 :: v_dual_mov_b32 v2, v0
	s_mov_b32 s2, exec_lo
	v_cmpx_gt_i32_e64 s10, v16
	s_cbranch_execz .LBB30_13
.LBB30_15:
	s_load_b32 s1, s[0:1], 0xd4
	v_mov_b32_e32 v6, 1.0
	s_waitcnt lgkmcnt(0)
	s_cmp_lg_u32 s1, 1
	s_cselect_b32 s3, -1, 0
	s_cmp_eq_u32 s1, 1
	s_cselect_b32 s2, -1, 0
	s_and_b32 vcc_lo, exec_lo, s3
	s_cbranch_vccnz .LBB30_17
; %bb.16:
	v_div_scale_f32 v4, null, v0, v0, 1.0
	s_delay_alu instid0(VALU_DEP_1) | instskip(SKIP_2) | instid1(VALU_DEP_1)
	v_rcp_f32_e32 v5, v4
	s_waitcnt_depctr 0xfff
	v_fma_f32 v6, -v4, v5, 1.0
	v_fmac_f32_e32 v5, v6, v5
	v_div_scale_f32 v6, vcc_lo, 1.0, v0, 1.0
	s_delay_alu instid0(VALU_DEP_1) | instskip(NEXT) | instid1(VALU_DEP_1)
	v_mul_f32_e32 v7, v6, v5
	v_fma_f32 v8, -v4, v7, v6
	s_delay_alu instid0(VALU_DEP_1) | instskip(NEXT) | instid1(VALU_DEP_1)
	v_fmac_f32_e32 v7, v8, v5
	v_fma_f32 v4, -v4, v7, v6
	s_delay_alu instid0(VALU_DEP_1) | instskip(NEXT) | instid1(VALU_DEP_1)
	v_div_fmas_f32 v4, v4, v5, v7
	v_div_fixup_f32 v6, v4, v0, 1.0
.LBB30_17:
	v_mad_u64_u32 v[4:5], null, s33, s10, v[16:17]
	v_lshrrev_b32_e32 v0, 16, v69
	v_lshrrev_b32_e32 v10, 16, v68
	;; [unrolled: 1-line block ×4, first 2 shown]
	v_cmp_eq_u32_e32 vcc_lo, 0, v17
	v_cvt_f32_f16_e32 v11, v68
	v_mad_u64_u32 v[7:8], null, v4, s11, s[12:13]
	v_cvt_f32_f16_e32 v8, v69
	v_mov_b32_e32 v16, 0
	v_cvt_f32_f16_e32 v17, v74
	v_cvt_f32_f16_e32 v0, v0
	;; [unrolled: 1-line block ×3, first 2 shown]
	v_mul_f32_e32 v9, v6, v8
	v_mad_u64_u32 v[4:5], null, s1, v7, s[14:15]
	v_cvt_f32_f16_e32 v5, v75
	v_cvt_f32_f16_e32 v8, v10
	v_mul_f32_e32 v7, v6, v11
	v_mul_f32_e32 v11, v6, v17
	;; [unrolled: 1-line block ×4, first 2 shown]
	v_lshl_add_u32 v15, v4, 8, v37
	v_cvt_f32_f16_e32 v5, v14
	v_mul_f32_e32 v8, v6, v8
	v_mul_f32_e32 v14, v6, v12
	s_delay_alu instid0(VALU_DEP_4) | instskip(NEXT) | instid1(VALU_DEP_4)
	v_lshlrev_b64 v[20:21], 2, v[15:16]
	v_dual_mul_f32 v12, v6, v5 :: v_dual_add_nc_u32 v15, 0x80, v15
	s_delay_alu instid0(VALU_DEP_1) | instskip(NEXT) | instid1(VALU_DEP_3)
	v_lshlrev_b64 v[5:6], 2, v[15:16]
	v_add_co_u32 v15, s0, s28, v20
	s_delay_alu instid0(VALU_DEP_1) | instskip(NEXT) | instid1(VALU_DEP_3)
	v_add_co_ci_u32_e64 v16, s0, s29, v21, s0
	v_add_co_u32 v5, s0, s28, v5
	s_delay_alu instid0(VALU_DEP_1)
	v_add_co_ci_u32_e64 v6, s0, s29, v6, s0
	s_and_b32 s0, vcc_lo, s3
	s_clause 0x1
	global_store_b128 v[15:16], v[7:10], off
	global_store_b128 v[5:6], v[11:14], off
	s_and_saveexec_b32 s3, s0
	s_cbranch_execz .LBB30_19
; %bb.18:
	v_ashrrev_i32_e32 v5, 31, v4
	v_mov_b32_e32 v7, v18
	v_mov_b32_e32 v8, v2
	s_delay_alu instid0(VALU_DEP_3) | instskip(NEXT) | instid1(VALU_DEP_1)
	v_lshlrev_b64 v[5:6], 3, v[4:5]
	v_add_co_u32 v5, vcc_lo, s30, v5
	s_delay_alu instid0(VALU_DEP_2)
	v_add_co_ci_u32_e32 v6, vcc_lo, s31, v6, vcc_lo
	global_store_b64 v[5:6], v[7:8], off
.LBB30_19:
	s_or_b32 exec_lo, exec_lo, s3
	v_mov_b32_e32 v2, 1.0
	s_and_not1_b32 vcc_lo, exec_lo, s2
	s_cbranch_vccnz .LBB30_21
; %bb.20:
	v_div_scale_f32 v0, null, v1, v1, 1.0
	s_delay_alu instid0(VALU_DEP_1) | instskip(SKIP_2) | instid1(VALU_DEP_1)
	v_rcp_f32_e32 v2, v0
	s_waitcnt_depctr 0xfff
	v_fma_f32 v5, -v0, v2, 1.0
	v_fmac_f32_e32 v2, v5, v2
	v_div_scale_f32 v5, vcc_lo, 1.0, v1, 1.0
	s_delay_alu instid0(VALU_DEP_1) | instskip(NEXT) | instid1(VALU_DEP_1)
	v_mul_f32_e32 v6, v5, v2
	v_fma_f32 v7, -v0, v6, v5
	s_delay_alu instid0(VALU_DEP_1) | instskip(NEXT) | instid1(VALU_DEP_1)
	v_fmac_f32_e32 v6, v7, v2
	v_fma_f32 v0, -v0, v6, v5
	s_delay_alu instid0(VALU_DEP_1) | instskip(NEXT) | instid1(VALU_DEP_1)
	v_div_fmas_f32 v0, v0, v2, v6
	v_div_fixup_f32 v2, v0, v1, 1.0
.LBB30_21:
	v_lshrrev_b32_e32 v1, 16, v73
	v_dual_mov_b32 v9, 0 :: v_dual_add_nc_u32 v0, s1, v4
	v_lshrrev_b32_e32 v4, 16, v60
	v_lshrrev_b32_e32 v14, 16, v72
	s_delay_alu instid0(VALU_DEP_4) | instskip(NEXT) | instid1(VALU_DEP_4)
	v_cvt_f32_f16_e32 v1, v1
	v_lshl_add_u32 v8, v0, 8, v37
	v_cvt_f32_f16_e32 v5, v73
	v_cvt_f32_f16_e32 v4, v4
	;; [unrolled: 1-line block ×3, first 2 shown]
	v_mul_f32_e32 v7, v2, v1
	v_lshlrev_b64 v[10:11], 2, v[8:9]
	v_add_nc_u32_e32 v8, 0x80, v8
	v_lshrrev_b32_e32 v1, 16, v70
	v_cvt_f32_f16_e32 v16, v14
	v_mul_f32_e32 v6, v2, v5
	v_mul_f32_e32 v5, v2, v4
	v_lshlrev_b64 v[14:15], 2, v[8:9]
	v_cvt_f32_f16_e32 v1, v1
	v_mul_f32_e32 v4, v2, v12
	v_add_co_u32 v12, vcc_lo, s28, v10
	v_cvt_f32_f16_e32 v10, v70
	v_cvt_f32_f16_e32 v17, v72
	v_add_co_ci_u32_e32 v13, vcc_lo, s29, v11, vcc_lo
	v_mul_f32_e32 v11, v2, v1
	v_add_co_u32 v1, vcc_lo, s28, v14
	v_mul_f32_e32 v10, v2, v10
	v_mul_f32_e32 v9, v2, v16
	;; [unrolled: 1-line block ×3, first 2 shown]
	v_add_co_ci_u32_e32 v2, vcc_lo, s29, v15, vcc_lo
	s_clause 0x1
	global_store_b128 v[12:13], v[4:7], off
	global_store_b128 v[1:2], v[8:11], off
	s_and_b32 exec_lo, exec_lo, s0
	s_cbranch_execz .LBB30_13
; %bb.22:
	v_ashrrev_i32_e32 v1, 31, v0
	v_mov_b32_e32 v2, v19
	s_delay_alu instid0(VALU_DEP_2) | instskip(NEXT) | instid1(VALU_DEP_1)
	v_lshlrev_b64 v[0:1], 3, v[0:1]
	v_add_co_u32 v0, vcc_lo, s30, v0
	s_delay_alu instid0(VALU_DEP_2)
	v_add_co_ci_u32_e32 v1, vcc_lo, s31, v1, vcc_lo
	global_store_b64 v[0:1], v[2:3], off
	s_nop 0
	s_sendmsg sendmsg(MSG_DEALLOC_VGPRS)
	s_endpgm
	.section	.rodata,"a",@progbits
	.p2align	6, 0x0
	.amdhsa_kernel _ZL15flash_attn_tileILi256ELi256ELi8ELi2ELb0EEvPKcS1_S1_S1_S1_PKiPfP15HIP_vector_typeIfLj2EEffffjfiS5_IjLj3EEiiiiiiiiiiiliiliiiiil
		.amdhsa_group_segment_fixed_size 26112
		.amdhsa_private_segment_fixed_size 0
		.amdhsa_kernarg_size 464
		.amdhsa_user_sgpr_count 13
		.amdhsa_user_sgpr_dispatch_ptr 0
		.amdhsa_user_sgpr_queue_ptr 0
		.amdhsa_user_sgpr_kernarg_segment_ptr 1
		.amdhsa_user_sgpr_dispatch_id 0
		.amdhsa_user_sgpr_private_segment_size 0
		.amdhsa_wavefront_size32 1
		.amdhsa_uses_dynamic_stack 0
		.amdhsa_enable_private_segment 0
		.amdhsa_system_sgpr_workgroup_id_x 1
		.amdhsa_system_sgpr_workgroup_id_y 1
		.amdhsa_system_sgpr_workgroup_id_z 1
		.amdhsa_system_sgpr_workgroup_info 0
		.amdhsa_system_vgpr_workitem_id 1
		.amdhsa_next_free_vgpr 137
		.amdhsa_next_free_sgpr 40
		.amdhsa_reserve_vcc 1
		.amdhsa_float_round_mode_32 0
		.amdhsa_float_round_mode_16_64 0
		.amdhsa_float_denorm_mode_32 3
		.amdhsa_float_denorm_mode_16_64 3
		.amdhsa_dx10_clamp 1
		.amdhsa_ieee_mode 1
		.amdhsa_fp16_overflow 0
		.amdhsa_workgroup_processor_mode 1
		.amdhsa_memory_ordered 1
		.amdhsa_forward_progress 0
		.amdhsa_shared_vgpr_count 0
		.amdhsa_exception_fp_ieee_invalid_op 0
		.amdhsa_exception_fp_denorm_src 0
		.amdhsa_exception_fp_ieee_div_zero 0
		.amdhsa_exception_fp_ieee_overflow 0
		.amdhsa_exception_fp_ieee_underflow 0
		.amdhsa_exception_fp_ieee_inexact 0
		.amdhsa_exception_int_div_zero 0
	.end_amdhsa_kernel
	.section	.text._ZL15flash_attn_tileILi256ELi256ELi8ELi2ELb0EEvPKcS1_S1_S1_S1_PKiPfP15HIP_vector_typeIfLj2EEffffjfiS5_IjLj3EEiiiiiiiiiiiliiliiiiil,"axG",@progbits,_ZL15flash_attn_tileILi256ELi256ELi8ELi2ELb0EEvPKcS1_S1_S1_S1_PKiPfP15HIP_vector_typeIfLj2EEffffjfiS5_IjLj3EEiiiiiiiiiiiliiliiiiil,comdat
.Lfunc_end30:
	.size	_ZL15flash_attn_tileILi256ELi256ELi8ELi2ELb0EEvPKcS1_S1_S1_S1_PKiPfP15HIP_vector_typeIfLj2EEffffjfiS5_IjLj3EEiiiiiiiiiiiliiliiiiil, .Lfunc_end30-_ZL15flash_attn_tileILi256ELi256ELi8ELi2ELb0EEvPKcS1_S1_S1_S1_PKiPfP15HIP_vector_typeIfLj2EEffffjfiS5_IjLj3EEiiiiiiiiiiiliiliiiiil
                                        ; -- End function
	.section	.AMDGPU.csdata,"",@progbits
; Kernel info:
; codeLenInByte = 13640
; NumSgprs: 42
; NumVgprs: 137
; ScratchSize: 0
; MemoryBound: 0
; FloatMode: 240
; IeeeMode: 1
; LDSByteSize: 26112 bytes/workgroup (compile time only)
; SGPRBlocks: 5
; VGPRBlocks: 17
; NumSGPRsForWavesPerEU: 42
; NumVGPRsForWavesPerEU: 137
; Occupancy: 10
; WaveLimiterHint : 1
; COMPUTE_PGM_RSRC2:SCRATCH_EN: 0
; COMPUTE_PGM_RSRC2:USER_SGPR: 13
; COMPUTE_PGM_RSRC2:TRAP_HANDLER: 0
; COMPUTE_PGM_RSRC2:TGID_X_EN: 1
; COMPUTE_PGM_RSRC2:TGID_Y_EN: 1
; COMPUTE_PGM_RSRC2:TGID_Z_EN: 1
; COMPUTE_PGM_RSRC2:TIDIG_COMP_CNT: 1
	.section	.text._ZL33flash_attn_stream_k_fixup_uniformILi256ELi8ELi2EEvPfPK15HIP_vector_typeIfLj2EEiiiiiiS1_IjLj3EES5_S5_,"axG",@progbits,_ZL33flash_attn_stream_k_fixup_uniformILi256ELi8ELi2EEvPfPK15HIP_vector_typeIfLj2EEiiiiiiS1_IjLj3EES5_S5_,comdat
	.globl	_ZL33flash_attn_stream_k_fixup_uniformILi256ELi8ELi2EEvPfPK15HIP_vector_typeIfLj2EEiiiiiiS1_IjLj3EES5_S5_ ; -- Begin function _ZL33flash_attn_stream_k_fixup_uniformILi256ELi8ELi2EEvPfPK15HIP_vector_typeIfLj2EEiiiiiiS1_IjLj3EES5_S5_
	.p2align	8
	.type	_ZL33flash_attn_stream_k_fixup_uniformILi256ELi8ELi2EEvPfPK15HIP_vector_typeIfLj2EEiiiiiiS1_IjLj3EES5_S5_,@function
_ZL33flash_attn_stream_k_fixup_uniformILi256ELi8ELi2EEvPfPK15HIP_vector_typeIfLj2EEiiiiiiS1_IjLj3EES5_S5_: ; @_ZL33flash_attn_stream_k_fixup_uniformILi256ELi8ELi2EEvPfPK15HIP_vector_typeIfLj2EEiiiiiiS1_IjLj3EES5_S5_
; %bb.0:
	s_clause 0x1
	s_load_b256 s[4:11], s[0:1], 0x1c
	s_load_b128 s[16:19], s[0:1], 0x3c
	s_waitcnt lgkmcnt(0)
	s_mul_hi_u32 s2, s7, s13
	s_delay_alu instid0(SALU_CYCLE_1) | instskip(NEXT) | instid1(SALU_CYCLE_1)
	s_add_i32 s2, s13, s2
	s_lshr_b32 s2, s2, s8
	s_delay_alu instid0(SALU_CYCLE_1) | instskip(SKIP_2) | instid1(SALU_CYCLE_1)
	s_mul_i32 s3, s2, s9
	s_load_b64 s[8:9], s[0:1], 0x10
	s_sub_i32 s7, s13, s3
	s_mul_hi_u32 s3, s7, s10
	s_delay_alu instid0(SALU_CYCLE_1) | instskip(NEXT) | instid1(SALU_CYCLE_1)
	s_add_i32 s3, s7, s3
	s_lshr_b32 s3, s3, s11
	s_delay_alu instid0(SALU_CYCLE_1) | instskip(NEXT) | instid1(SALU_CYCLE_1)
	s_mul_i32 s10, s3, s16
	s_sub_i32 s7, s7, s10
	s_delay_alu instid0(SALU_CYCLE_1) | instskip(NEXT) | instid1(SALU_CYCLE_1)
	s_mul_hi_u32 s10, s7, s17
	s_add_i32 s10, s7, s10
	s_delay_alu instid0(SALU_CYCLE_1) | instskip(NEXT) | instid1(SALU_CYCLE_1)
	s_lshr_b32 s10, s10, s18
	s_mul_i32 s11, s10, s19
	s_lshl_b32 s10, s10, 1
	s_sub_i32 s7, s7, s11
	s_delay_alu instid0(SALU_CYCLE_1) | instskip(NEXT) | instid1(SALU_CYCLE_1)
	s_lshl_b32 s11, s7, 3
	s_add_i32 s11, s11, s14
	s_waitcnt lgkmcnt(0)
	s_cmp_lt_i32 s11, s8
	s_cselect_b32 s11, -1, 0
	s_add_i32 s12, s10, s15
	s_delay_alu instid0(SALU_CYCLE_1) | instskip(SKIP_1) | instid1(SALU_CYCLE_1)
	s_cmp_lt_i32 s12, s5
	s_cselect_b32 s12, -1, 0
	s_and_b32 s11, s11, s12
	s_delay_alu instid0(SALU_CYCLE_1)
	s_and_not1_b32 vcc_lo, exec_lo, s11
	s_cbranch_vccnz .LBB31_6
; %bb.1:
	s_mul_i32 s2, s2, s8
	s_mul_i32 s5, s3, s5
	s_add_i32 s2, s2, s14
	s_mul_i32 s7, s9, s7
	s_mul_i32 s2, s2, s9
	s_lshl_b32 s7, s7, 11
	s_add_i32 s8, s2, s15
	s_load_b128 s[0:3], s[0:1], 0x0
	s_add_i32 s5, s8, s5
	s_lshl_b32 s9, s14, 1
	s_add_i32 s5, s5, s10
	s_delay_alu instid0(SALU_CYCLE_1) | instskip(NEXT) | instid1(SALU_CYCLE_1)
	s_lshl_b32 s5, s5, 8
	s_add_i32 s7, s7, s5
	s_mul_i32 s5, s13, s6
	v_or_b32_e32 v1, s7, v0
	s_add_i32 s10, s5, s6
	s_delay_alu instid0(VALU_DEP_1) | instskip(NEXT) | instid1(VALU_DEP_1)
	v_ashrrev_i32_e32 v2, 31, v1
	v_lshlrev_b64 v[1:2], 2, v[1:2]
	s_waitcnt lgkmcnt(0)
	s_delay_alu instid0(VALU_DEP_1) | instskip(NEXT) | instid1(VALU_DEP_2)
	v_add_co_u32 v1, vcc_lo, s0, v1
	v_add_co_ci_u32_e32 v2, vcc_lo, s1, v2, vcc_lo
	s_add_i32 s0, s9, s15
	s_lshl_b32 s1, s10, 4
	s_delay_alu instid0(SALU_CYCLE_1) | instskip(SKIP_2) | instid1(SALU_CYCLE_1)
	s_add_i32 s0, s0, s1
	global_load_b32 v5, v[1:2], off
	s_add_i32 s0, s0, -16
	s_ashr_i32 s1, s0, 31
	s_delay_alu instid0(SALU_CYCLE_1) | instskip(NEXT) | instid1(SALU_CYCLE_1)
	s_lshl_b64 s[0:1], s[0:1], 3
	s_add_u32 s0, s2, s0
	s_addc_u32 s1, s3, s1
	s_add_i32 s7, s10, -2
	s_load_b32 s11, s[0:1], 0x4
	s_cmp_lt_i32 s7, s5
	s_cbranch_scc1 .LBB31_4
; %bb.2:
	s_lshl_b32 s16, s4, 6
	s_load_b32 s12, s[0:1], 0x0
	s_ashr_i32 s17, s16, 31
	s_delay_alu instid0(SALU_CYCLE_1) | instskip(NEXT) | instid1(SALU_CYCLE_1)
	s_lshl_b64 s[0:1], s[16:17], 2
	s_add_u32 s7, s2, s0
	s_addc_u32 s8, s3, s1
	s_add_i32 s13, s13, 1
	s_lshl_b32 s0, s14, 9
	s_lshl_b32 s1, s15, 8
	s_mul_i32 s6, s6, s13
	s_add_i32 s0, s1, s0
	s_lshl_b32 s1, s6, 12
	s_delay_alu instid0(SALU_CYCLE_1)
	s_add_i32 s0, s0, s1
	s_lshl_b32 s1, s6, 4
	v_or_b32_e32 v0, s0, v0
	s_lshl_b32 s0, s4, 4
	s_add_i32 s1, s15, s1
	s_waitcnt lgkmcnt(0)
	v_mov_b32_e32 v6, s11
	s_add_i32 s0, s1, s0
	v_dual_mov_b32 v0, s12 :: v_dual_add_nc_u32 v3, 0xffffe000, v0
	s_add_i32 s0, s0, s9
	s_add_i32 s4, s10, -1
	s_sub_i32 s0, s0, 32
.LBB31_3:                               ; =>This Inner Loop Header: Depth=1
	s_delay_alu instid0(VALU_DEP_1) | instskip(SKIP_1) | instid1(SALU_CYCLE_1)
	v_ashrrev_i32_e32 v4, 31, v3
	s_ashr_i32 s1, s0, 31
	s_lshl_b64 s[10:11], s[0:1], 3
	s_delay_alu instid0(SALU_CYCLE_1) | instskip(NEXT) | instid1(VALU_DEP_1)
	s_add_u32 s10, s2, s10
	v_lshlrev_b64 v[7:8], 2, v[3:4]
	s_addc_u32 s11, s3, s11
	s_add_i32 s4, s4, -1
	s_add_i32 s0, s0, -16
	s_cmp_le_i32 s4, s5
	s_load_b64 s[10:11], s[10:11], 0x0
	v_add_co_u32 v7, vcc_lo, s7, v7
	v_add_co_ci_u32_e32 v8, vcc_lo, s8, v8, vcc_lo
	global_load_b32 v4, v[7:8], off
	v_max_f32_e32 v7, v0, v0
	s_waitcnt lgkmcnt(0)
	v_max_f32_e64 v8, s10, s10
	s_delay_alu instid0(VALU_DEP_1) | instskip(NEXT) | instid1(VALU_DEP_1)
	v_max_f32_e32 v7, v7, v8
	v_sub_f32_e32 v8, s10, v7
	s_delay_alu instid0(VALU_DEP_1) | instskip(NEXT) | instid1(VALU_DEP_1)
	v_dual_sub_f32 v0, v0, v7 :: v_dual_mul_f32 v9, 0x3fb8aa3b, v8
	v_fma_f32 v10, 0x3fb8aa3b, v8, -v9
	v_rndne_f32_e32 v11, v9
	s_delay_alu instid0(VALU_DEP_3) | instskip(NEXT) | instid1(VALU_DEP_2)
	v_mul_f32_e32 v12, 0x3fb8aa3b, v0
	v_dual_fmac_f32 v10, 0x32a5705f, v8 :: v_dual_sub_f32 v9, v9, v11
	v_cvt_i32_f32_e32 v11, v11
	s_delay_alu instid0(VALU_DEP_3) | instskip(SKIP_1) | instid1(VALU_DEP_4)
	v_fma_f32 v13, 0x3fb8aa3b, v0, -v12
	v_rndne_f32_e32 v14, v12
	v_add_f32_e32 v9, v9, v10
	v_cmp_ngt_f32_e32 vcc_lo, 0xc2ce8ed0, v8
	s_delay_alu instid0(VALU_DEP_3) | instskip(NEXT) | instid1(VALU_DEP_3)
	v_sub_f32_e32 v10, v12, v14
	v_exp_f32_e32 v9, v9
	s_waitcnt_depctr 0xfff
	v_ldexp_f32 v9, v9, v11
	v_cvt_i32_f32_e32 v11, v14
	s_delay_alu instid0(VALU_DEP_2) | instskip(SKIP_1) | instid1(VALU_DEP_2)
	v_cndmask_b32_e32 v9, 0, v9, vcc_lo
	v_cmp_nlt_f32_e32 vcc_lo, 0x42b17218, v8
	v_cndmask_b32_e32 v9, 0x7f800000, v9, vcc_lo
	v_cmp_ngt_f32_e32 vcc_lo, 0xc2ce8ed0, v0
	v_fmac_f32_e32 v13, 0x32a5705f, v0
	s_delay_alu instid0(VALU_DEP_1) | instskip(NEXT) | instid1(VALU_DEP_1)
	v_add_f32_e32 v10, v10, v13
	v_exp_f32_e32 v10, v10
	s_waitcnt_depctr 0xfff
	v_ldexp_f32 v10, v10, v11
	s_delay_alu instid0(VALU_DEP_1)
	v_dual_mov_b32 v11, v6 :: v_dual_cndmask_b32 v10, 0, v10
	v_cmp_le_f32_e32 vcc_lo, 0xc1a00000, v8
	s_waitcnt vmcnt(1)
	v_dual_cndmask_b32 v8, 0, v9 :: v_dual_mov_b32 v9, v5
	v_cmp_nlt_f32_e32 vcc_lo, 0x42b17218, v0
	v_cndmask_b32_e32 v5, 0x7f800000, v10, vcc_lo
	s_delay_alu instid0(VALU_DEP_3) | instskip(SKIP_2) | instid1(VALU_DEP_3)
	v_mul_f32_e32 v10, s11, v8
	v_cmp_le_f32_e32 vcc_lo, 0xc1a00000, v0
	v_mov_b32_e32 v0, v7
	v_mov_b32_e32 v6, v10
	s_waitcnt vmcnt(0)
	v_dual_cndmask_b32 v12, 0, v5 :: v_dual_mul_f32 v5, v4, v8
	s_delay_alu instid0(VALU_DEP_1) | instskip(NEXT) | instid1(VALU_DEP_2)
	v_dual_fmac_f32 v6, v11, v12 :: v_dual_add_nc_u32 v3, 0xfffff000, v3
	v_fmac_f32_e32 v5, v9, v12
	s_cbranch_scc0 .LBB31_3
	s_branch .LBB31_5
.LBB31_4:
	s_waitcnt lgkmcnt(0)
	v_mov_b32_e32 v6, s11
.LBB31_5:
	s_waitcnt vmcnt(0)
	s_delay_alu instid0(VALU_DEP_1) | instskip(NEXT) | instid1(VALU_DEP_1)
	v_div_scale_f32 v0, null, v6, v6, v5
	v_rcp_f32_e32 v3, v0
	s_waitcnt_depctr 0xfff
	v_fma_f32 v4, -v0, v3, 1.0
	s_delay_alu instid0(VALU_DEP_1) | instskip(SKIP_1) | instid1(VALU_DEP_1)
	v_fmac_f32_e32 v3, v4, v3
	v_div_scale_f32 v4, vcc_lo, v5, v6, v5
	v_mul_f32_e32 v7, v4, v3
	s_delay_alu instid0(VALU_DEP_1) | instskip(NEXT) | instid1(VALU_DEP_1)
	v_fma_f32 v8, -v0, v7, v4
	v_fmac_f32_e32 v7, v8, v3
	s_delay_alu instid0(VALU_DEP_1) | instskip(NEXT) | instid1(VALU_DEP_1)
	v_fma_f32 v0, -v0, v7, v4
	v_div_fmas_f32 v0, v0, v3, v7
	s_delay_alu instid0(VALU_DEP_1)
	v_div_fixup_f32 v0, v0, v6, v5
	global_store_b32 v[1:2], v0, off
.LBB31_6:
	s_nop 0
	s_sendmsg sendmsg(MSG_DEALLOC_VGPRS)
	s_endpgm
	.section	.rodata,"a",@progbits
	.p2align	6, 0x0
	.amdhsa_kernel _ZL33flash_attn_stream_k_fixup_uniformILi256ELi8ELi2EEvPfPK15HIP_vector_typeIfLj2EEiiiiiiS1_IjLj3EES5_S5_
		.amdhsa_group_segment_fixed_size 0
		.amdhsa_private_segment_fixed_size 0
		.amdhsa_kernarg_size 76
		.amdhsa_user_sgpr_count 13
		.amdhsa_user_sgpr_dispatch_ptr 0
		.amdhsa_user_sgpr_queue_ptr 0
		.amdhsa_user_sgpr_kernarg_segment_ptr 1
		.amdhsa_user_sgpr_dispatch_id 0
		.amdhsa_user_sgpr_private_segment_size 0
		.amdhsa_wavefront_size32 1
		.amdhsa_uses_dynamic_stack 0
		.amdhsa_enable_private_segment 0
		.amdhsa_system_sgpr_workgroup_id_x 1
		.amdhsa_system_sgpr_workgroup_id_y 1
		.amdhsa_system_sgpr_workgroup_id_z 1
		.amdhsa_system_sgpr_workgroup_info 0
		.amdhsa_system_vgpr_workitem_id 0
		.amdhsa_next_free_vgpr 15
		.amdhsa_next_free_sgpr 20
		.amdhsa_reserve_vcc 1
		.amdhsa_float_round_mode_32 0
		.amdhsa_float_round_mode_16_64 0
		.amdhsa_float_denorm_mode_32 3
		.amdhsa_float_denorm_mode_16_64 3
		.amdhsa_dx10_clamp 1
		.amdhsa_ieee_mode 1
		.amdhsa_fp16_overflow 0
		.amdhsa_workgroup_processor_mode 1
		.amdhsa_memory_ordered 1
		.amdhsa_forward_progress 0
		.amdhsa_shared_vgpr_count 0
		.amdhsa_exception_fp_ieee_invalid_op 0
		.amdhsa_exception_fp_denorm_src 0
		.amdhsa_exception_fp_ieee_div_zero 0
		.amdhsa_exception_fp_ieee_overflow 0
		.amdhsa_exception_fp_ieee_underflow 0
		.amdhsa_exception_fp_ieee_inexact 0
		.amdhsa_exception_int_div_zero 0
	.end_amdhsa_kernel
	.section	.text._ZL33flash_attn_stream_k_fixup_uniformILi256ELi8ELi2EEvPfPK15HIP_vector_typeIfLj2EEiiiiiiS1_IjLj3EES5_S5_,"axG",@progbits,_ZL33flash_attn_stream_k_fixup_uniformILi256ELi8ELi2EEvPfPK15HIP_vector_typeIfLj2EEiiiiiiS1_IjLj3EES5_S5_,comdat
.Lfunc_end31:
	.size	_ZL33flash_attn_stream_k_fixup_uniformILi256ELi8ELi2EEvPfPK15HIP_vector_typeIfLj2EEiiiiiiS1_IjLj3EES5_S5_, .Lfunc_end31-_ZL33flash_attn_stream_k_fixup_uniformILi256ELi8ELi2EEvPfPK15HIP_vector_typeIfLj2EEiiiiiiS1_IjLj3EES5_S5_
                                        ; -- End function
	.section	.AMDGPU.csdata,"",@progbits
; Kernel info:
; codeLenInByte = 996
; NumSgprs: 22
; NumVgprs: 15
; ScratchSize: 0
; MemoryBound: 0
; FloatMode: 240
; IeeeMode: 1
; LDSByteSize: 0 bytes/workgroup (compile time only)
; SGPRBlocks: 2
; VGPRBlocks: 1
; NumSGPRsForWavesPerEU: 22
; NumVGPRsForWavesPerEU: 15
; Occupancy: 16
; WaveLimiterHint : 0
; COMPUTE_PGM_RSRC2:SCRATCH_EN: 0
; COMPUTE_PGM_RSRC2:USER_SGPR: 13
; COMPUTE_PGM_RSRC2:TRAP_HANDLER: 0
; COMPUTE_PGM_RSRC2:TGID_X_EN: 1
; COMPUTE_PGM_RSRC2:TGID_Y_EN: 1
; COMPUTE_PGM_RSRC2:TGID_Z_EN: 1
; COMPUTE_PGM_RSRC2:TIDIG_COMP_CNT: 0
	.section	.text._ZL33flash_attn_stream_k_fixup_generalILi256ELi8ELi2EEvPfPK15HIP_vector_typeIfLj2EEiiiiS1_IjLj3EES5_S5_S5_,"axG",@progbits,_ZL33flash_attn_stream_k_fixup_generalILi256ELi8ELi2EEvPfPK15HIP_vector_typeIfLj2EEiiiiS1_IjLj3EES5_S5_S5_,comdat
	.globl	_ZL33flash_attn_stream_k_fixup_generalILi256ELi8ELi2EEvPfPK15HIP_vector_typeIfLj2EEiiiiS1_IjLj3EES5_S5_S5_ ; -- Begin function _ZL33flash_attn_stream_k_fixup_generalILi256ELi8ELi2EEvPfPK15HIP_vector_typeIfLj2EEiiiiS1_IjLj3EES5_S5_S5_
	.p2align	8
	.type	_ZL33flash_attn_stream_k_fixup_generalILi256ELi8ELi2EEvPfPK15HIP_vector_typeIfLj2EEiiiiS1_IjLj3EES5_S5_S5_,@function
_ZL33flash_attn_stream_k_fixup_generalILi256ELi8ELi2EEvPfPK15HIP_vector_typeIfLj2EEiiiiS1_IjLj3EES5_S5_S5_: ; @_ZL33flash_attn_stream_k_fixup_generalILi256ELi8ELi2EEvPfPK15HIP_vector_typeIfLj2EEiiiiS1_IjLj3EES5_S5_S5_
; %bb.0:
	s_clause 0x1
	s_load_b128 s[4:7], s[0:1], 0x10
	s_load_b32 s20, s[0:1], 0x50
	s_mov_b32 s2, 0
	s_waitcnt lgkmcnt(0)
	s_mul_hi_i32 s3, s7, s13
	s_mul_i32 s12, s7, s13
	s_cmp_lg_u64 s[2:3], 0
	s_cbranch_scc0 .LBB32_21
; %bb.1:
	v_cvt_f32_ubyte0_e32 v1, 0
	v_cvt_f32_u32_e32 v2, s20
	s_sub_u32 s10, 0, s20
	s_subb_u32 s11, 0, 0
	s_delay_alu instid0(VALU_DEP_1) | instskip(NEXT) | instid1(VALU_DEP_1)
	v_fmamk_f32 v1, v1, 0x4f800000, v2
	v_rcp_f32_e32 v1, v1
	s_waitcnt_depctr 0xfff
	v_mul_f32_e32 v1, 0x5f7ffffc, v1
	s_delay_alu instid0(VALU_DEP_1) | instskip(NEXT) | instid1(VALU_DEP_1)
	v_mul_f32_e32 v2, 0x2f800000, v1
	v_trunc_f32_e32 v2, v2
	s_delay_alu instid0(VALU_DEP_1) | instskip(SKIP_1) | instid1(VALU_DEP_2)
	v_fmamk_f32 v1, v2, 0xcf800000, v1
	v_cvt_u32_f32_e32 v2, v2
	v_cvt_u32_f32_e32 v1, v1
	s_delay_alu instid0(VALU_DEP_2) | instskip(NEXT) | instid1(VALU_DEP_2)
	v_readfirstlane_b32 s8, v2
	v_readfirstlane_b32 s9, v1
	s_delay_alu instid0(VALU_DEP_2) | instskip(NEXT) | instid1(VALU_DEP_1)
	s_mul_i32 s16, s10, s8
	s_mul_hi_u32 s18, s10, s9
	s_mul_i32 s17, s11, s9
	s_add_i32 s16, s18, s16
	s_mul_i32 s19, s10, s9
	s_add_i32 s16, s16, s17
	s_mul_hi_u32 s18, s9, s19
	s_mul_hi_u32 s21, s8, s19
	s_mul_i32 s17, s8, s19
	s_mul_hi_u32 s19, s9, s16
	s_mul_i32 s9, s9, s16
	s_mul_hi_u32 s22, s8, s16
	s_add_u32 s9, s18, s9
	s_addc_u32 s18, 0, s19
	s_add_u32 s9, s9, s17
	s_mul_i32 s16, s8, s16
	s_addc_u32 s9, s18, s21
	s_addc_u32 s17, s22, 0
	s_add_u32 s9, s9, s16
	s_addc_u32 s16, 0, s17
	v_add_co_u32 v1, s9, v1, s9
	s_delay_alu instid0(VALU_DEP_1) | instskip(SKIP_1) | instid1(VALU_DEP_1)
	s_cmp_lg_u32 s9, 0
	s_addc_u32 s8, s8, s16
	v_readfirstlane_b32 s9, v1
	s_mul_i32 s16, s10, s8
	s_delay_alu instid0(VALU_DEP_1)
	s_mul_hi_u32 s17, s10, s9
	s_mul_i32 s11, s11, s9
	s_add_i32 s16, s17, s16
	s_mul_i32 s10, s10, s9
	s_add_i32 s16, s16, s11
	s_mul_hi_u32 s17, s8, s10
	s_mul_i32 s18, s8, s10
	s_mul_hi_u32 s10, s9, s10
	s_mul_hi_u32 s19, s9, s16
	s_mul_i32 s9, s9, s16
	s_mul_hi_u32 s11, s8, s16
	s_add_u32 s9, s10, s9
	s_addc_u32 s10, 0, s19
	s_add_u32 s9, s9, s18
	s_mul_i32 s16, s8, s16
	s_addc_u32 s9, s10, s17
	s_addc_u32 s10, s11, 0
	s_add_u32 s9, s9, s16
	s_addc_u32 s10, 0, s10
	v_add_co_u32 v1, s9, v1, s9
	s_delay_alu instid0(VALU_DEP_1) | instskip(SKIP_2) | instid1(SALU_CYCLE_1)
	s_cmp_lg_u32 s9, 0
	s_addc_u32 s16, s8, s10
	s_ashr_i32 s8, s3, 31
	s_add_u32 s10, s12, s8
	s_addc_u32 s11, s3, s8
	v_readfirstlane_b32 s3, v1
	s_mov_b32 s9, s8
	s_delay_alu instid0(SALU_CYCLE_1) | instskip(NEXT) | instid1(SALU_CYCLE_1)
	s_xor_b64 s[10:11], s[10:11], s[8:9]
	s_mul_i32 s18, s10, s16
	s_delay_alu instid0(VALU_DEP_1)
	s_mul_hi_u32 s19, s10, s3
	s_mul_hi_u32 s17, s10, s16
	;; [unrolled: 1-line block ×3, first 2 shown]
	s_mul_i32 s3, s11, s3
	s_add_u32 s18, s19, s18
	s_addc_u32 s17, 0, s17
	s_mul_hi_u32 s21, s11, s16
	s_add_u32 s3, s18, s3
	s_mul_i32 s16, s11, s16
	s_addc_u32 s3, s17, s22
	s_addc_u32 s17, s21, 0
	s_add_u32 s3, s3, s16
	s_addc_u32 s16, 0, s17
	s_mul_i32 s18, s20, s3
	s_add_u32 s17, s3, 1
	v_sub_co_u32 v1, s10, s10, s18
	s_mul_hi_u32 s18, s20, s3
	s_addc_u32 s19, s16, 0
	s_mul_i32 s21, s20, s16
	s_delay_alu instid0(VALU_DEP_1)
	v_sub_co_u32 v2, s22, v1, s20
	s_add_u32 s23, s3, 2
	s_addc_u32 s24, s16, 0
	s_add_i32 s18, s18, s21
	s_cmp_lg_u32 s10, 0
	v_readfirstlane_b32 s10, v2
	s_subb_u32 s11, s11, s18
	s_cmp_lg_u32 s22, 0
	s_subb_u32 s18, s11, 0
	s_delay_alu instid0(VALU_DEP_1) | instskip(SKIP_4) | instid1(SALU_CYCLE_1)
	s_cmp_ge_u32 s10, s20
	s_cselect_b32 s10, -1, 0
	s_cmp_eq_u32 s18, 0
	v_readfirstlane_b32 s18, v1
	s_cselect_b32 s10, s10, -1
	s_cmp_lg_u32 s10, 0
	s_cselect_b32 s10, s23, s17
	s_cselect_b32 s17, s24, s19
	s_cmp_ge_u32 s18, s20
	s_cselect_b32 s18, -1, 0
	s_cmp_eq_u32 s11, 0
	s_cselect_b32 s11, s18, -1
	s_delay_alu instid0(SALU_CYCLE_1) | instskip(SKIP_2) | instid1(SALU_CYCLE_1)
	s_cmp_lg_u32 s11, 0
	s_cselect_b32 s11, s17, s16
	s_cselect_b32 s10, s10, s3
	s_xor_b64 s[10:11], s[10:11], s[8:9]
	s_delay_alu instid0(SALU_CYCLE_1)
	s_sub_u32 s16, s10, s8
	s_load_b128 s[8:11], s[0:1], 0x44
	s_and_not1_b32 vcc_lo, exec_lo, s2
	s_cbranch_vccnz .LBB32_3
.LBB32_2:
	v_cvt_f32_u32_e32 v1, s20
	s_sub_i32 s3, 0, s20
	s_delay_alu instid0(VALU_DEP_1) | instskip(SKIP_2) | instid1(VALU_DEP_1)
	v_rcp_iflag_f32_e32 v1, v1
	s_waitcnt_depctr 0xfff
	v_mul_f32_e32 v1, 0x4f7ffffe, v1
	v_cvt_u32_f32_e32 v1, v1
	s_delay_alu instid0(VALU_DEP_1) | instskip(NEXT) | instid1(VALU_DEP_1)
	v_readfirstlane_b32 s2, v1
	s_mul_i32 s3, s3, s2
	s_delay_alu instid0(SALU_CYCLE_1) | instskip(NEXT) | instid1(SALU_CYCLE_1)
	s_mul_hi_u32 s3, s2, s3
	s_add_i32 s2, s2, s3
	s_delay_alu instid0(SALU_CYCLE_1) | instskip(NEXT) | instid1(SALU_CYCLE_1)
	s_mul_hi_u32 s2, s12, s2
	s_mul_i32 s3, s2, s20
	s_waitcnt lgkmcnt(0)
	s_add_i32 s11, s2, 1
	s_sub_i32 s3, s12, s3
	s_delay_alu instid0(SALU_CYCLE_1)
	s_sub_i32 s12, s3, s20
	s_cmp_ge_u32 s3, s20
	s_cselect_b32 s2, s11, s2
	s_cselect_b32 s3, s12, s3
	s_add_i32 s11, s2, 1
	s_cmp_ge_u32 s3, s20
	s_cselect_b32 s16, s11, s2
.LBB32_3:
	s_waitcnt lgkmcnt(0)
	s_add_i32 s11, s13, 1
	s_mov_b32 s2, 0
	s_mul_hi_i32 s3, s7, s11
	s_mul_i32 s11, s7, s11
	s_cmp_lg_u64 s[2:3], 0
	s_cbranch_scc0 .LBB32_22
; %bb.4:
	v_cvt_f32_ubyte0_e32 v1, 0
	v_cvt_f32_u32_e32 v2, s20
	s_sub_u32 s18, 0, s20
	s_subb_u32 s19, 0, 0
	s_delay_alu instid0(VALU_DEP_1) | instskip(NEXT) | instid1(VALU_DEP_1)
	v_fmamk_f32 v1, v1, 0x4f800000, v2
	v_rcp_f32_e32 v1, v1
	s_waitcnt_depctr 0xfff
	v_mul_f32_e32 v1, 0x5f7ffffc, v1
	s_delay_alu instid0(VALU_DEP_1) | instskip(NEXT) | instid1(VALU_DEP_1)
	v_mul_f32_e32 v2, 0x2f800000, v1
	v_trunc_f32_e32 v2, v2
	s_delay_alu instid0(VALU_DEP_1) | instskip(SKIP_1) | instid1(VALU_DEP_2)
	v_fmamk_f32 v1, v2, 0xcf800000, v1
	v_cvt_u32_f32_e32 v2, v2
	v_cvt_u32_f32_e32 v1, v1
	s_delay_alu instid0(VALU_DEP_2) | instskip(NEXT) | instid1(VALU_DEP_2)
	v_readfirstlane_b32 s12, v2
	v_readfirstlane_b32 s17, v1
	s_delay_alu instid0(VALU_DEP_2) | instskip(NEXT) | instid1(VALU_DEP_1)
	s_mul_i32 s21, s18, s12
	s_mul_hi_u32 s23, s18, s17
	s_mul_i32 s22, s19, s17
	s_add_i32 s21, s23, s21
	s_mul_i32 s24, s18, s17
	s_add_i32 s21, s21, s22
	s_mul_hi_u32 s23, s17, s24
	s_mul_hi_u32 s25, s12, s24
	s_mul_i32 s22, s12, s24
	s_mul_hi_u32 s24, s17, s21
	s_mul_i32 s17, s17, s21
	s_mul_hi_u32 s26, s12, s21
	s_add_u32 s17, s23, s17
	s_addc_u32 s23, 0, s24
	s_add_u32 s17, s17, s22
	s_mul_i32 s21, s12, s21
	s_addc_u32 s17, s23, s25
	s_addc_u32 s22, s26, 0
	s_add_u32 s17, s17, s21
	s_addc_u32 s21, 0, s22
	v_add_co_u32 v1, s17, v1, s17
	s_delay_alu instid0(VALU_DEP_1) | instskip(SKIP_1) | instid1(VALU_DEP_1)
	s_cmp_lg_u32 s17, 0
	s_addc_u32 s12, s12, s21
	v_readfirstlane_b32 s17, v1
	s_mul_i32 s21, s18, s12
	s_delay_alu instid0(VALU_DEP_1)
	s_mul_hi_u32 s22, s18, s17
	s_mul_i32 s19, s19, s17
	s_add_i32 s21, s22, s21
	s_mul_i32 s18, s18, s17
	s_add_i32 s21, s21, s19
	s_mul_hi_u32 s22, s12, s18
	s_mul_i32 s23, s12, s18
	s_mul_hi_u32 s18, s17, s18
	s_mul_hi_u32 s24, s17, s21
	s_mul_i32 s17, s17, s21
	s_mul_hi_u32 s19, s12, s21
	s_add_u32 s17, s18, s17
	s_addc_u32 s18, 0, s24
	s_add_u32 s17, s17, s23
	s_mul_i32 s21, s12, s21
	s_addc_u32 s17, s18, s22
	s_addc_u32 s18, s19, 0
	s_add_u32 s17, s17, s21
	s_addc_u32 s18, 0, s18
	v_add_co_u32 v1, s17, v1, s17
	s_delay_alu instid0(VALU_DEP_1) | instskip(SKIP_2) | instid1(SALU_CYCLE_1)
	s_cmp_lg_u32 s17, 0
	s_addc_u32 s12, s12, s18
	s_ashr_i32 s18, s3, 31
	s_add_u32 s22, s11, s18
	s_addc_u32 s23, s3, s18
	v_readfirstlane_b32 s3, v1
	s_mov_b32 s19, s18
	s_delay_alu instid0(SALU_CYCLE_1) | instskip(NEXT) | instid1(SALU_CYCLE_1)
	s_xor_b64 s[22:23], s[22:23], s[18:19]
	s_mul_i32 s21, s22, s12
	s_delay_alu instid0(VALU_DEP_1)
	s_mul_hi_u32 s24, s22, s3
	s_mul_hi_u32 s17, s22, s12
	;; [unrolled: 1-line block ×3, first 2 shown]
	s_mul_i32 s3, s23, s3
	s_add_u32 s21, s24, s21
	s_addc_u32 s17, 0, s17
	s_mul_hi_u32 s25, s23, s12
	s_add_u32 s3, s21, s3
	s_mul_i32 s12, s23, s12
	s_addc_u32 s3, s17, s26
	s_addc_u32 s17, s25, 0
	s_add_u32 s3, s3, s12
	s_addc_u32 s12, 0, s17
	s_mul_i32 s21, s20, s3
	s_add_u32 s17, s3, 1
	v_sub_co_u32 v1, s21, s22, s21
	s_mul_hi_u32 s22, s20, s3
	s_addc_u32 s24, s12, 0
	s_mul_i32 s25, s20, s12
	s_delay_alu instid0(VALU_DEP_1)
	v_sub_co_u32 v2, s26, v1, s20
	s_add_u32 s27, s3, 2
	s_addc_u32 s28, s12, 0
	s_add_i32 s22, s22, s25
	s_cmp_lg_u32 s21, 0
	v_readfirstlane_b32 s21, v2
	s_subb_u32 s22, s23, s22
	s_cmp_lg_u32 s26, 0
	s_subb_u32 s23, s22, 0
	s_delay_alu instid0(VALU_DEP_1) | instskip(SKIP_4) | instid1(SALU_CYCLE_1)
	s_cmp_ge_u32 s21, s20
	s_cselect_b32 s21, -1, 0
	s_cmp_eq_u32 s23, 0
	v_readfirstlane_b32 s23, v1
	s_cselect_b32 s21, s21, -1
	s_cmp_lg_u32 s21, 0
	s_cselect_b32 s17, s27, s17
	s_cselect_b32 s21, s28, s24
	s_cmp_ge_u32 s23, s20
	s_cselect_b32 s23, -1, 0
	s_cmp_eq_u32 s22, 0
	s_cselect_b32 s22, s23, -1
	s_delay_alu instid0(SALU_CYCLE_1) | instskip(SKIP_2) | instid1(SALU_CYCLE_1)
	s_cmp_lg_u32 s22, 0
	s_cselect_b32 s23, s21, s12
	s_cselect_b32 s22, s17, s3
	s_xor_b64 s[22:23], s[22:23], s[18:19]
	s_delay_alu instid0(SALU_CYCLE_1)
	s_sub_u32 s18, s22, s18
	s_and_not1_b32 vcc_lo, exec_lo, s2
	s_cbranch_vccnz .LBB32_6
.LBB32_5:
	v_cvt_f32_u32_e32 v1, s20
	s_sub_i32 s3, 0, s20
	s_delay_alu instid0(VALU_DEP_1) | instskip(SKIP_2) | instid1(VALU_DEP_1)
	v_rcp_iflag_f32_e32 v1, v1
	s_waitcnt_depctr 0xfff
	v_mul_f32_e32 v1, 0x4f7ffffe, v1
	v_cvt_u32_f32_e32 v1, v1
	s_delay_alu instid0(VALU_DEP_1) | instskip(NEXT) | instid1(VALU_DEP_1)
	v_readfirstlane_b32 s2, v1
	s_mul_i32 s3, s3, s2
	s_delay_alu instid0(SALU_CYCLE_1) | instskip(NEXT) | instid1(SALU_CYCLE_1)
	s_mul_hi_u32 s3, s2, s3
	s_add_i32 s2, s2, s3
	s_delay_alu instid0(SALU_CYCLE_1) | instskip(NEXT) | instid1(SALU_CYCLE_1)
	s_mul_hi_u32 s2, s11, s2
	s_mul_i32 s3, s2, s20
	s_delay_alu instid0(SALU_CYCLE_1)
	s_sub_i32 s3, s11, s3
	s_add_i32 s11, s2, 1
	s_sub_i32 s12, s3, s20
	s_cmp_ge_u32 s3, s20
	s_cselect_b32 s2, s11, s2
	s_cselect_b32 s3, s12, s3
	s_add_i32 s11, s2, 1
	s_cmp_ge_u32 s3, s20
	s_cselect_b32 s18, s11, s2
.LBB32_6:
	s_delay_alu instid0(SALU_CYCLE_1) | instskip(SKIP_3) | instid1(SALU_CYCLE_1)
	s_cmp_eq_u32 s16, s18
	s_mul_hi_u32 s2, s16, s8
	s_cselect_b32 s3, -1, 0
	s_add_i32 s2, s2, s16
	s_lshr_b32 s11, s2, s9
	s_delay_alu instid0(SALU_CYCLE_1) | instskip(NEXT) | instid1(SALU_CYCLE_1)
	s_mul_i32 s2, s11, s10
	s_cmp_eq_u32 s2, s16
	s_mul_hi_u32 s2, s18, s8
	s_cselect_b32 s12, -1, 0
	s_add_i32 s2, s2, s18
	s_delay_alu instid0(SALU_CYCLE_1) | instskip(NEXT) | instid1(SALU_CYCLE_1)
	s_lshr_b32 s2, s2, s9
	s_cmp_eq_u32 s11, s2
	s_mul_i32 s2, s2, s10
	s_cselect_b32 s17, -1, 0
	s_cmp_lg_u32 s2, s18
	s_cselect_b32 s2, -1, 0
	s_or_b32 s3, s3, s12
	s_and_b32 s2, s17, s2
	s_delay_alu instid0(SALU_CYCLE_1) | instskip(NEXT) | instid1(SALU_CYCLE_1)
	s_or_b32 s2, s3, s2
	s_and_b32 vcc_lo, exec_lo, s2
	s_cbranch_vccnz .LBB32_24
; %bb.7:
	s_load_b256 s[24:31], s[0:1], 0x20
	s_waitcnt lgkmcnt(0)
	s_mul_hi_u32 s2, s16, s24
	s_delay_alu instid0(SALU_CYCLE_1) | instskip(NEXT) | instid1(SALU_CYCLE_1)
	s_add_i32 s2, s2, s16
	s_lshr_b32 s17, s2, s25
	s_load_b32 s2, s[0:1], 0x40
	s_mul_i32 s3, s17, s26
	s_delay_alu instid0(SALU_CYCLE_1) | instskip(NEXT) | instid1(SALU_CYCLE_1)
	s_sub_i32 s3, s16, s3
	s_mul_hi_u32 s12, s3, s27
	s_delay_alu instid0(SALU_CYCLE_1) | instskip(NEXT) | instid1(SALU_CYCLE_1)
	s_add_i32 s12, s3, s12
	s_lshr_b32 s21, s12, s28
	s_delay_alu instid0(SALU_CYCLE_1) | instskip(NEXT) | instid1(SALU_CYCLE_1)
	s_mul_i32 s12, s21, s29
	s_sub_i32 s3, s3, s12
	s_delay_alu instid0(SALU_CYCLE_1) | instskip(NEXT) | instid1(SALU_CYCLE_1)
	s_mul_hi_u32 s12, s3, s30
	s_add_i32 s12, s3, s12
	s_delay_alu instid0(SALU_CYCLE_1)
	s_lshr_b32 s12, s12, s31
	s_waitcnt lgkmcnt(0)
	s_mul_i32 s2, s12, s2
	s_lshl_b32 s23, s12, 1
	s_sub_i32 s2, s3, s2
	s_mov_b32 s12, 0
	s_mul_hi_u32 s3, s2, s8
	s_delay_alu instid0(SALU_CYCLE_1) | instskip(NEXT) | instid1(SALU_CYCLE_1)
	s_add_i32 s2, s2, s3
	s_lshr_b32 s22, s2, s9
	s_delay_alu instid0(SALU_CYCLE_1) | instskip(NEXT) | instid1(SALU_CYCLE_1)
	s_lshl_b32 s2, s22, 3
	s_add_i32 s2, s2, s14
	s_delay_alu instid0(SALU_CYCLE_1) | instskip(SKIP_2) | instid1(SALU_CYCLE_1)
	s_cmp_lt_i32 s2, s4
	s_cselect_b32 s2, -1, 0
	s_add_i32 s3, s23, s15
	s_cmp_lt_i32 s3, s6
	s_cselect_b32 s3, -1, 0
	s_delay_alu instid0(SALU_CYCLE_1) | instskip(NEXT) | instid1(SALU_CYCLE_1)
	s_and_b32 s2, s2, s3
	s_and_not1_b32 vcc_lo, exec_lo, s2
	s_cbranch_vccnz .LBB32_24
; %bb.8:
	s_load_b128 s[0:3], s[0:1], 0x0
	s_lshl_b32 s18, s20, 6
	s_mov_b32 s19, s12
	s_lshl_b32 s24, s14, 1
	s_lshl_b64 s[18:19], s[18:19], 2
	s_mul_i32 s4, s17, s4
	s_add_i32 s17, s24, s15
	s_mul_i32 s21, s21, s6
	v_cvt_f32_ubyte0_e32 v4, 0
	v_cvt_f32_u32_e32 v5, s20
	s_waitcnt lgkmcnt(0)
	s_add_u32 s18, s2, s18
	s_addc_u32 s19, s3, s19
	s_add_i32 s4, s4, s14
	s_delay_alu instid0(SALU_CYCLE_1) | instskip(SKIP_4) | instid1(SALU_CYCLE_1)
	s_mul_i32 s4, s4, s5
	s_mul_i32 s5, s5, s22
	s_add_i32 s4, s4, s15
	s_lshl_b32 s5, s5, 11
	s_add_i32 s4, s4, s21
	s_add_i32 s4, s4, s23
	s_delay_alu instid0(SALU_CYCLE_1) | instskip(NEXT) | instid1(SALU_CYCLE_1)
	s_lshl_b32 s4, s4, 8
	s_add_i32 s5, s5, s4
	s_delay_alu instid0(SALU_CYCLE_1) | instskip(SKIP_1) | instid1(VALU_DEP_2)
	v_or_b32_e32 v1, s5, v0
	v_lshl_or_b32 v0, s17, 8, v0
	v_ashrrev_i32_e32 v2, 31, v1
	s_delay_alu instid0(VALU_DEP_1) | instskip(NEXT) | instid1(VALU_DEP_1)
	v_lshlrev_b64 v[1:2], 2, v[1:2]
	v_add_co_u32 v1, vcc_lo, s0, v1
	s_delay_alu instid0(VALU_DEP_2) | instskip(SKIP_1) | instid1(SALU_CYCLE_1)
	v_add_co_ci_u32_e32 v2, vcc_lo, s1, v2, vcc_lo
	s_lshl_b32 s0, s13, 4
	s_add_i32 s0, s17, s0
	global_load_b32 v3, v[1:2], off
	s_ashr_i32 s1, s0, 31
	s_delay_alu instid0(SALU_CYCLE_1) | instskip(NEXT) | instid1(SALU_CYCLE_1)
	s_lshl_b64 s[0:1], s[0:1], 3
	s_add_u32 s0, s2, s0
	s_addc_u32 s1, s3, s1
	s_add_i32 s14, s13, -1
	s_load_b64 s[0:1], s[0:1], 0x0
	v_fmac_f32_e32 v5, 0x4f800000, v4
	s_sub_i32 s6, 0, s20
	s_waitcnt lgkmcnt(0)
	v_mov_b32_e32 v8, s0
	s_delay_alu instid0(VALU_DEP_2) | instskip(SKIP_2) | instid1(VALU_DEP_2)
	v_rcp_f32_e32 v4, v5
	v_cvt_f32_u32_e32 v5, s20
	v_mov_b32_e32 v7, s1
	v_rcp_iflag_f32_e32 v5, v5
	s_waitcnt_depctr 0xfff
	v_mul_f32_e32 v4, 0x5f7ffffc, v4
	s_delay_alu instid0(VALU_DEP_1) | instskip(SKIP_1) | instid1(VALU_DEP_2)
	v_mul_f32_e32 v6, 0x2f800000, v4
	v_mul_f32_e32 v9, 0x4f7ffffe, v5
	v_trunc_f32_e32 v6, v6
	s_delay_alu instid0(VALU_DEP_1) | instskip(SKIP_1) | instid1(VALU_DEP_4)
	v_fmac_f32_e32 v4, 0xcf800000, v6
	v_cvt_u32_f32_e32 v5, v6
	v_cvt_u32_f32_e32 v6, v9
	s_delay_alu instid0(VALU_DEP_3)
	v_cvt_u32_f32_e32 v4, v4
.LBB32_9:                               ; =>This Inner Loop Header: Depth=1
	s_mul_hi_i32 s13, s14, s7
	s_mul_i32 s4, s14, s7
	s_cmp_lg_u64 s[12:13], 0
	s_mov_b32 s5, -1
                                        ; implicit-def: $sgpr0_sgpr1
	s_cbranch_scc0 .LBB32_11
; %bb.10:                               ;   in Loop: Header=BB32_9 Depth=1
	v_readfirstlane_b32 s0, v4
	v_readfirstlane_b32 s1, v5
	s_sub_u32 s5, 0, s20
	s_subb_u32 s15, 0, 0
	s_delay_alu instid0(VALU_DEP_2) | instskip(NEXT) | instid1(VALU_DEP_1)
	s_mul_hi_u32 s21, s5, s0
	s_mul_i32 s22, s5, s1
	s_mul_i32 s23, s15, s0
	s_add_i32 s21, s21, s22
	s_mul_i32 s22, s5, s0
	s_add_i32 s21, s21, s23
	s_mul_hi_u32 s23, s0, s22
	s_mul_i32 s24, s0, s21
	s_mul_hi_u32 s0, s0, s21
	s_add_u32 s23, s23, s24
	s_mul_i32 s25, s1, s22
	s_addc_u32 s0, 0, s0
	s_mul_hi_u32 s22, s1, s22
	s_mul_hi_u32 s24, s1, s21
	s_add_u32 s23, s23, s25
	s_addc_u32 s0, s0, s22
	s_mul_i32 s21, s1, s21
	s_addc_u32 s22, s24, 0
	s_add_u32 s0, s0, s21
	s_addc_u32 s21, 0, s22
	v_add_co_u32 v9, s0, v4, s0
	s_delay_alu instid0(VALU_DEP_1) | instskip(SKIP_1) | instid1(VALU_DEP_1)
	s_cmp_lg_u32 s0, 0
	s_addc_u32 s1, s1, s21
	v_readfirstlane_b32 s0, v9
	s_mul_i32 s21, s5, s1
	s_delay_alu instid0(VALU_DEP_1)
	s_mul_hi_u32 s22, s5, s0
	s_mul_i32 s15, s15, s0
	s_add_i32 s21, s22, s21
	s_mul_i32 s5, s5, s0
	s_add_i32 s21, s21, s15
	s_mul_hi_u32 s15, s1, s5
	s_mul_i32 s23, s1, s5
	s_mul_i32 s24, s0, s21
	s_mul_hi_u32 s5, s0, s5
	s_mul_hi_u32 s0, s0, s21
	s_add_u32 s5, s5, s24
	s_addc_u32 s0, 0, s0
	s_mul_hi_u32 s22, s1, s21
	s_add_u32 s5, s5, s23
	s_addc_u32 s0, s0, s15
	s_mul_i32 s5, s1, s21
	s_addc_u32 s15, s22, 0
	s_add_u32 s0, s0, s5
	s_addc_u32 s5, 0, s15
	v_add_co_u32 v9, s0, v9, s0
	s_delay_alu instid0(VALU_DEP_1) | instskip(SKIP_2) | instid1(SALU_CYCLE_1)
	s_cmp_lg_u32 s0, 0
	s_addc_u32 s5, s1, s5
	s_ashr_i32 s0, s13, 31
	s_add_u32 s22, s4, s0
	s_addc_u32 s23, s13, s0
	v_readfirstlane_b32 s13, v9
	s_mov_b32 s1, s0
	s_delay_alu instid0(SALU_CYCLE_1) | instskip(NEXT) | instid1(SALU_CYCLE_1)
	s_xor_b64 s[22:23], s[22:23], s[0:1]
	s_mul_i32 s15, s22, s5
	s_delay_alu instid0(VALU_DEP_1)
	s_mul_hi_u32 s21, s22, s13
	s_mul_hi_u32 s24, s22, s5
	s_add_u32 s15, s21, s15
	s_mul_i32 s25, s23, s13
	s_addc_u32 s21, 0, s24
	s_mul_hi_u32 s13, s23, s13
	s_mul_hi_u32 s24, s23, s5
	s_add_u32 s15, s15, s25
	s_addc_u32 s13, s21, s13
	s_mul_i32 s5, s23, s5
	s_addc_u32 s15, s24, 0
	s_add_u32 s5, s13, s5
	s_addc_u32 s13, 0, s15
	s_mul_i32 s21, s20, s5
	s_add_u32 s15, s5, 1
	v_sub_co_u32 v9, s21, s22, s21
	s_addc_u32 s22, s13, 0
	s_mul_i32 s25, s20, s13
	s_mul_hi_u32 s27, s20, s5
	s_delay_alu instid0(VALU_DEP_1)
	v_sub_co_u32 v10, s26, v9, s20
	s_add_u32 s24, s5, 2
	s_addc_u32 s28, s13, 0
	s_add_i32 s27, s27, s25
	s_cmp_lg_u32 s21, 0
	v_readfirstlane_b32 s21, v10
	s_subb_u32 s23, s23, s27
	s_cmp_lg_u32 s26, 0
	s_subb_u32 s25, s23, 0
	s_delay_alu instid0(VALU_DEP_1) | instskip(SKIP_4) | instid1(SALU_CYCLE_1)
	s_cmp_ge_u32 s21, s20
	s_cselect_b32 s21, -1, 0
	s_cmp_eq_u32 s25, 0
	v_readfirstlane_b32 s25, v9
	s_cselect_b32 s21, s21, -1
	s_cmp_lg_u32 s21, 0
	s_cselect_b32 s15, s24, s15
	s_cselect_b32 s21, s28, s22
	s_cmp_ge_u32 s25, s20
	s_cselect_b32 s22, -1, 0
	s_cmp_eq_u32 s23, 0
	s_cselect_b32 s22, s22, -1
	s_delay_alu instid0(SALU_CYCLE_1) | instskip(SKIP_4) | instid1(SALU_CYCLE_1)
	s_cmp_lg_u32 s22, 0
	s_cselect_b32 s23, s21, s13
	s_cselect_b32 s22, s15, s5
	s_mov_b32 s5, 0
	s_xor_b64 s[22:23], s[22:23], s[0:1]
	s_sub_u32 s0, s22, s0
.LBB32_11:                              ;   in Loop: Header=BB32_9 Depth=1
	s_and_not1_b32 vcc_lo, exec_lo, s5
	s_cbranch_vccnz .LBB32_13
; %bb.12:                               ;   in Loop: Header=BB32_9 Depth=1
	v_readfirstlane_b32 s0, v6
	s_delay_alu instid0(VALU_DEP_1) | instskip(NEXT) | instid1(SALU_CYCLE_1)
	s_mul_i32 s1, s6, s0
	s_mul_hi_u32 s1, s0, s1
	s_delay_alu instid0(SALU_CYCLE_1) | instskip(NEXT) | instid1(SALU_CYCLE_1)
	s_add_i32 s0, s0, s1
	s_mul_hi_u32 s0, s4, s0
	s_delay_alu instid0(SALU_CYCLE_1) | instskip(NEXT) | instid1(SALU_CYCLE_1)
	s_mul_i32 s1, s0, s20
	s_sub_i32 s1, s4, s1
	s_add_i32 s4, s0, 1
	s_sub_i32 s5, s1, s20
	s_cmp_ge_u32 s1, s20
	s_cselect_b32 s0, s4, s0
	s_cselect_b32 s1, s5, s1
	s_add_i32 s4, s0, 1
	s_cmp_ge_u32 s1, s20
	s_cselect_b32 s0, s4, s0
.LBB32_13:                              ;   in Loop: Header=BB32_9 Depth=1
	s_delay_alu instid0(SALU_CYCLE_1)
	s_cmp_lg_u32 s16, s0
	s_cbranch_scc0 .LBB32_17
; %bb.14:                               ;   in Loop: Header=BB32_9 Depth=1
	s_add_i32 s1, s14, s20
	s_mov_b32 s5, s12
	s_lshl_b32 s1, s1, 4
	s_mov_b32 s15, s16
	s_add_i32 s4, s1, s17
	s_mul_hi_u32 s1, s0, s8
	s_lshl_b64 s[4:5], s[4:5], 3
	s_delay_alu instid0(SALU_CYCLE_1) | instskip(SKIP_2) | instid1(SALU_CYCLE_1)
	s_add_u32 s4, s2, s4
	s_addc_u32 s5, s3, s5
	s_add_i32 s1, s1, s0
	s_lshr_b32 s1, s1, s9
	s_delay_alu instid0(SALU_CYCLE_1) | instskip(NEXT) | instid1(SALU_CYCLE_1)
	s_mul_i32 s13, s1, s10
	s_cmp_eq_u32 s13, s0
	s_cselect_b32 s13, -1, 0
	s_cmp_lt_u32 s1, s11
	s_cselect_b32 s1, -1, 0
	s_delay_alu instid0(SALU_CYCLE_1)
	s_or_b32 s1, s1, s13
	s_mov_b32 s13, -1
	s_and_b32 vcc_lo, exec_lo, s1
	s_mov_b32 s1, s14
	s_cbranch_vccnz .LBB32_16
; %bb.15:                               ;   in Loop: Header=BB32_9 Depth=1
	s_add_i32 s1, s14, -1
	s_mov_b32 s13, 0
	s_mov_b32 s15, s0
.LBB32_16:                              ;   in Loop: Header=BB32_9 Depth=1
	v_lshl_add_u32 v9, s14, 12, v0
	s_load_b64 s[4:5], s[4:5], 0x0
	s_delay_alu instid0(VALU_DEP_1) | instskip(NEXT) | instid1(VALU_DEP_1)
	v_ashrrev_i32_e32 v10, 31, v9
	v_lshlrev_b64 v[9:10], 2, v[9:10]
	s_delay_alu instid0(VALU_DEP_1) | instskip(NEXT) | instid1(VALU_DEP_2)
	v_add_co_u32 v9, vcc_lo, s18, v9
	v_add_co_ci_u32_e32 v10, vcc_lo, s19, v10, vcc_lo
	s_waitcnt lgkmcnt(0)
	v_max_f32_e64 v11, s4, s4
	global_load_b32 v10, v[9:10], off
	v_max_f32_e32 v9, v8, v8
	s_delay_alu instid0(VALU_DEP_1) | instskip(NEXT) | instid1(VALU_DEP_1)
	v_max_f32_e32 v9, v9, v11
	v_sub_f32_e32 v12, v8, v9
	s_delay_alu instid0(VALU_DEP_1) | instskip(NEXT) | instid1(VALU_DEP_1)
	v_dual_mul_f32 v14, 0x3fb8aa3b, v12 :: v_dual_sub_f32 v11, s4, v9
	v_rndne_f32_e32 v18, v14
	s_delay_alu instid0(VALU_DEP_2) | instskip(SKIP_2) | instid1(VALU_DEP_4)
	v_mul_f32_e32 v13, 0x3fb8aa3b, v11
	v_fma_f32 v17, 0x3fb8aa3b, v12, -v14
	v_cmp_ngt_f32_e32 vcc_lo, 0xc2ce8ed0, v11
	v_sub_f32_e32 v14, v14, v18
	s_delay_alu instid0(VALU_DEP_4) | instskip(SKIP_2) | instid1(VALU_DEP_3)
	v_fma_f32 v15, 0x3fb8aa3b, v11, -v13
	v_rndne_f32_e32 v16, v13
	v_fmac_f32_e32 v17, 0x32a5705f, v12
	v_fmac_f32_e32 v15, 0x32a5705f, v11
	s_delay_alu instid0(VALU_DEP_2) | instskip(NEXT) | instid1(VALU_DEP_1)
	v_dual_sub_f32 v13, v13, v16 :: v_dual_add_f32 v14, v14, v17
	v_add_f32_e32 v13, v13, v15
	s_delay_alu instid0(VALU_DEP_2) | instskip(SKIP_2) | instid1(VALU_DEP_3)
	v_exp_f32_e32 v14, v14
	v_cvt_i32_f32_e32 v15, v16
	v_cvt_i32_f32_e32 v16, v18
	v_exp_f32_e32 v13, v13
	s_waitcnt_depctr 0xfff
	v_ldexp_f32 v14, v14, v16
	v_ldexp_f32 v13, v13, v15
	s_delay_alu instid0(VALU_DEP_1) | instskip(SKIP_1) | instid1(VALU_DEP_4)
	v_cndmask_b32_e32 v13, 0, v13, vcc_lo
	v_cmp_ngt_f32_e32 vcc_lo, 0xc2ce8ed0, v12
	v_cndmask_b32_e32 v14, 0, v14, vcc_lo
	v_cmp_nlt_f32_e32 vcc_lo, 0x42b17218, v11
	s_delay_alu instid0(VALU_DEP_4) | instskip(SKIP_1) | instid1(VALU_DEP_4)
	v_cndmask_b32_e32 v13, 0x7f800000, v13, vcc_lo
	v_cmp_nlt_f32_e32 vcc_lo, 0x42b17218, v12
	v_cndmask_b32_e32 v14, 0x7f800000, v14, vcc_lo
	v_cmp_le_f32_e32 vcc_lo, 0xc1a00000, v11
	s_delay_alu instid0(VALU_DEP_4) | instskip(SKIP_1) | instid1(VALU_DEP_4)
	v_cndmask_b32_e32 v11, 0, v13, vcc_lo
	v_cmp_le_f32_e32 vcc_lo, 0xc1a00000, v12
	v_cndmask_b32_e32 v12, 0, v14, vcc_lo
	s_waitcnt vmcnt(0)
	s_delay_alu instid0(VALU_DEP_3) | instskip(NEXT) | instid1(VALU_DEP_1)
	v_mul_f32_e32 v10, v10, v11
	v_dual_mul_f32 v11, s5, v11 :: v_dual_fmac_f32 v10, v3, v12
	s_delay_alu instid0(VALU_DEP_1)
	v_fmac_f32_e32 v11, v7, v12
	s_cbranch_execz .LBB32_18
	s_branch .LBB32_19
.LBB32_17:                              ;   in Loop: Header=BB32_9 Depth=1
                                        ; implicit-def: $sgpr13
                                        ; implicit-def: $vgpr10
                                        ; implicit-def: $vgpr9
                                        ; implicit-def: $vgpr11
                                        ; implicit-def: $sgpr1
                                        ; implicit-def: $sgpr15
.LBB32_18:                              ;   in Loop: Header=BB32_9 Depth=1
	v_mov_b32_e32 v11, v7
	s_waitcnt vmcnt(0)
	v_dual_mov_b32 v9, v8 :: v_dual_mov_b32 v10, v3
	s_add_i32 s1, s14, -1
	s_mov_b32 s13, 0
	s_mov_b32 s15, s16
.LBB32_19:                              ;   in Loop: Header=BB32_9 Depth=1
	s_and_not1_b32 vcc_lo, exec_lo, s13
	s_cbranch_vccz .LBB32_23
; %bb.20:                               ;   in Loop: Header=BB32_9 Depth=1
	v_dual_mov_b32 v7, v11 :: v_dual_mov_b32 v8, v9
	s_waitcnt vmcnt(0)
	v_mov_b32_e32 v3, v10
	s_mov_b32 s16, s15
	s_mov_b32 s14, s1
	s_branch .LBB32_9
.LBB32_21:
                                        ; implicit-def: $sgpr16_sgpr17
	s_load_b128 s[8:11], s[0:1], 0x44
	s_branch .LBB32_2
.LBB32_22:
                                        ; implicit-def: $sgpr18_sgpr19
	s_branch .LBB32_5
.LBB32_23:
	v_div_scale_f32 v0, null, v11, v11, v10
	s_waitcnt vmcnt(0)
	s_delay_alu instid0(VALU_DEP_1) | instskip(SKIP_2) | instid1(VALU_DEP_1)
	v_rcp_f32_e32 v3, v0
	s_waitcnt_depctr 0xfff
	v_fma_f32 v4, -v0, v3, 1.0
	v_fmac_f32_e32 v3, v4, v3
	v_div_scale_f32 v4, vcc_lo, v10, v11, v10
	s_delay_alu instid0(VALU_DEP_1) | instskip(NEXT) | instid1(VALU_DEP_1)
	v_mul_f32_e32 v5, v4, v3
	v_fma_f32 v6, -v0, v5, v4
	s_delay_alu instid0(VALU_DEP_1) | instskip(NEXT) | instid1(VALU_DEP_1)
	v_fmac_f32_e32 v5, v6, v3
	v_fma_f32 v0, -v0, v5, v4
	s_delay_alu instid0(VALU_DEP_1) | instskip(NEXT) | instid1(VALU_DEP_1)
	v_div_fmas_f32 v0, v0, v3, v5
	v_div_fixup_f32 v0, v0, v11, v10
	global_store_b32 v[1:2], v0, off
.LBB32_24:
	s_nop 0
	s_sendmsg sendmsg(MSG_DEALLOC_VGPRS)
	s_endpgm
	.section	.rodata,"a",@progbits
	.p2align	6, 0x0
	.amdhsa_kernel _ZL33flash_attn_stream_k_fixup_generalILi256ELi8ELi2EEvPfPK15HIP_vector_typeIfLj2EEiiiiS1_IjLj3EES5_S5_S5_
		.amdhsa_group_segment_fixed_size 0
		.amdhsa_private_segment_fixed_size 0
		.amdhsa_kernarg_size 336
		.amdhsa_user_sgpr_count 13
		.amdhsa_user_sgpr_dispatch_ptr 0
		.amdhsa_user_sgpr_queue_ptr 0
		.amdhsa_user_sgpr_kernarg_segment_ptr 1
		.amdhsa_user_sgpr_dispatch_id 0
		.amdhsa_user_sgpr_private_segment_size 0
		.amdhsa_wavefront_size32 1
		.amdhsa_uses_dynamic_stack 0
		.amdhsa_enable_private_segment 0
		.amdhsa_system_sgpr_workgroup_id_x 1
		.amdhsa_system_sgpr_workgroup_id_y 1
		.amdhsa_system_sgpr_workgroup_id_z 1
		.amdhsa_system_sgpr_workgroup_info 0
		.amdhsa_system_vgpr_workitem_id 0
		.amdhsa_next_free_vgpr 19
		.amdhsa_next_free_sgpr 32
		.amdhsa_reserve_vcc 1
		.amdhsa_float_round_mode_32 0
		.amdhsa_float_round_mode_16_64 0
		.amdhsa_float_denorm_mode_32 3
		.amdhsa_float_denorm_mode_16_64 3
		.amdhsa_dx10_clamp 1
		.amdhsa_ieee_mode 1
		.amdhsa_fp16_overflow 0
		.amdhsa_workgroup_processor_mode 1
		.amdhsa_memory_ordered 1
		.amdhsa_forward_progress 0
		.amdhsa_shared_vgpr_count 0
		.amdhsa_exception_fp_ieee_invalid_op 0
		.amdhsa_exception_fp_denorm_src 0
		.amdhsa_exception_fp_ieee_div_zero 0
		.amdhsa_exception_fp_ieee_overflow 0
		.amdhsa_exception_fp_ieee_underflow 0
		.amdhsa_exception_fp_ieee_inexact 0
		.amdhsa_exception_int_div_zero 0
	.end_amdhsa_kernel
	.section	.text._ZL33flash_attn_stream_k_fixup_generalILi256ELi8ELi2EEvPfPK15HIP_vector_typeIfLj2EEiiiiS1_IjLj3EES5_S5_S5_,"axG",@progbits,_ZL33flash_attn_stream_k_fixup_generalILi256ELi8ELi2EEvPfPK15HIP_vector_typeIfLj2EEiiiiS1_IjLj3EES5_S5_S5_,comdat
.Lfunc_end32:
	.size	_ZL33flash_attn_stream_k_fixup_generalILi256ELi8ELi2EEvPfPK15HIP_vector_typeIfLj2EEiiiiS1_IjLj3EES5_S5_S5_, .Lfunc_end32-_ZL33flash_attn_stream_k_fixup_generalILi256ELi8ELi2EEvPfPK15HIP_vector_typeIfLj2EEiiiiS1_IjLj3EES5_S5_S5_
                                        ; -- End function
	.section	.AMDGPU.csdata,"",@progbits
; Kernel info:
; codeLenInByte = 3224
; NumSgprs: 34
; NumVgprs: 19
; ScratchSize: 0
; MemoryBound: 0
; FloatMode: 240
; IeeeMode: 1
; LDSByteSize: 0 bytes/workgroup (compile time only)
; SGPRBlocks: 4
; VGPRBlocks: 2
; NumSGPRsForWavesPerEU: 34
; NumVGPRsForWavesPerEU: 19
; Occupancy: 16
; WaveLimiterHint : 0
; COMPUTE_PGM_RSRC2:SCRATCH_EN: 0
; COMPUTE_PGM_RSRC2:USER_SGPR: 13
; COMPUTE_PGM_RSRC2:TRAP_HANDLER: 0
; COMPUTE_PGM_RSRC2:TGID_X_EN: 1
; COMPUTE_PGM_RSRC2:TGID_Y_EN: 1
; COMPUTE_PGM_RSRC2:TGID_Z_EN: 1
; COMPUTE_PGM_RSRC2:TIDIG_COMP_CNT: 0
	.section	.text._ZL15flash_attn_tileILi256ELi256ELi4ELi2ELb0EEvPKcS1_S1_S1_S1_PKiPfP15HIP_vector_typeIfLj2EEffffjfiS5_IjLj3EEiiiiiiiiiiiliiliiiiil,"axG",@progbits,_ZL15flash_attn_tileILi256ELi256ELi4ELi2ELb0EEvPKcS1_S1_S1_S1_PKiPfP15HIP_vector_typeIfLj2EEffffjfiS5_IjLj3EEiiiiiiiiiiiliiliiiiil,comdat
	.globl	_ZL15flash_attn_tileILi256ELi256ELi4ELi2ELb0EEvPKcS1_S1_S1_S1_PKiPfP15HIP_vector_typeIfLj2EEffffjfiS5_IjLj3EEiiiiiiiiiiiliiliiiiil ; -- Begin function _ZL15flash_attn_tileILi256ELi256ELi4ELi2ELb0EEvPKcS1_S1_S1_S1_PKiPfP15HIP_vector_typeIfLj2EEffffjfiS5_IjLj3EEiiiiiiiiiiiliiliiiiil
	.p2align	8
	.type	_ZL15flash_attn_tileILi256ELi256ELi4ELi2ELb0EEvPKcS1_S1_S1_S1_PKiPfP15HIP_vector_typeIfLj2EEffffjfiS5_IjLj3EEiiiiiiiiiiiliiliiiiil,@function
_ZL15flash_attn_tileILi256ELi256ELi4ELi2ELb0EEvPKcS1_S1_S1_S1_PKiPfP15HIP_vector_typeIfLj2EEffffjfiS5_IjLj3EEiiiiiiiiiiiliiliiiiil: ; @_ZL15flash_attn_tileILi256ELi256ELi4ELi2ELb0EEvPKcS1_S1_S1_S1_PKiPfP15HIP_vector_typeIfLj2EEffffjfiS5_IjLj3EEiiiiiiiiiiiliiliiiiil
; %bb.0:
	s_clause 0x1
	s_load_b128 s[8:11], s[0:1], 0x5c
	s_load_b64 s[34:35], s[0:1], 0x80
	s_mov_b64 s[36:37], 0
	s_waitcnt lgkmcnt(0)
	s_lshr_b32 s2, s11, 31
	s_delay_alu instid0(SALU_CYCLE_1) | instskip(NEXT) | instid1(SALU_CYCLE_1)
	s_add_i32 s2, s11, s2
	s_ashr_i32 s2, s2, 1
	s_delay_alu instid0(SALU_CYCLE_1) | instskip(SKIP_1) | instid1(VALU_DEP_1)
	v_cvt_f32_u32_e32 v1, s2
	s_sub_i32 s4, 0, s2
	v_rcp_iflag_f32_e32 v1, v1
	s_waitcnt_depctr 0xfff
	v_mul_f32_e32 v1, 0x4f7ffffe, v1
	s_delay_alu instid0(VALU_DEP_1) | instskip(NEXT) | instid1(VALU_DEP_1)
	v_cvt_u32_f32_e32 v1, v1
	v_readfirstlane_b32 s3, v1
	s_delay_alu instid0(VALU_DEP_1) | instskip(NEXT) | instid1(SALU_CYCLE_1)
	s_mul_i32 s4, s4, s3
	s_mul_hi_u32 s4, s3, s4
	s_delay_alu instid0(SALU_CYCLE_1) | instskip(NEXT) | instid1(SALU_CYCLE_1)
	s_add_i32 s3, s3, s4
	s_mul_hi_u32 s3, s15, s3
	s_delay_alu instid0(SALU_CYCLE_1) | instskip(SKIP_2) | instid1(SALU_CYCLE_1)
	s_mul_i32 s4, s3, s2
	s_add_i32 s5, s3, 1
	s_sub_i32 s4, s15, s4
	s_sub_i32 s6, s4, s2
	s_cmp_ge_u32 s4, s2
	s_cselect_b32 s3, s5, s3
	s_cselect_b32 s4, s6, s4
	s_add_i32 s5, s3, 1
	s_cmp_ge_u32 s4, s2
	s_cselect_b32 s33, s5, s3
	s_abs_i32 s2, s35
	s_abs_i32 s7, s11
	v_cvt_f32_u32_e32 v1, s2
	s_sub_i32 s4, 0, s2
	s_lshl_b32 s5, s15, 1
	s_mul_i32 s6, s33, s11
	s_delay_alu instid0(VALU_DEP_1) | instskip(SKIP_3) | instid1(VALU_DEP_1)
	v_rcp_iflag_f32_e32 v1, v1
	s_sub_i32 s12, s5, s6
	s_waitcnt_depctr 0xfff
	v_mul_f32_e32 v1, 0x4f7ffffe, v1
	v_cvt_u32_f32_e32 v1, v1
	s_delay_alu instid0(VALU_DEP_1) | instskip(NEXT) | instid1(VALU_DEP_1)
	v_readfirstlane_b32 s3, v1
	s_mul_i32 s4, s4, s3
	s_delay_alu instid0(SALU_CYCLE_1) | instskip(NEXT) | instid1(SALU_CYCLE_1)
	s_mul_hi_u32 s4, s3, s4
	s_add_i32 s3, s3, s4
	s_xor_b32 s4, s11, s35
	s_mul_hi_u32 s3, s7, s3
	s_ashr_i32 s4, s4, 31
	s_mul_i32 s5, s3, s2
	s_add_i32 s6, s3, 1
	s_sub_i32 s5, s7, s5
	s_delay_alu instid0(SALU_CYCLE_1)
	s_sub_i32 s7, s5, s2
	s_cmp_ge_u32 s5, s2
	s_cselect_b32 s3, s6, s3
	s_cselect_b32 s5, s7, s5
	s_add_i32 s6, s3, 1
	s_cmp_ge_u32 s5, s2
	s_cselect_b32 s2, s6, s3
	s_delay_alu instid0(SALU_CYCLE_1) | instskip(NEXT) | instid1(SALU_CYCLE_1)
	s_xor_b32 s2, s2, s4
	s_sub_i32 s15, s2, s4
	s_clause 0x1
	s_load_b512 s[16:31], s[0:1], 0x0
	s_load_b64 s[2:3], s[0:1], 0xb8
	s_abs_i32 s35, s15
	s_delay_alu instid0(SALU_CYCLE_1) | instskip(NEXT) | instid1(VALU_DEP_1)
	v_cvt_f32_u32_e32 v1, s35
	v_rcp_iflag_f32_e32 v1, v1
	s_waitcnt_depctr 0xfff
	v_mul_f32_e32 v1, 0x4f7ffffe, v1
	s_waitcnt lgkmcnt(0)
	s_cmp_eq_u64 s[22:23], 0
	s_delay_alu instid0(VALU_DEP_1) | instskip(NEXT) | instid1(VALU_DEP_1)
	v_cvt_u32_f32_e32 v1, v1
	v_readfirstlane_b32 s38, v1
	s_cbranch_scc1 .LBB33_2
; %bb.1:
	s_abs_i32 s2, s2
	s_abs_i32 s6, s33
	v_cvt_f32_u32_e32 v1, s2
	s_sub_i32 s5, 0, s2
	s_delay_alu instid0(VALU_DEP_1) | instskip(SKIP_2) | instid1(VALU_DEP_1)
	v_rcp_iflag_f32_e32 v1, v1
	s_waitcnt_depctr 0xfff
	v_mul_f32_e32 v1, 0x4f7ffffe, v1
	v_cvt_u32_f32_e32 v1, v1
	s_delay_alu instid0(VALU_DEP_1) | instskip(NEXT) | instid1(VALU_DEP_1)
	v_readfirstlane_b32 s4, v1
	s_mul_i32 s5, s5, s4
	s_delay_alu instid0(SALU_CYCLE_1) | instskip(NEXT) | instid1(SALU_CYCLE_1)
	s_mul_hi_u32 s5, s4, s5
	s_add_i32 s7, s4, s5
	s_load_b64 s[4:5], s[0:1], 0xc8
	s_mul_hi_u32 s7, s6, s7
	s_delay_alu instid0(SALU_CYCLE_1) | instskip(NEXT) | instid1(SALU_CYCLE_1)
	s_mul_i32 s7, s7, s2
	s_sub_i32 s6, s6, s7
	s_ashr_i32 s7, s33, 31
	s_sub_i32 s36, s6, s2
	s_cmp_ge_u32 s6, s2
	s_cselect_b32 s6, s36, s6
	s_delay_alu instid0(SALU_CYCLE_1) | instskip(SKIP_2) | instid1(SALU_CYCLE_1)
	s_sub_i32 s36, s6, s2
	s_cmp_ge_u32 s6, s2
	s_cselect_b32 s2, s36, s6
	s_xor_b32 s2, s2, s7
	s_delay_alu instid0(SALU_CYCLE_1)
	s_sub_i32 s2, s2, s7
	s_waitcnt lgkmcnt(0)
	s_mul_i32 s5, s2, s5
	s_mul_hi_u32 s6, s2, s4
	s_ashr_i32 s7, s2, 31
	s_add_i32 s5, s6, s5
	s_mul_i32 s7, s7, s4
	s_mul_i32 s2, s2, s4
	s_add_i32 s5, s5, s7
	s_add_u32 s36, s22, s2
	s_addc_u32 s37, s23, s5
.LBB33_2:
	v_bfe_u32 v2, v0, 10, 10
	s_load_b128 s[4:7], s[0:1], 0x70
	v_and_b32_e32 v33, 0x3ff, v0
	s_delay_alu instid0(VALU_DEP_2) | instskip(NEXT) | instid1(VALU_DEP_2)
	v_lshl_add_u32 v32, s13, 2, v2
	v_lshlrev_b32_e32 v0, 4, v33
	s_delay_alu instid0(VALU_DEP_2) | instskip(NEXT) | instid1(VALU_DEP_1)
	v_mul_hi_u32 v1, s8, v32
	v_add_nc_u32_e32 v1, v32, v1
	s_waitcnt lgkmcnt(0)
	s_mul_i32 s2, s33, s6
	s_mul_i32 s6, s12, s5
	s_delay_alu instid0(VALU_DEP_1)
	v_lshrrev_b32_e32 v1, s9, v1
	s_ashr_i32 s7, s2, 31
	s_add_u32 s2, s16, s2
	s_addc_u32 s7, s17, s7
	s_ashr_i32 s8, s6, 31
	v_mul_lo_u32 v1, v1, s10
	s_add_u32 s2, s2, s6
	s_addc_u32 s6, s7, s8
	s_ashr_i32 s7, s4, 31
	s_delay_alu instid0(SALU_CYCLE_1) | instskip(SKIP_1) | instid1(VALU_DEP_2)
	v_alignbit_b32 v5, s7, s4, 2
	s_lshr_b32 s4, s7, 2
	v_sub_nc_u32_e32 v1, v32, v1
	s_delay_alu instid0(VALU_DEP_1) | instskip(NEXT) | instid1(VALU_DEP_1)
	v_mad_u64_u32 v[3:4], null, v5, v1, 0
	v_mad_u64_u32 v[5:6], null, s4, v1, v[4:5]
	s_and_b32 s4, s5, -4
	s_delay_alu instid0(VALU_DEP_1) | instskip(NEXT) | instid1(VALU_DEP_1)
	v_mov_b32_e32 v4, v5
	v_lshlrev_b64 v[3:4], 2, v[3:4]
	s_delay_alu instid0(VALU_DEP_1) | instskip(NEXT) | instid1(VALU_DEP_2)
	v_add_co_u32 v3, vcc_lo, s2, v3
	v_add_co_ci_u32_e32 v4, vcc_lo, s6, v4, vcc_lo
	s_ashr_i32 s2, s5, 31
	s_delay_alu instid0(VALU_DEP_2) | instskip(NEXT) | instid1(VALU_DEP_2)
	v_add_co_u32 v11, vcc_lo, v3, v0
	v_add_co_ci_u32_e32 v12, vcc_lo, 0, v4, vcc_lo
	v_lshlrev_b32_e32 v0, 3, v33
	s_delay_alu instid0(VALU_DEP_3) | instskip(NEXT) | instid1(VALU_DEP_3)
	v_add_co_u32 v15, vcc_lo, v11, s4
	v_add_co_ci_u32_e32 v16, vcc_lo, s2, v12, vcc_lo
	s_clause 0x1
	global_load_b128 v[3:6], v[11:12], off
	global_load_b128 v[7:10], v[11:12], off offset:512
	s_load_b32 s2, s[0:1], 0x40
	v_lshl_or_b32 v0, v2, 10, v0
	s_clause 0x1
	global_load_b128 v[11:14], v[15:16], off
	global_load_b128 v[15:18], v[15:16], off offset:512
	s_mov_b32 s5, 0
	s_cmp_eq_u64 s[26:27], 0
	v_add_nc_u32_e32 v0, 0x4000, v0
	s_waitcnt vmcnt(3) lgkmcnt(0)
	v_fma_mixlo_f16 v20, v5, s2, 0
	v_fma_mixlo_f16 v19, v3, s2, 0
	s_waitcnt vmcnt(2)
	v_fma_mixlo_f16 v22, v9, s2, 0
	v_fma_mixlo_f16 v21, v7, s2, 0
	s_waitcnt vmcnt(1)
	v_fma_mixlo_f16 v3, v11, s2, 0
	v_fma_mixhi_f16 v20, v6, s2, 0
	v_fma_mixhi_f16 v19, v4, s2, 0
	v_fma_mixlo_f16 v4, v13, s2, 0
	s_waitcnt vmcnt(0)
	v_fma_mixlo_f16 v6, v17, s2, 0
	v_fma_mixlo_f16 v5, v15, s2, 0
	v_fma_mixhi_f16 v22, v10, s2, 0
	v_fma_mixhi_f16 v21, v8, s2, 0
	;; [unrolled: 1-line block ×6, first 2 shown]
	ds_store_2addr_b64 v0, v[19:20], v[21:22] offset0:64 offset1:96
	ds_store_2addr_b64 v0, v[3:4], v[5:6] offset0:128 offset1:160
	s_waitcnt lgkmcnt(0)
	s_barrier
	buffer_gl0_inv
	s_cbranch_scc1 .LBB33_4
; %bb.3:
	s_load_b32 s2, s[0:1], 0xd0
	s_waitcnt lgkmcnt(0)
	s_mul_i32 s2, s2, s33
	s_delay_alu instid0(SALU_CYCLE_1) | instskip(NEXT) | instid1(SALU_CYCLE_1)
	s_add_i32 s4, s2, s13
	s_lshl_b64 s[4:5], s[4:5], 2
	s_delay_alu instid0(SALU_CYCLE_1)
	s_add_u32 s4, s26, s4
	s_addc_u32 s5, s27, s5
	s_load_b32 s34, s[4:5], 0x0
.LBB33_4:
	v_lshlrev_b32_e32 v69, 2, v33
	v_mbcnt_lo_u32_b32 v70, -1, 0
	s_lshl_b32 s9, s14, 5
	s_waitcnt lgkmcnt(0)
	s_cmp_lt_i32 s9, s34
	s_cbranch_scc1 .LBB33_6
; %bb.5:
	v_mbcnt_lo_u32_b32 v0, -1, 0
	v_mov_b32_e32 v72, 32
	s_mov_b32 s2, 0
	s_mov_b32 s4, 0xfeffffff
	s_delay_alu instid0(VALU_DEP_2)
	v_xor_b32_e32 v78, 16, v0
	v_xor_b32_e32 v77, 8, v0
	;; [unrolled: 1-line block ×5, first 2 shown]
	s_branch .LBB33_7
.LBB33_6:
	s_mov_b32 s2, -1
                                        ; implicit-def: $sgpr4
                                        ; implicit-def: $vgpr0
                                        ; implicit-def: $vgpr72
                                        ; implicit-def: $vgpr78
                                        ; implicit-def: $vgpr77
                                        ; implicit-def: $vgpr75
                                        ; implicit-def: $vgpr74
                                        ; implicit-def: $vgpr73
.LBB33_7:
	s_delay_alu instid0(SALU_CYCLE_1) | instskip(SKIP_2) | instid1(VALU_DEP_3)
	v_cndmask_b32_e64 v3, 0, 1, s2
	v_dual_mov_b32 v68, s4 :: v_dual_mov_b32 v117, s2
	v_dual_mov_b32 v87, s2 :: v_dual_mov_b32 v80, s2
	v_cmp_ne_u32_e32 vcc_lo, 1, v3
	v_dual_mov_b32 v67, s4 :: v_dual_mov_b32 v114, s2
	v_dual_mov_b32 v93, s2 :: v_dual_mov_b32 v112, s2
	;; [unrolled: 1-line block ×3, first 2 shown]
	v_mov_b32_e32 v71, s2
	v_mov_b32_e32 v111, s2
	s_cbranch_vccnz .LBB33_11
; %bb.8:
	s_clause 0x1
	s_load_b128 s[4:7], s[0:1], 0x98
	s_load_b64 s[16:17], s[0:1], 0x8c
	s_sub_i32 s2, 0, s35
	s_abs_i32 s8, s12
	s_mul_i32 s2, s2, s38
	s_ashr_i32 s26, s12, 31
	s_mul_hi_u32 s2, s38, s2
	s_ashr_i32 s27, s15, 31
	s_add_i32 s38, s38, s2
	s_ashr_i32 s2, s3, 1
	s_mul_hi_u32 s3, s8, s38
	s_ashr_i32 s38, s33, 31
	s_load_b64 s[22:23], s[0:1], 0xa8
	s_mul_i32 s39, s3, s35
	v_dual_mov_b32 v67, 0xfeffffff :: v_dual_lshlrev_b32 v76, 2, v69
	v_dual_mov_b32 v80, 0 :: v_dual_lshlrev_b32 v31, 1, v33
	v_mad_u64_u32 v[34:35], null, v1, s2, v[33:34]
	s_waitcnt lgkmcnt(0)
	s_mul_i32 s5, s33, s5
	s_mul_hi_u32 s40, s33, s4
	s_mul_i32 s41, s38, s4
	s_add_i32 s5, s40, s5
	s_mul_i32 s4, s33, s4
	s_ashr_i32 s13, s6, 2
	s_ashr_i32 s15, s16, 2
	s_add_i32 s5, s5, s41
	s_add_u32 s4, s18, s4
	s_addc_u32 s5, s19, s5
	s_sub_i32 s8, s8, s39
	s_xor_b32 s18, s26, s27
	s_add_i32 s19, s3, 1
	s_sub_i32 s26, s8, s35
	s_cmp_ge_u32 s8, s35
	s_mul_i32 s38, s38, s22
	s_cselect_b32 s3, s19, s3
	s_cselect_b32 s8, s26, s8
	s_add_i32 s19, s3, 1
	s_cmp_ge_u32 s8, s35
	s_mul_i32 s8, s33, s23
	s_cselect_b32 s3, s19, s3
	s_mul_hi_u32 s23, s33, s22
	s_xor_b32 s3, s3, s18
	v_mul_lo_u32 v3, s15, v2
	s_sub_i32 s3, s3, s18
	v_mul_lo_u32 v0, s13, v2
	s_mul_i32 s17, s3, s17
	s_mul_i32 s22, s33, s22
	s_ashr_i32 s19, s17, 31
	s_add_u32 s18, s4, s17
	s_addc_u32 s19, s5, s19
	s_add_i32 s4, s23, s8
	s_mul_i32 s3, s3, s7
	s_add_i32 s4, s4, s38
	s_add_u32 s5, s20, s22
	s_addc_u32 s4, s21, s4
	s_ashr_i32 s7, s3, 31
	s_add_u32 s20, s5, s3
	s_addc_u32 s21, s4, s7
	s_and_b32 s3, s16, -4
	s_and_b32 s4, s6, -4
	v_dual_mov_b32 v110, 0 :: v_dual_add_nc_u32 v5, s3, v3
	v_dual_mov_b32 v72, 32 :: v_dual_add_nc_u32 v13, s4, v0
	s_delay_alu instid0(VALU_DEP_2) | instskip(SKIP_1) | instid1(VALU_DEP_3)
	v_dual_mov_b32 v112, 0 :: v_dual_add_nc_u32 v7, s3, v5
	v_ashrrev_i32_e32 v4, 31, v3
	v_dual_mov_b32 v68, 0xfeffffff :: v_dual_add_nc_u32 v17, s4, v13
	v_ashrrev_i32_e32 v6, 31, v5
	s_delay_alu instid0(VALU_DEP_4) | instskip(SKIP_1) | instid1(VALU_DEP_4)
	v_add_nc_u32_e32 v9, s3, v7
	v_ashrrev_i32_e32 v8, 31, v7
	v_add_nc_u32_e32 v21, s4, v17
	v_ashrrev_i32_e32 v1, 31, v0
	v_ashrrev_i32_e32 v14, 31, v13
	v_add_nc_u32_e32 v11, s3, v9
	v_ashrrev_i32_e32 v10, 31, v9
	v_add_nc_u32_e32 v25, s4, v21
	v_ashrrev_i32_e32 v18, 31, v17
	v_ashrrev_i32_e32 v22, 31, v21
	v_add_nc_u32_e32 v15, s3, v11
	v_ashrrev_i32_e32 v12, 31, v11
	v_add_nc_u32_e32 v27, s4, v25
	v_ashrrev_i32_e32 v26, 31, v25
	v_mad_u32_u24 v82, 0x210, v2, v76
	v_add_nc_u32_e32 v19, s3, v15
	v_ashrrev_i32_e32 v16, 31, v15
	v_add_nc_u32_e32 v29, s4, v27
	v_ashrrev_i32_e32 v28, 31, v27
	v_lshl_add_u32 v83, v2, 7, 0x5200
	v_add_nc_u32_e32 v23, s3, v19
	v_ashrrev_i32_e32 v20, 31, v19
	v_add_nc_u32_e32 v65, s4, v29
	v_ashrrev_i32_e32 v30, 31, v29
	v_lshl_add_u32 v84, v2, 9, v76
	v_ashrrev_i32_e32 v24, 31, v23
	v_lshlrev_b32_e32 v102, 2, v31
	v_ashrrev_i32_e32 v66, 31, v65
	v_lshlrev_b64 v[35:36], 2, v[3:4]
	v_lshlrev_b64 v[37:38], 2, v[5:6]
	;; [unrolled: 1-line block ×16, first 2 shown]
	v_mul_u32_u24_e32 v79, 0x210, v33
	v_lshl_add_u32 v81, v2, 10, 0x4200
	v_dual_mov_b32 v114, 0 :: v_dual_add_nc_u32 v85, 0x840, v82
	v_dual_mov_b32 v111, 0 :: v_dual_add_nc_u32 v86, 0x1080, v82
	v_dual_mov_b32 v71, 0 :: v_dual_add_nc_u32 v88, 0x18c0, v82
	v_add_nc_u32_e32 v89, 0x2100, v82
	v_dual_mov_b32 v113, 0 :: v_dual_add_nc_u32 v90, 0x2940, v82
	v_add_nc_u32_e32 v91, 0x3180, v82
	v_dual_mov_b32 v93, 0 :: v_dual_add_nc_u32 v92, 0x39c0, v82
	v_lshl_add_u32 v94, v31, 1, v83
	v_add_nc_u32_e32 v95, 0x800, v84
	v_dual_mov_b32 v87, 0 :: v_dual_add_nc_u32 v96, 0x1000, v84
	v_add_nc_u32_e32 v97, 0x1800, v84
	v_dual_mov_b32 v117, 0 :: v_dual_add_nc_u32 v98, 0x2000, v84
	v_add_nc_u32_e32 v99, 0x2800, v84
	v_add_nc_u32_e32 v100, 0x3000, v84
	;; [unrolled: 1-line block ×3, first 2 shown]
	v_xor_b32_e32 v78, 16, v70
	v_xor_b32_e32 v77, 8, v70
	;; [unrolled: 1-line block ×5, first 2 shown]
	v_add_nc_u32_e32 v103, 0x800, v102
	v_add_nc_u32_e32 v104, 0x1000, v102
	;; [unrolled: 1-line block ×7, first 2 shown]
	s_add_u32 s16, s0, 0xd0
	s_addc_u32 s17, s1, 0
.LBB33_9:                               ; =>This Inner Loop Header: Depth=1
	s_mul_hi_i32 s3, s9, s15
	s_mul_i32 s2, s9, s15
	v_dual_mov_b32 v118, 0 :: v_dual_mov_b32 v119, 0
	s_lshl_b64 s[2:3], s[2:3], 2
	v_dual_mov_b32 v115, v68 :: v_dual_mov_b32 v116, v67
	s_add_u32 s8, s18, s2
	s_addc_u32 s22, s19, s3
	v_add_co_u32 v0, vcc_lo, s8, v37
	v_add_co_u32 v1, s2, s8, v39
	v_add_co_u32 v2, s3, s8, v41
	;; [unrolled: 1-line block ×7, first 2 shown]
	s_delay_alu instid0(VALU_DEP_1)
	v_add_co_ci_u32_e64 v10, s8, s22, v36, s8
	v_add_co_ci_u32_e32 v11, vcc_lo, s22, v38, vcc_lo
	v_add_co_ci_u32_e64 v13, vcc_lo, s22, v40, s2
	v_add_co_ci_u32_e64 v14, vcc_lo, s22, v42, s3
	;; [unrolled: 1-line block ×6, first 2 shown]
	v_add_co_u32 v4, vcc_lo, v0, v76
	v_add_co_u32 v0, s8, v9, v76
	v_add_co_u32 v8, s2, v1, v76
	v_add_co_ci_u32_e64 v1, s8, 0, v10, s8
	v_add_co_u32 v12, s3, v2, v76
	v_add_co_u32 v20, s5, v5, v76
	v_add_co_ci_u32_e32 v5, vcc_lo, 0, v11, vcc_lo
	v_add_co_u32 v16, s4, v3, v76
	v_add_co_u32 v24, s6, v6, v76
	;; [unrolled: 1-line block ×3, first 2 shown]
	v_add_co_ci_u32_e64 v9, vcc_lo, 0, v13, s2
	v_add_co_ci_u32_e64 v13, vcc_lo, 0, v14, s3
	;; [unrolled: 1-line block ×6, first 2 shown]
	s_clause 0x7
	global_load_b128 v[0:3], v[0:1], off
	global_load_b128 v[4:7], v[4:5], off
	;; [unrolled: 1-line block ×8, first 2 shown]
	v_dual_mov_b32 v120, v117 :: v_dual_add_nc_u32 v67, s9, v34
	v_cmp_gt_i32_e32 vcc_lo, 32, v78
	v_cmp_gt_i32_e64 s2, 32, v77
	v_cmp_gt_i32_e64 s3, 32, v75
	s_delay_alu instid0(VALU_DEP_4) | instskip(SKIP_3) | instid1(VALU_DEP_2)
	v_ashrrev_i32_e32 v68, 31, v67
	s_mul_hi_i32 s7, s9, s13
	v_dual_cndmask_b32 v117, v70, v78 :: v_dual_max_f32 v126, v116, v116
	s_mul_i32 s6, s9, s13
	v_lshlrev_b64 v[67:68], 1, v[67:68]
	v_cmp_gt_i32_e64 s4, 32, v74
	v_cmp_gt_i32_e64 s5, 32, v73
	v_cndmask_b32_e64 v121, v70, v77, s2
	v_cndmask_b32_e64 v122, v70, v75, s3
	s_lshl_b64 s[2:3], s[6:7], 2
	v_add_co_u32 v67, vcc_lo, s36, v67
	v_add_co_ci_u32_e32 v68, vcc_lo, s37, v68, vcc_lo
	s_add_u32 s8, s20, s2
	v_cndmask_b32_e64 v123, v70, v74, s4
	v_cndmask_b32_e64 v124, v70, v73, s5
	s_addc_u32 s22, s21, s3
	v_max_f32_e32 v125, v115, v115
	s_waitcnt vmcnt(7)
	ds_store_b128 v82, v[0:3]
	s_waitcnt vmcnt(6)
	ds_store_b128 v85, v[4:7]
	;; [unrolled: 2-line block ×8, first 2 shown]
	s_waitcnt lgkmcnt(0)
	s_barrier
	buffer_gl0_inv
	ds_load_b128 v[0:3], v79
	ds_load_b128 v[4:7], v81
	ds_load_b128 v[8:11], v81 offset:512
	s_waitcnt lgkmcnt(1)
	;;#ASMSTART
	v_dot2_f32_f16 v118, v0, v4, v118
	;;#ASMEND
	;;#ASMSTART
	v_dot2_f32_f16 v118, v1, v5, v118
	;;#ASMEND
	;;#ASMSTART
	v_dot2_f32_f16 v118, v2, v6, v118
	;;#ASMEND
	;;#ASMSTART
	v_dot2_f32_f16 v118, v3, v7, v118
	;;#ASMEND
	s_waitcnt lgkmcnt(0)
	;;#ASMSTART
	v_dot2_f32_f16 v119, v0, v8, v119
	;;#ASMEND
	;;#ASMSTART
	v_dot2_f32_f16 v119, v1, v9, v119
	;;#ASMEND
	;;#ASMSTART
	v_dot2_f32_f16 v119, v2, v10, v119
	;;#ASMEND
	;;#ASMSTART
	v_dot2_f32_f16 v119, v3, v11, v119
	;;#ASMEND
	ds_load_b128 v[0:3], v79 offset:16
	ds_load_b128 v[4:7], v81 offset:16
	ds_load_b128 v[8:11], v81 offset:528
	s_waitcnt lgkmcnt(1)
	;;#ASMSTART
	v_dot2_f32_f16 v118, v0, v4, v118
	;;#ASMEND
	;;#ASMSTART
	v_dot2_f32_f16 v118, v1, v5, v118
	;;#ASMEND
	;;#ASMSTART
	v_dot2_f32_f16 v118, v2, v6, v118
	;;#ASMEND
	;;#ASMSTART
	v_dot2_f32_f16 v118, v3, v7, v118
	;;#ASMEND
	s_waitcnt lgkmcnt(0)
	;;#ASMSTART
	v_dot2_f32_f16 v119, v0, v8, v119
	;;#ASMEND
	;;#ASMSTART
	v_dot2_f32_f16 v119, v1, v9, v119
	;;#ASMEND
	;;#ASMSTART
	v_dot2_f32_f16 v119, v2, v10, v119
	;;#ASMEND
	;;#ASMSTART
	v_dot2_f32_f16 v119, v3, v11, v119
	;;#ASMEND
	ds_load_b128 v[0:3], v79 offset:32
	ds_load_b128 v[4:7], v81 offset:32
	ds_load_b128 v[8:11], v81 offset:544
	s_waitcnt lgkmcnt(1)
	;;#ASMSTART
	v_dot2_f32_f16 v118, v0, v4, v118
	;;#ASMEND
	;;#ASMSTART
	v_dot2_f32_f16 v118, v1, v5, v118
	;;#ASMEND
	;;#ASMSTART
	v_dot2_f32_f16 v118, v2, v6, v118
	;;#ASMEND
	;;#ASMSTART
	v_dot2_f32_f16 v118, v3, v7, v118
	;;#ASMEND
	s_waitcnt lgkmcnt(0)
	;;#ASMSTART
	v_dot2_f32_f16 v119, v0, v8, v119
	;;#ASMEND
	;;#ASMSTART
	v_dot2_f32_f16 v119, v1, v9, v119
	;;#ASMEND
	;;#ASMSTART
	v_dot2_f32_f16 v119, v2, v10, v119
	;;#ASMEND
	;;#ASMSTART
	v_dot2_f32_f16 v119, v3, v11, v119
	;;#ASMEND
	ds_load_b128 v[0:3], v79 offset:48
	ds_load_b128 v[4:7], v81 offset:48
	ds_load_b128 v[8:11], v81 offset:560
	s_waitcnt lgkmcnt(1)
	;;#ASMSTART
	v_dot2_f32_f16 v118, v0, v4, v118
	;;#ASMEND
	;;#ASMSTART
	v_dot2_f32_f16 v118, v1, v5, v118
	;;#ASMEND
	;;#ASMSTART
	v_dot2_f32_f16 v118, v2, v6, v118
	;;#ASMEND
	;;#ASMSTART
	v_dot2_f32_f16 v118, v3, v7, v118
	;;#ASMEND
	s_waitcnt lgkmcnt(0)
	;;#ASMSTART
	v_dot2_f32_f16 v119, v0, v8, v119
	;;#ASMEND
	;;#ASMSTART
	v_dot2_f32_f16 v119, v1, v9, v119
	;;#ASMEND
	;;#ASMSTART
	v_dot2_f32_f16 v119, v2, v10, v119
	;;#ASMEND
	;;#ASMSTART
	v_dot2_f32_f16 v119, v3, v11, v119
	;;#ASMEND
	ds_load_b128 v[0:3], v79 offset:64
	ds_load_b128 v[4:7], v81 offset:64
	ds_load_b128 v[8:11], v81 offset:576
	s_waitcnt lgkmcnt(1)
	;;#ASMSTART
	v_dot2_f32_f16 v118, v0, v4, v118
	;;#ASMEND
	;;#ASMSTART
	v_dot2_f32_f16 v118, v1, v5, v118
	;;#ASMEND
	;;#ASMSTART
	v_dot2_f32_f16 v118, v2, v6, v118
	;;#ASMEND
	;;#ASMSTART
	v_dot2_f32_f16 v118, v3, v7, v118
	;;#ASMEND
	s_waitcnt lgkmcnt(0)
	;;#ASMSTART
	v_dot2_f32_f16 v119, v0, v8, v119
	;;#ASMEND
	;;#ASMSTART
	v_dot2_f32_f16 v119, v1, v9, v119
	;;#ASMEND
	;;#ASMSTART
	v_dot2_f32_f16 v119, v2, v10, v119
	;;#ASMEND
	;;#ASMSTART
	v_dot2_f32_f16 v119, v3, v11, v119
	;;#ASMEND
	ds_load_b128 v[0:3], v79 offset:80
	ds_load_b128 v[4:7], v81 offset:80
	ds_load_b128 v[8:11], v81 offset:592
	s_waitcnt lgkmcnt(1)
	;;#ASMSTART
	v_dot2_f32_f16 v118, v0, v4, v118
	;;#ASMEND
	;;#ASMSTART
	v_dot2_f32_f16 v118, v1, v5, v118
	;;#ASMEND
	;;#ASMSTART
	v_dot2_f32_f16 v118, v2, v6, v118
	;;#ASMEND
	;;#ASMSTART
	v_dot2_f32_f16 v118, v3, v7, v118
	;;#ASMEND
	s_waitcnt lgkmcnt(0)
	;;#ASMSTART
	v_dot2_f32_f16 v119, v0, v8, v119
	;;#ASMEND
	;;#ASMSTART
	v_dot2_f32_f16 v119, v1, v9, v119
	;;#ASMEND
	;;#ASMSTART
	v_dot2_f32_f16 v119, v2, v10, v119
	;;#ASMEND
	;;#ASMSTART
	v_dot2_f32_f16 v119, v3, v11, v119
	;;#ASMEND
	ds_load_b128 v[0:3], v79 offset:96
	ds_load_b128 v[4:7], v81 offset:96
	ds_load_b128 v[8:11], v81 offset:608
	s_waitcnt lgkmcnt(1)
	;;#ASMSTART
	v_dot2_f32_f16 v118, v0, v4, v118
	;;#ASMEND
	;;#ASMSTART
	v_dot2_f32_f16 v118, v1, v5, v118
	;;#ASMEND
	;;#ASMSTART
	v_dot2_f32_f16 v118, v2, v6, v118
	;;#ASMEND
	;;#ASMSTART
	v_dot2_f32_f16 v118, v3, v7, v118
	;;#ASMEND
	s_waitcnt lgkmcnt(0)
	;;#ASMSTART
	v_dot2_f32_f16 v119, v0, v8, v119
	;;#ASMEND
	;;#ASMSTART
	v_dot2_f32_f16 v119, v1, v9, v119
	;;#ASMEND
	;;#ASMSTART
	v_dot2_f32_f16 v119, v2, v10, v119
	;;#ASMEND
	;;#ASMSTART
	v_dot2_f32_f16 v119, v3, v11, v119
	;;#ASMEND
	ds_load_b128 v[0:3], v79 offset:112
	ds_load_b128 v[4:7], v81 offset:112
	ds_load_b128 v[8:11], v81 offset:624
	s_waitcnt lgkmcnt(1)
	;;#ASMSTART
	v_dot2_f32_f16 v118, v0, v4, v118
	;;#ASMEND
	;;#ASMSTART
	v_dot2_f32_f16 v118, v1, v5, v118
	;;#ASMEND
	;;#ASMSTART
	v_dot2_f32_f16 v118, v2, v6, v118
	;;#ASMEND
	;;#ASMSTART
	v_dot2_f32_f16 v118, v3, v7, v118
	;;#ASMEND
	s_waitcnt lgkmcnt(0)
	;;#ASMSTART
	v_dot2_f32_f16 v119, v0, v8, v119
	;;#ASMEND
	;;#ASMSTART
	v_dot2_f32_f16 v119, v1, v9, v119
	;;#ASMEND
	;;#ASMSTART
	v_dot2_f32_f16 v119, v2, v10, v119
	;;#ASMEND
	;;#ASMSTART
	v_dot2_f32_f16 v119, v3, v11, v119
	;;#ASMEND
	ds_load_b128 v[0:3], v79 offset:128
	ds_load_b128 v[4:7], v81 offset:128
	ds_load_b128 v[8:11], v81 offset:640
	s_waitcnt lgkmcnt(1)
	;;#ASMSTART
	v_dot2_f32_f16 v118, v0, v4, v118
	;;#ASMEND
	;;#ASMSTART
	v_dot2_f32_f16 v118, v1, v5, v118
	;;#ASMEND
	;;#ASMSTART
	v_dot2_f32_f16 v118, v2, v6, v118
	;;#ASMEND
	;;#ASMSTART
	v_dot2_f32_f16 v118, v3, v7, v118
	;;#ASMEND
	s_waitcnt lgkmcnt(0)
	;;#ASMSTART
	v_dot2_f32_f16 v119, v0, v8, v119
	;;#ASMEND
	;;#ASMSTART
	v_dot2_f32_f16 v119, v1, v9, v119
	;;#ASMEND
	;;#ASMSTART
	v_dot2_f32_f16 v119, v2, v10, v119
	;;#ASMEND
	;;#ASMSTART
	v_dot2_f32_f16 v119, v3, v11, v119
	;;#ASMEND
	ds_load_b128 v[0:3], v79 offset:144
	ds_load_b128 v[4:7], v81 offset:144
	ds_load_b128 v[8:11], v81 offset:656
	s_waitcnt lgkmcnt(1)
	;;#ASMSTART
	v_dot2_f32_f16 v118, v0, v4, v118
	;;#ASMEND
	;;#ASMSTART
	v_dot2_f32_f16 v118, v1, v5, v118
	;;#ASMEND
	;;#ASMSTART
	v_dot2_f32_f16 v118, v2, v6, v118
	;;#ASMEND
	;;#ASMSTART
	v_dot2_f32_f16 v118, v3, v7, v118
	;;#ASMEND
	s_waitcnt lgkmcnt(0)
	;;#ASMSTART
	v_dot2_f32_f16 v119, v0, v8, v119
	;;#ASMEND
	;;#ASMSTART
	v_dot2_f32_f16 v119, v1, v9, v119
	;;#ASMEND
	;;#ASMSTART
	v_dot2_f32_f16 v119, v2, v10, v119
	;;#ASMEND
	;;#ASMSTART
	v_dot2_f32_f16 v119, v3, v11, v119
	;;#ASMEND
	ds_load_b128 v[0:3], v79 offset:160
	ds_load_b128 v[4:7], v81 offset:160
	ds_load_b128 v[8:11], v81 offset:672
	s_waitcnt lgkmcnt(1)
	;;#ASMSTART
	v_dot2_f32_f16 v118, v0, v4, v118
	;;#ASMEND
	;;#ASMSTART
	v_dot2_f32_f16 v118, v1, v5, v118
	;;#ASMEND
	;;#ASMSTART
	v_dot2_f32_f16 v118, v2, v6, v118
	;;#ASMEND
	;;#ASMSTART
	v_dot2_f32_f16 v118, v3, v7, v118
	;;#ASMEND
	s_waitcnt lgkmcnt(0)
	;;#ASMSTART
	v_dot2_f32_f16 v119, v0, v8, v119
	;;#ASMEND
	;;#ASMSTART
	v_dot2_f32_f16 v119, v1, v9, v119
	;;#ASMEND
	;;#ASMSTART
	v_dot2_f32_f16 v119, v2, v10, v119
	;;#ASMEND
	;;#ASMSTART
	v_dot2_f32_f16 v119, v3, v11, v119
	;;#ASMEND
	ds_load_b128 v[0:3], v79 offset:176
	ds_load_b128 v[4:7], v81 offset:176
	ds_load_b128 v[8:11], v81 offset:688
	s_waitcnt lgkmcnt(1)
	;;#ASMSTART
	v_dot2_f32_f16 v118, v0, v4, v118
	;;#ASMEND
	;;#ASMSTART
	v_dot2_f32_f16 v118, v1, v5, v118
	;;#ASMEND
	;;#ASMSTART
	v_dot2_f32_f16 v118, v2, v6, v118
	;;#ASMEND
	;;#ASMSTART
	v_dot2_f32_f16 v118, v3, v7, v118
	;;#ASMEND
	s_waitcnt lgkmcnt(0)
	;;#ASMSTART
	v_dot2_f32_f16 v119, v0, v8, v119
	;;#ASMEND
	;;#ASMSTART
	v_dot2_f32_f16 v119, v1, v9, v119
	;;#ASMEND
	;;#ASMSTART
	v_dot2_f32_f16 v119, v2, v10, v119
	;;#ASMEND
	;;#ASMSTART
	v_dot2_f32_f16 v119, v3, v11, v119
	;;#ASMEND
	ds_load_b128 v[0:3], v79 offset:192
	ds_load_b128 v[4:7], v81 offset:192
	ds_load_b128 v[8:11], v81 offset:704
	s_waitcnt lgkmcnt(1)
	;;#ASMSTART
	v_dot2_f32_f16 v118, v0, v4, v118
	;;#ASMEND
	;;#ASMSTART
	v_dot2_f32_f16 v118, v1, v5, v118
	;;#ASMEND
	;;#ASMSTART
	v_dot2_f32_f16 v118, v2, v6, v118
	;;#ASMEND
	;;#ASMSTART
	v_dot2_f32_f16 v118, v3, v7, v118
	;;#ASMEND
	s_waitcnt lgkmcnt(0)
	;;#ASMSTART
	v_dot2_f32_f16 v119, v0, v8, v119
	;;#ASMEND
	;;#ASMSTART
	v_dot2_f32_f16 v119, v1, v9, v119
	;;#ASMEND
	;;#ASMSTART
	v_dot2_f32_f16 v119, v2, v10, v119
	;;#ASMEND
	;;#ASMSTART
	v_dot2_f32_f16 v119, v3, v11, v119
	;;#ASMEND
	ds_load_b128 v[0:3], v79 offset:208
	ds_load_b128 v[4:7], v81 offset:208
	ds_load_b128 v[8:11], v81 offset:720
	s_waitcnt lgkmcnt(1)
	;;#ASMSTART
	v_dot2_f32_f16 v118, v0, v4, v118
	;;#ASMEND
	;;#ASMSTART
	v_dot2_f32_f16 v118, v1, v5, v118
	;;#ASMEND
	;;#ASMSTART
	v_dot2_f32_f16 v118, v2, v6, v118
	;;#ASMEND
	;;#ASMSTART
	v_dot2_f32_f16 v118, v3, v7, v118
	;;#ASMEND
	s_waitcnt lgkmcnt(0)
	;;#ASMSTART
	v_dot2_f32_f16 v119, v0, v8, v119
	;;#ASMEND
	;;#ASMSTART
	v_dot2_f32_f16 v119, v1, v9, v119
	;;#ASMEND
	;;#ASMSTART
	v_dot2_f32_f16 v119, v2, v10, v119
	;;#ASMEND
	;;#ASMSTART
	v_dot2_f32_f16 v119, v3, v11, v119
	;;#ASMEND
	ds_load_b128 v[0:3], v79 offset:224
	ds_load_b128 v[4:7], v81 offset:224
	ds_load_b128 v[8:11], v81 offset:736
	s_waitcnt lgkmcnt(1)
	;;#ASMSTART
	v_dot2_f32_f16 v118, v0, v4, v118
	;;#ASMEND
	;;#ASMSTART
	v_dot2_f32_f16 v118, v1, v5, v118
	;;#ASMEND
	;;#ASMSTART
	v_dot2_f32_f16 v118, v2, v6, v118
	;;#ASMEND
	;;#ASMSTART
	v_dot2_f32_f16 v118, v3, v7, v118
	;;#ASMEND
	s_waitcnt lgkmcnt(0)
	;;#ASMSTART
	v_dot2_f32_f16 v119, v0, v8, v119
	;;#ASMEND
	;;#ASMSTART
	v_dot2_f32_f16 v119, v1, v9, v119
	;;#ASMEND
	;;#ASMSTART
	v_dot2_f32_f16 v119, v2, v10, v119
	;;#ASMEND
	;;#ASMSTART
	v_dot2_f32_f16 v119, v3, v11, v119
	;;#ASMEND
	ds_load_b128 v[0:3], v79 offset:240
	ds_load_b128 v[4:7], v81 offset:240
	ds_load_b128 v[8:11], v81 offset:752
	s_waitcnt lgkmcnt(1)
	;;#ASMSTART
	v_dot2_f32_f16 v118, v0, v4, v118
	;;#ASMEND
	;;#ASMSTART
	v_dot2_f32_f16 v118, v1, v5, v118
	;;#ASMEND
	;;#ASMSTART
	v_dot2_f32_f16 v118, v2, v6, v118
	;;#ASMEND
	;;#ASMSTART
	v_dot2_f32_f16 v118, v3, v7, v118
	;;#ASMEND
	s_waitcnt lgkmcnt(0)
	;;#ASMSTART
	v_dot2_f32_f16 v119, v0, v8, v119
	;;#ASMEND
	;;#ASMSTART
	v_dot2_f32_f16 v119, v1, v9, v119
	;;#ASMEND
	;;#ASMSTART
	v_dot2_f32_f16 v119, v2, v10, v119
	;;#ASMEND
	;;#ASMSTART
	v_dot2_f32_f16 v119, v3, v11, v119
	;;#ASMEND
	ds_load_b128 v[0:3], v79 offset:256
	ds_load_b128 v[4:7], v81 offset:256
	ds_load_b128 v[8:11], v81 offset:768
	s_waitcnt lgkmcnt(1)
	;;#ASMSTART
	v_dot2_f32_f16 v118, v0, v4, v118
	;;#ASMEND
	;;#ASMSTART
	v_dot2_f32_f16 v118, v1, v5, v118
	;;#ASMEND
	;;#ASMSTART
	v_dot2_f32_f16 v118, v2, v6, v118
	;;#ASMEND
	;;#ASMSTART
	v_dot2_f32_f16 v118, v3, v7, v118
	;;#ASMEND
	s_waitcnt lgkmcnt(0)
	;;#ASMSTART
	v_dot2_f32_f16 v119, v0, v8, v119
	;;#ASMEND
	;;#ASMSTART
	v_dot2_f32_f16 v119, v1, v9, v119
	;;#ASMEND
	;;#ASMSTART
	v_dot2_f32_f16 v119, v2, v10, v119
	;;#ASMEND
	;;#ASMSTART
	v_dot2_f32_f16 v119, v3, v11, v119
	;;#ASMEND
	ds_load_b128 v[0:3], v79 offset:272
	ds_load_b128 v[4:7], v81 offset:272
	ds_load_b128 v[8:11], v81 offset:784
	s_waitcnt lgkmcnt(1)
	;;#ASMSTART
	v_dot2_f32_f16 v118, v0, v4, v118
	;;#ASMEND
	;;#ASMSTART
	v_dot2_f32_f16 v118, v1, v5, v118
	;;#ASMEND
	;;#ASMSTART
	v_dot2_f32_f16 v118, v2, v6, v118
	;;#ASMEND
	;;#ASMSTART
	v_dot2_f32_f16 v118, v3, v7, v118
	;;#ASMEND
	s_waitcnt lgkmcnt(0)
	;;#ASMSTART
	v_dot2_f32_f16 v119, v0, v8, v119
	;;#ASMEND
	;;#ASMSTART
	v_dot2_f32_f16 v119, v1, v9, v119
	;;#ASMEND
	;;#ASMSTART
	v_dot2_f32_f16 v119, v2, v10, v119
	;;#ASMEND
	;;#ASMSTART
	v_dot2_f32_f16 v119, v3, v11, v119
	;;#ASMEND
	ds_load_b128 v[0:3], v79 offset:288
	ds_load_b128 v[4:7], v81 offset:288
	ds_load_b128 v[8:11], v81 offset:800
	s_waitcnt lgkmcnt(1)
	;;#ASMSTART
	v_dot2_f32_f16 v118, v0, v4, v118
	;;#ASMEND
	;;#ASMSTART
	v_dot2_f32_f16 v118, v1, v5, v118
	;;#ASMEND
	;;#ASMSTART
	v_dot2_f32_f16 v118, v2, v6, v118
	;;#ASMEND
	;;#ASMSTART
	v_dot2_f32_f16 v118, v3, v7, v118
	;;#ASMEND
	s_waitcnt lgkmcnt(0)
	;;#ASMSTART
	v_dot2_f32_f16 v119, v0, v8, v119
	;;#ASMEND
	;;#ASMSTART
	v_dot2_f32_f16 v119, v1, v9, v119
	;;#ASMEND
	;;#ASMSTART
	v_dot2_f32_f16 v119, v2, v10, v119
	;;#ASMEND
	;;#ASMSTART
	v_dot2_f32_f16 v119, v3, v11, v119
	;;#ASMEND
	ds_load_b128 v[0:3], v79 offset:304
	ds_load_b128 v[4:7], v81 offset:304
	ds_load_b128 v[8:11], v81 offset:816
	s_waitcnt lgkmcnt(1)
	;;#ASMSTART
	v_dot2_f32_f16 v118, v0, v4, v118
	;;#ASMEND
	;;#ASMSTART
	v_dot2_f32_f16 v118, v1, v5, v118
	;;#ASMEND
	;;#ASMSTART
	v_dot2_f32_f16 v118, v2, v6, v118
	;;#ASMEND
	;;#ASMSTART
	v_dot2_f32_f16 v118, v3, v7, v118
	;;#ASMEND
	s_waitcnt lgkmcnt(0)
	;;#ASMSTART
	v_dot2_f32_f16 v119, v0, v8, v119
	;;#ASMEND
	;;#ASMSTART
	v_dot2_f32_f16 v119, v1, v9, v119
	;;#ASMEND
	;;#ASMSTART
	v_dot2_f32_f16 v119, v2, v10, v119
	;;#ASMEND
	;;#ASMSTART
	v_dot2_f32_f16 v119, v3, v11, v119
	;;#ASMEND
	ds_load_b128 v[0:3], v79 offset:320
	ds_load_b128 v[4:7], v81 offset:320
	ds_load_b128 v[8:11], v81 offset:832
	s_waitcnt lgkmcnt(1)
	;;#ASMSTART
	v_dot2_f32_f16 v118, v0, v4, v118
	;;#ASMEND
	;;#ASMSTART
	v_dot2_f32_f16 v118, v1, v5, v118
	;;#ASMEND
	;;#ASMSTART
	v_dot2_f32_f16 v118, v2, v6, v118
	;;#ASMEND
	;;#ASMSTART
	v_dot2_f32_f16 v118, v3, v7, v118
	;;#ASMEND
	s_waitcnt lgkmcnt(0)
	;;#ASMSTART
	v_dot2_f32_f16 v119, v0, v8, v119
	;;#ASMEND
	;;#ASMSTART
	v_dot2_f32_f16 v119, v1, v9, v119
	;;#ASMEND
	;;#ASMSTART
	v_dot2_f32_f16 v119, v2, v10, v119
	;;#ASMEND
	;;#ASMSTART
	v_dot2_f32_f16 v119, v3, v11, v119
	;;#ASMEND
	ds_load_b128 v[0:3], v79 offset:336
	ds_load_b128 v[4:7], v81 offset:336
	ds_load_b128 v[8:11], v81 offset:848
	s_waitcnt lgkmcnt(1)
	;;#ASMSTART
	v_dot2_f32_f16 v118, v0, v4, v118
	;;#ASMEND
	;;#ASMSTART
	v_dot2_f32_f16 v118, v1, v5, v118
	;;#ASMEND
	;;#ASMSTART
	v_dot2_f32_f16 v118, v2, v6, v118
	;;#ASMEND
	;;#ASMSTART
	v_dot2_f32_f16 v118, v3, v7, v118
	;;#ASMEND
	s_waitcnt lgkmcnt(0)
	;;#ASMSTART
	v_dot2_f32_f16 v119, v0, v8, v119
	;;#ASMEND
	;;#ASMSTART
	v_dot2_f32_f16 v119, v1, v9, v119
	;;#ASMEND
	;;#ASMSTART
	v_dot2_f32_f16 v119, v2, v10, v119
	;;#ASMEND
	;;#ASMSTART
	v_dot2_f32_f16 v119, v3, v11, v119
	;;#ASMEND
	ds_load_b128 v[0:3], v79 offset:352
	ds_load_b128 v[4:7], v81 offset:352
	ds_load_b128 v[8:11], v81 offset:864
	s_waitcnt lgkmcnt(1)
	;;#ASMSTART
	v_dot2_f32_f16 v118, v0, v4, v118
	;;#ASMEND
	;;#ASMSTART
	v_dot2_f32_f16 v118, v1, v5, v118
	;;#ASMEND
	;;#ASMSTART
	v_dot2_f32_f16 v118, v2, v6, v118
	;;#ASMEND
	;;#ASMSTART
	v_dot2_f32_f16 v118, v3, v7, v118
	;;#ASMEND
	s_waitcnt lgkmcnt(0)
	;;#ASMSTART
	v_dot2_f32_f16 v119, v0, v8, v119
	;;#ASMEND
	;;#ASMSTART
	v_dot2_f32_f16 v119, v1, v9, v119
	;;#ASMEND
	;;#ASMSTART
	v_dot2_f32_f16 v119, v2, v10, v119
	;;#ASMEND
	;;#ASMSTART
	v_dot2_f32_f16 v119, v3, v11, v119
	;;#ASMEND
	ds_load_b128 v[0:3], v79 offset:368
	ds_load_b128 v[4:7], v81 offset:368
	ds_load_b128 v[8:11], v81 offset:880
	s_waitcnt lgkmcnt(1)
	;;#ASMSTART
	v_dot2_f32_f16 v118, v0, v4, v118
	;;#ASMEND
	;;#ASMSTART
	v_dot2_f32_f16 v118, v1, v5, v118
	;;#ASMEND
	;;#ASMSTART
	v_dot2_f32_f16 v118, v2, v6, v118
	;;#ASMEND
	;;#ASMSTART
	v_dot2_f32_f16 v118, v3, v7, v118
	;;#ASMEND
	s_waitcnt lgkmcnt(0)
	;;#ASMSTART
	v_dot2_f32_f16 v119, v0, v8, v119
	;;#ASMEND
	;;#ASMSTART
	v_dot2_f32_f16 v119, v1, v9, v119
	;;#ASMEND
	;;#ASMSTART
	v_dot2_f32_f16 v119, v2, v10, v119
	;;#ASMEND
	;;#ASMSTART
	v_dot2_f32_f16 v119, v3, v11, v119
	;;#ASMEND
	ds_load_b128 v[0:3], v79 offset:384
	ds_load_b128 v[4:7], v81 offset:384
	ds_load_b128 v[8:11], v81 offset:896
	s_waitcnt lgkmcnt(1)
	;;#ASMSTART
	v_dot2_f32_f16 v118, v0, v4, v118
	;;#ASMEND
	;;#ASMSTART
	v_dot2_f32_f16 v118, v1, v5, v118
	;;#ASMEND
	;;#ASMSTART
	v_dot2_f32_f16 v118, v2, v6, v118
	;;#ASMEND
	;;#ASMSTART
	v_dot2_f32_f16 v118, v3, v7, v118
	;;#ASMEND
	s_waitcnt lgkmcnt(0)
	;;#ASMSTART
	v_dot2_f32_f16 v119, v0, v8, v119
	;;#ASMEND
	;;#ASMSTART
	v_dot2_f32_f16 v119, v1, v9, v119
	;;#ASMEND
	;;#ASMSTART
	v_dot2_f32_f16 v119, v2, v10, v119
	;;#ASMEND
	;;#ASMSTART
	v_dot2_f32_f16 v119, v3, v11, v119
	;;#ASMEND
	ds_load_b128 v[0:3], v79 offset:400
	ds_load_b128 v[4:7], v81 offset:400
	ds_load_b128 v[8:11], v81 offset:912
	s_waitcnt lgkmcnt(1)
	;;#ASMSTART
	v_dot2_f32_f16 v118, v0, v4, v118
	;;#ASMEND
	;;#ASMSTART
	v_dot2_f32_f16 v118, v1, v5, v118
	;;#ASMEND
	;;#ASMSTART
	v_dot2_f32_f16 v118, v2, v6, v118
	;;#ASMEND
	;;#ASMSTART
	v_dot2_f32_f16 v118, v3, v7, v118
	;;#ASMEND
	s_waitcnt lgkmcnt(0)
	;;#ASMSTART
	v_dot2_f32_f16 v119, v0, v8, v119
	;;#ASMEND
	;;#ASMSTART
	v_dot2_f32_f16 v119, v1, v9, v119
	;;#ASMEND
	;;#ASMSTART
	v_dot2_f32_f16 v119, v2, v10, v119
	;;#ASMEND
	;;#ASMSTART
	v_dot2_f32_f16 v119, v3, v11, v119
	;;#ASMEND
	ds_load_b128 v[0:3], v79 offset:416
	ds_load_b128 v[4:7], v81 offset:416
	ds_load_b128 v[8:11], v81 offset:928
	s_waitcnt lgkmcnt(1)
	;;#ASMSTART
	v_dot2_f32_f16 v118, v0, v4, v118
	;;#ASMEND
	;;#ASMSTART
	v_dot2_f32_f16 v118, v1, v5, v118
	;;#ASMEND
	;;#ASMSTART
	v_dot2_f32_f16 v118, v2, v6, v118
	;;#ASMEND
	;;#ASMSTART
	v_dot2_f32_f16 v118, v3, v7, v118
	;;#ASMEND
	s_waitcnt lgkmcnt(0)
	;;#ASMSTART
	v_dot2_f32_f16 v119, v0, v8, v119
	;;#ASMEND
	;;#ASMSTART
	v_dot2_f32_f16 v119, v1, v9, v119
	;;#ASMEND
	;;#ASMSTART
	v_dot2_f32_f16 v119, v2, v10, v119
	;;#ASMEND
	;;#ASMSTART
	v_dot2_f32_f16 v119, v3, v11, v119
	;;#ASMEND
	ds_load_b128 v[0:3], v79 offset:432
	ds_load_b128 v[4:7], v81 offset:432
	ds_load_b128 v[8:11], v81 offset:944
	s_waitcnt lgkmcnt(1)
	;;#ASMSTART
	v_dot2_f32_f16 v118, v0, v4, v118
	;;#ASMEND
	;;#ASMSTART
	v_dot2_f32_f16 v118, v1, v5, v118
	;;#ASMEND
	;;#ASMSTART
	v_dot2_f32_f16 v118, v2, v6, v118
	;;#ASMEND
	;;#ASMSTART
	v_dot2_f32_f16 v118, v3, v7, v118
	;;#ASMEND
	s_waitcnt lgkmcnt(0)
	;;#ASMSTART
	v_dot2_f32_f16 v119, v0, v8, v119
	;;#ASMEND
	;;#ASMSTART
	v_dot2_f32_f16 v119, v1, v9, v119
	;;#ASMEND
	;;#ASMSTART
	v_dot2_f32_f16 v119, v2, v10, v119
	;;#ASMEND
	;;#ASMSTART
	v_dot2_f32_f16 v119, v3, v11, v119
	;;#ASMEND
	ds_load_b128 v[0:3], v79 offset:448
	ds_load_b128 v[4:7], v81 offset:448
	ds_load_b128 v[8:11], v81 offset:960
	s_waitcnt lgkmcnt(1)
	;;#ASMSTART
	v_dot2_f32_f16 v118, v0, v4, v118
	;;#ASMEND
	;;#ASMSTART
	v_dot2_f32_f16 v118, v1, v5, v118
	;;#ASMEND
	;;#ASMSTART
	v_dot2_f32_f16 v118, v2, v6, v118
	;;#ASMEND
	;;#ASMSTART
	v_dot2_f32_f16 v118, v3, v7, v118
	;;#ASMEND
	s_waitcnt lgkmcnt(0)
	;;#ASMSTART
	v_dot2_f32_f16 v119, v0, v8, v119
	;;#ASMEND
	;;#ASMSTART
	v_dot2_f32_f16 v119, v1, v9, v119
	;;#ASMEND
	;;#ASMSTART
	v_dot2_f32_f16 v119, v2, v10, v119
	;;#ASMEND
	;;#ASMSTART
	v_dot2_f32_f16 v119, v3, v11, v119
	;;#ASMEND
	ds_load_b128 v[0:3], v79 offset:464
	ds_load_b128 v[4:7], v81 offset:464
	ds_load_b128 v[8:11], v81 offset:976
	s_waitcnt lgkmcnt(1)
	;;#ASMSTART
	v_dot2_f32_f16 v118, v0, v4, v118
	;;#ASMEND
	;;#ASMSTART
	v_dot2_f32_f16 v118, v1, v5, v118
	;;#ASMEND
	;;#ASMSTART
	v_dot2_f32_f16 v118, v2, v6, v118
	;;#ASMEND
	;;#ASMSTART
	v_dot2_f32_f16 v118, v3, v7, v118
	;;#ASMEND
	s_waitcnt lgkmcnt(0)
	;;#ASMSTART
	v_dot2_f32_f16 v119, v0, v8, v119
	;;#ASMEND
	;;#ASMSTART
	v_dot2_f32_f16 v119, v1, v9, v119
	;;#ASMEND
	;;#ASMSTART
	v_dot2_f32_f16 v119, v2, v10, v119
	;;#ASMEND
	;;#ASMSTART
	v_dot2_f32_f16 v119, v3, v11, v119
	;;#ASMEND
	ds_load_b128 v[0:3], v79 offset:480
	ds_load_b128 v[4:7], v81 offset:480
	ds_load_b128 v[8:11], v81 offset:992
	s_waitcnt lgkmcnt(1)
	;;#ASMSTART
	v_dot2_f32_f16 v118, v0, v4, v118
	;;#ASMEND
	;;#ASMSTART
	v_dot2_f32_f16 v118, v1, v5, v118
	;;#ASMEND
	;;#ASMSTART
	v_dot2_f32_f16 v118, v2, v6, v118
	;;#ASMEND
	;;#ASMSTART
	v_dot2_f32_f16 v118, v3, v7, v118
	;;#ASMEND
	s_waitcnt lgkmcnt(0)
	;;#ASMSTART
	v_dot2_f32_f16 v119, v0, v8, v119
	;;#ASMEND
	;;#ASMSTART
	v_dot2_f32_f16 v119, v1, v9, v119
	;;#ASMEND
	;;#ASMSTART
	v_dot2_f32_f16 v119, v2, v10, v119
	;;#ASMEND
	;;#ASMSTART
	v_dot2_f32_f16 v119, v3, v11, v119
	;;#ASMEND
	ds_load_b128 v[0:3], v79 offset:496
	ds_load_b128 v[4:7], v81 offset:496
	ds_load_b128 v[8:11], v81 offset:1008
	s_waitcnt lgkmcnt(1)
	;;#ASMSTART
	v_dot2_f32_f16 v118, v0, v4, v118
	;;#ASMEND
	;;#ASMSTART
	v_dot2_f32_f16 v118, v1, v5, v118
	;;#ASMEND
	;; [unrolled: 3-line block ×4, first 2 shown]
	s_waitcnt lgkmcnt(0)
	;;#ASMSTART
	v_dot2_f32_f16 v119, v0, v8, v119
	;;#ASMEND
	;;#ASMSTART
	v_dot2_f32_f16 v119, v1, v9, v119
	;;#ASMEND
	;; [unrolled: 3-line block ×4, first 2 shown]
	flat_load_u16 v67, v[67:68]
	v_lshlrev_b32_e32 v68, 2, v117
	v_add_co_u32 v0, vcc_lo, s8, v53
	v_add_co_u32 v1, s2, s8, v55
	v_add_co_u32 v2, s3, s8, v57
	;; [unrolled: 1-line block ×7, first 2 shown]
	s_delay_alu instid0(VALU_DEP_1)
	v_add_co_ci_u32_e64 v10, s8, s22, v52, s8
	v_add_co_ci_u32_e32 v11, vcc_lo, s22, v54, vcc_lo
	v_add_co_ci_u32_e64 v13, vcc_lo, s22, v56, s2
	v_add_co_ci_u32_e64 v14, vcc_lo, s22, v58, s3
	;; [unrolled: 1-line block ×6, first 2 shown]
	v_add_co_u32 v4, vcc_lo, v0, v76
	v_add_co_u32 v0, s8, v9, v76
	v_add_co_u32 v8, s2, v1, v76
	v_add_co_ci_u32_e64 v1, s8, 0, v10, s8
	v_add_co_u32 v12, s3, v2, v76
	v_add_co_u32 v20, s5, v5, v76
	v_add_co_ci_u32_e32 v5, vcc_lo, 0, v11, vcc_lo
	v_add_co_u32 v16, s4, v3, v76
	v_add_co_u32 v24, s6, v6, v76
	;; [unrolled: 1-line block ×3, first 2 shown]
	v_add_co_ci_u32_e64 v9, vcc_lo, 0, v13, s2
	v_add_co_ci_u32_e64 v13, vcc_lo, 0, v14, s3
	;; [unrolled: 1-line block ×6, first 2 shown]
	s_waitcnt vmcnt(0) lgkmcnt(0)
	s_barrier
	buffer_gl0_inv
	s_clause 0x7
	global_load_b128 v[0:3], v[0:1], off
	global_load_b128 v[4:7], v[4:5], off
	;; [unrolled: 1-line block ×8, first 2 shown]
	v_cvt_f32_f16_e32 v67, v67
	s_delay_alu instid0(VALU_DEP_1) | instskip(SKIP_4) | instid1(VALU_DEP_4)
	v_dual_add_f32 v118, v118, v67 :: v_dual_lshlrev_b32 v117, 2, v121
	v_add_f32_e32 v119, v119, v67
	v_lshlrev_b32_e32 v121, 2, v122
	v_lshlrev_b32_e32 v122, 2, v123
	;; [unrolled: 1-line block ×3, first 2 shown]
	v_dual_add_f32 v67, 0x40051340, v118 :: v_dual_add_f32 v124, 0x40051340, v119
	s_delay_alu instid0(VALU_DEP_1) | instskip(SKIP_4) | instid1(VALU_DEP_1)
	v_dual_max_f32 v67, v126, v67 :: v_dual_max_f32 v124, v125, v124
	ds_bpermute_b32 v125, v68, v67
	ds_bpermute_b32 v68, v68, v124
	s_waitcnt lgkmcnt(0)
	v_dual_max_f32 v68, v68, v68 :: v_dual_max_f32 v125, v125, v125
	v_dual_max_f32 v68, v124, v68 :: v_dual_max_f32 v67, v67, v125
	ds_bpermute_b32 v124, v117, v67
	ds_bpermute_b32 v117, v117, v68
	s_waitcnt lgkmcnt(0)
	v_dual_max_f32 v124, v124, v124 :: v_dual_max_f32 v117, v117, v117
	s_delay_alu instid0(VALU_DEP_1)
	v_dual_max_f32 v68, v68, v117 :: v_dual_max_f32 v67, v67, v124
	ds_bpermute_b32 v117, v121, v67
	ds_bpermute_b32 v121, v121, v68
	s_waitcnt lgkmcnt(1)
	v_max_f32_e32 v117, v117, v117
	s_waitcnt lgkmcnt(0)
	v_max_f32_e32 v121, v121, v121
	s_delay_alu instid0(VALU_DEP_1) | instskip(NEXT) | instid1(VALU_DEP_3)
	v_max_f32_e32 v68, v68, v121
	v_max_f32_e32 v67, v67, v117
	ds_bpermute_b32 v121, v122, v68
	ds_bpermute_b32 v117, v122, v67
	s_waitcnt lgkmcnt(1)
	v_max_f32_e32 v121, v121, v121
	s_waitcnt lgkmcnt(0)
	v_max_f32_e32 v117, v117, v117
	s_delay_alu instid0(VALU_DEP_1) | instskip(SKIP_3) | instid1(VALU_DEP_1)
	v_max_f32_e32 v67, v67, v117
	ds_bpermute_b32 v117, v123, v67
	s_waitcnt lgkmcnt(0)
	v_max_f32_e32 v117, v117, v117
	v_max_f32_e32 v67, v67, v117
	s_delay_alu instid0(VALU_DEP_1) | instskip(SKIP_2) | instid1(VALU_DEP_3)
	v_sub_f32_e32 v116, v116, v67
	v_max_f32_e32 v68, v68, v121
	v_sub_f32_e32 v118, v118, v67
	v_cmp_ngt_f32_e64 s4, 0xc2ce8ed0, v116
	ds_bpermute_b32 v121, v123, v68
	v_mul_f32_e32 v122, 0x3fb8aa3b, v118
	v_cmp_ngt_f32_e64 s2, 0xc2ce8ed0, v118
	v_cmp_nlt_f32_e64 s6, 0x42b17218, v118
	v_cmp_nlt_f32_e64 s8, 0x42b17218, v116
	s_delay_alu instid0(VALU_DEP_4) | instskip(SKIP_1) | instid1(VALU_DEP_2)
	v_fma_f32 v128, 0x3fb8aa3b, v118, -v122
	v_rndne_f32_e32 v129, v122
	v_fmac_f32_e32 v128, 0x32a5705f, v118
	s_delay_alu instid0(VALU_DEP_2) | instskip(SKIP_2) | instid1(VALU_DEP_2)
	v_sub_f32_e32 v118, v122, v129
	v_cvt_i32_f32_e32 v122, v129
	s_waitcnt lgkmcnt(0)
	v_dual_add_f32 v118, v118, v128 :: v_dual_max_f32 v121, v121, v121
	s_delay_alu instid0(VALU_DEP_1) | instskip(NEXT) | instid1(VALU_DEP_1)
	v_exp_f32_e32 v118, v118
	v_max_f32_e32 v68, v68, v121
	s_delay_alu instid0(VALU_DEP_1)
	v_sub_f32_e32 v115, v115, v68
	s_waitcnt_depctr 0xfff
	v_ldexp_f32 v118, v118, v122
	v_mul_f32_e32 v123, 0x3fb8aa3b, v115
	v_sub_f32_e32 v117, v119, v68
	v_mul_f32_e32 v119, 0x3fb8aa3b, v116
	s_delay_alu instid0(VALU_DEP_4) | instskip(NEXT) | instid1(VALU_DEP_4)
	v_cndmask_b32_e64 v118, 0, v118, s2
	v_rndne_f32_e32 v131, v123
	s_delay_alu instid0(VALU_DEP_4) | instskip(NEXT) | instid1(VALU_DEP_4)
	v_mul_f32_e32 v121, 0x3fb8aa3b, v117
	v_fma_f32 v124, 0x3fb8aa3b, v116, -v119
	v_rndne_f32_e32 v125, v119
	v_cmp_ngt_f32_e32 vcc_lo, 0xc2ce8ed0, v117
	v_cmp_nlt_f32_e64 s5, 0x42b17218, v117
	v_fma_f32 v126, 0x3fb8aa3b, v117, -v121
	v_rndne_f32_e32 v127, v121
	v_fmac_f32_e32 v124, 0x32a5705f, v116
	v_sub_f32_e32 v116, v119, v125
	v_cvt_i32_f32_e32 v119, v125
	s_delay_alu instid0(VALU_DEP_4) | instskip(SKIP_3) | instid1(VALU_DEP_4)
	v_dual_fmac_f32 v126, 0x32a5705f, v117 :: v_dual_sub_f32 v117, v121, v127
	v_fma_f32 v130, 0x3fb8aa3b, v115, -v123
	v_cmp_ngt_f32_e64 s3, 0xc2ce8ed0, v115
	v_cmp_nlt_f32_e64 s7, 0x42b17218, v115
	v_dual_add_f32 v116, v116, v124 :: v_dual_add_f32 v117, v117, v126
	s_delay_alu instid0(VALU_DEP_4) | instskip(SKIP_2) | instid1(VALU_DEP_4)
	v_fmac_f32_e32 v130, 0x32a5705f, v115
	v_sub_f32_e32 v115, v123, v131
	v_cvt_i32_f32_e32 v121, v127
	v_exp_f32_e32 v116, v116
	v_exp_f32_e32 v117, v117
	v_cvt_i32_f32_e32 v123, v131
	v_add_f32_e32 v115, v115, v130
	v_cndmask_b32_e64 v118, 0x7f800000, v118, s6
	s_delay_alu instid0(VALU_DEP_2) | instskip(NEXT) | instid1(TRANS32_DEP_3)
	v_exp_f32_e32 v115, v115
	v_ldexp_f32 v116, v116, v119
	s_waitcnt_depctr 0xfff
	v_ldexp_f32 v117, v117, v121
	v_cndmask_b32_e64 v116, 0, v116, s4
	s_delay_alu instid0(VALU_DEP_2) | instskip(SKIP_1) | instid1(VALU_DEP_3)
	v_cndmask_b32_e32 v117, 0, v117, vcc_lo
	v_ldexp_f32 v115, v115, v123
	v_cndmask_b32_e64 v116, 0x7f800000, v116, s8
	s_delay_alu instid0(VALU_DEP_3) | instskip(NEXT) | instid1(VALU_DEP_3)
	v_cndmask_b32_e64 v117, 0x7f800000, v117, s5
	v_cndmask_b32_e64 v115, 0, v115, s3
	s_delay_alu instid0(VALU_DEP_3) | instskip(SKIP_1) | instid1(VALU_DEP_4)
	v_fma_f32 v80, v80, v116, v118
	v_cvt_f16_f32_e32 v116, v116
	v_cvt_f16_f32_e32 v119, v117
	s_delay_alu instid0(VALU_DEP_4) | instskip(SKIP_1) | instid1(VALU_DEP_4)
	v_cndmask_b32_e64 v115, 0x7f800000, v115, s7
	v_cvt_f16_f32_e32 v118, v118
	v_pk_mul_f16 v227, v116, v113 op_sel_hi:[0,1]
	v_pk_mul_f16 v114, v116, v114 op_sel_hi:[0,1]
	s_delay_alu instid0(VALU_DEP_4) | instskip(NEXT) | instid1(VALU_DEP_4)
	v_cvt_f16_f32_e64 v226, v115
	v_pack_b32_f16 v113, v118, v119
	v_fmac_f32_e32 v117, v120, v115
	ds_store_b32 v94, v113
	s_waitcnt vmcnt(7)
	ds_store_b128 v84, v[0:3]
	s_waitcnt vmcnt(6)
	ds_store_b128 v95, v[4:7]
	;; [unrolled: 2-line block ×8, first 2 shown]
	v_pk_mul_f16 v115, v226, v112 op_sel_hi:[0,1]
	v_pk_mul_f16 v228, v226, v111 op_sel_hi:[0,1]
	;; [unrolled: 1-line block ×3, first 2 shown]
	s_waitcnt lgkmcnt(0)
	s_barrier
	buffer_gl0_inv
	ds_load_2addr_b64 v[8:11], v102 offset1:32
	ds_load_b128 v[12:15], v83
	ds_load_b128 v[16:19], v83 offset:16
	ds_load_b128 v[4:7], v83 offset:32
	;; [unrolled: 1-line block ×3, first 2 shown]
	ds_load_2addr_b64 v[20:23], v102 offset0:64 offset1:96
	ds_load_2addr_b64 v[24:27], v102 offset0:128 offset1:160
	ds_load_2addr_b64 v[28:31], v102 offset0:192 offset1:224
	ds_load_2addr_b64 v[110:113], v103 offset1:32
	ds_load_2addr_b64 v[118:121], v103 offset0:64 offset1:96
	ds_load_2addr_b64 v[122:125], v103 offset0:128 offset1:160
	ds_load_2addr_b64 v[126:129], v103 offset0:192 offset1:224
	ds_load_2addr_b64 v[130:133], v104 offset1:32
	;; [unrolled: 4-line block ×5, first 2 shown]
	ds_load_b128 v[182:185], v83 offset:64
	ds_load_b128 v[186:189], v83 offset:80
	ds_load_2addr_b64 v[190:193], v107 offset0:64 offset1:96
	ds_load_2addr_b64 v[194:197], v107 offset0:128 offset1:160
	;; [unrolled: 1-line block ×3, first 2 shown]
	ds_load_2addr_b64 v[202:205], v108 offset1:32
	ds_load_2addr_b64 v[206:209], v108 offset0:64 offset1:96
	ds_load_2addr_b64 v[210:213], v108 offset0:128 offset1:160
	;; [unrolled: 1-line block ×3, first 2 shown]
	ds_load_2addr_b64 v[218:221], v109 offset1:32
	ds_load_b128 v[222:225], v83 offset:96
	s_waitcnt lgkmcnt(34)
	v_pk_mul_f16 v230, v8, v12 op_sel_hi:[1,0]
	v_pk_mul_f16 v8, v8, v12 op_sel:[0,1]
	v_pk_fma_f16 v115, v9, v12, v115 op_sel:[0,1,0]
	v_pk_fma_f16 v231, v10, v12, v227 op_sel_hi:[1,0,1]
	v_pk_fma_f16 v232, v10, v12, v228 op_sel:[0,1,0]
	v_pk_fma_f16 v114, v11, v12, v114 op_sel_hi:[1,0,1]
	v_pk_fma_f16 v233, v11, v12, v229 op_sel:[0,1,0]
	v_pk_mul_f16 v12, v9, v12 op_sel_hi:[1,0]
	v_pk_fma_f16 v71, v226, v71, v8 op_sel_hi:[0,1,1]
	v_pk_fma_f16 v87, v116, v87, v230 op_sel_hi:[0,1,1]
	s_waitcnt lgkmcnt(30)
	v_pk_fma_f16 v114, v23, v13, v114 op_sel_hi:[1,0,1]
	v_pk_fma_f16 v230, v23, v13, v233 op_sel:[0,1,0]
	v_pk_fma_f16 v12, v116, v93, v12 op_sel_hi:[0,1,1]
	v_pk_fma_f16 v93, v21, v13, v115 op_sel:[0,1,0]
	;; [unrolled: 2-line block ×4, first 2 shown]
	v_pk_fma_f16 v12, v21, v13, v12 op_sel_hi:[1,0,1]
	s_waitcnt lgkmcnt(29)
	v_pk_fma_f16 v13, v25, v14, v93 op_sel:[0,1,0]
	v_pk_fma_f16 v93, v26, v14, v115 op_sel_hi:[1,0,1]
	v_pk_fma_f16 v115, v26, v14, v116 op_sel:[0,1,0]
	v_pk_fma_f16 v114, v27, v14, v114 op_sel_hi:[1,0,1]
	v_pk_fma_f16 v116, v27, v14, v230 op_sel:[0,1,0]
	v_pk_fma_f16 v87, v24, v14, v87 op_sel_hi:[1,0,1]
	v_pk_fma_f16 v71, v24, v14, v71 op_sel:[0,1,0]
	v_pk_fma_f16 v12, v25, v14, v12 op_sel_hi:[1,0,1]
	s_waitcnt lgkmcnt(28)
	v_pk_fma_f16 v13, v29, v15, v13 op_sel:[0,1,0]
	v_pk_fma_f16 v14, v30, v15, v93 op_sel_hi:[1,0,1]
	v_pk_fma_f16 v30, v30, v15, v115 op_sel:[0,1,0]
	v_pk_fma_f16 v93, v31, v15, v114 op_sel_hi:[1,0,1]
	v_pk_fma_f16 v31, v31, v15, v116 op_sel:[0,1,0]
	v_pk_fma_f16 v87, v28, v15, v87 op_sel_hi:[1,0,1]
	v_pk_fma_f16 v28, v28, v15, v71 op_sel:[0,1,0]
	;; [unrolled: 9-line block ×15, first 2 shown]
	v_pk_fma_f16 v0, v163, v182, v0 op_sel_hi:[1,0,1]
	v_pk_fma_f16 v1, v167, v183, v1 op_sel:[0,1,0]
	v_pk_fma_f16 v2, v168, v183, v2 op_sel_hi:[1,0,1]
	v_pk_fma_f16 v3, v168, v183, v3 op_sel:[0,1,0]
	;; [unrolled: 2-line block ×12, first 2 shown]
	v_pk_fma_f16 v0, v175, v185, v0 op_sel_hi:[1,0,1]
	s_waitcnt lgkmcnt(9)
	v_pk_fma_f16 v1, v179, v186, v1 op_sel:[0,1,0]
	v_pk_fma_f16 v2, v180, v186, v2 op_sel_hi:[1,0,1]
	v_pk_fma_f16 v3, v180, v186, v3 op_sel:[0,1,0]
	v_pk_fma_f16 v4, v181, v186, v4 op_sel_hi:[1,0,1]
	v_pk_fma_f16 v5, v181, v186, v5 op_sel:[0,1,0]
	v_pk_fma_f16 v6, v178, v186, v6 op_sel_hi:[1,0,1]
	v_pk_fma_f16 v7, v178, v186, v7 op_sel:[0,1,0]
	v_pk_fma_f16 v0, v179, v186, v0 op_sel_hi:[1,0,1]
	s_waitcnt lgkmcnt(8)
	v_pk_fma_f16 v1, v191, v187, v1 op_sel:[0,1,0]
	v_pk_fma_f16 v2, v192, v187, v2 op_sel_hi:[1,0,1]
	v_pk_fma_f16 v3, v192, v187, v3 op_sel:[0,1,0]
	v_pk_fma_f16 v4, v193, v187, v4 op_sel_hi:[1,0,1]
	v_pk_fma_f16 v5, v193, v187, v5 op_sel:[0,1,0]
	v_pk_fma_f16 v6, v190, v187, v6 op_sel_hi:[1,0,1]
	v_pk_fma_f16 v7, v190, v187, v7 op_sel:[0,1,0]
	;; [unrolled: 9-line block ×4, first 2 shown]
	v_pk_fma_f16 v0, v199, v189, v0 op_sel_hi:[1,0,1]
	ds_load_b128 v[8:11], v83 offset:112
	s_waitcnt lgkmcnt(1)
	v_pk_fma_f16 v1, v203, v222, v1 op_sel:[0,1,0]
	v_pk_fma_f16 v2, v204, v222, v2 op_sel_hi:[1,0,1]
	v_pk_fma_f16 v3, v204, v222, v3 op_sel:[0,1,0]
	v_pk_fma_f16 v4, v205, v222, v4 op_sel_hi:[1,0,1]
	v_pk_fma_f16 v5, v205, v222, v5 op_sel:[0,1,0]
	v_pk_fma_f16 v6, v202, v222, v6 op_sel_hi:[1,0,1]
	v_pk_fma_f16 v7, v202, v222, v7 op_sel:[0,1,0]
	v_pk_fma_f16 v0, v203, v222, v0 op_sel_hi:[1,0,1]
	ds_load_2addr_b64 v[226:229], v109 offset0:64 offset1:96
	v_pk_fma_f16 v1, v207, v223, v1 op_sel:[0,1,0]
	v_pk_fma_f16 v2, v208, v223, v2 op_sel_hi:[1,0,1]
	v_pk_fma_f16 v3, v208, v223, v3 op_sel:[0,1,0]
	v_pk_fma_f16 v4, v209, v223, v4 op_sel_hi:[1,0,1]
	v_pk_fma_f16 v5, v209, v223, v5 op_sel:[0,1,0]
	v_pk_fma_f16 v6, v206, v223, v6 op_sel_hi:[1,0,1]
	v_pk_fma_f16 v7, v206, v223, v7 op_sel:[0,1,0]
	v_pk_fma_f16 v0, v207, v223, v0 op_sel_hi:[1,0,1]
	ds_load_2addr_b64 v[20:23], v109 offset0:128 offset1:160
	;; [unrolled: 9-line block ×3, first 2 shown]
	s_waitcnt lgkmcnt(0)
	s_barrier
	buffer_gl0_inv
	s_load_b32 s2, s[16:17], 0x4
	v_pk_fma_f16 v1, v215, v225, v1 op_sel:[0,1,0]
	v_pk_fma_f16 v2, v216, v225, v2 op_sel_hi:[1,0,1]
	v_pk_fma_f16 v3, v216, v225, v3 op_sel:[0,1,0]
	v_pk_fma_f16 v4, v217, v225, v4 op_sel_hi:[1,0,1]
	;; [unrolled: 2-line block ×16, first 2 shown]
	s_waitcnt lgkmcnt(0)
	s_lshl_b32 s2, s2, 5
	v_pk_fma_f16 v112, v25, v11, v1 op_sel:[0,1,0]
	v_pk_fma_f16 v113, v26, v11, v2 op_sel_hi:[1,0,1]
	v_pk_fma_f16 v111, v26, v11, v3 op_sel:[0,1,0]
	v_pk_fma_f16 v114, v27, v11, v4 op_sel_hi:[1,0,1]
	;; [unrolled: 2-line block ×4, first 2 shown]
	s_add_i32 s9, s2, s9
	s_delay_alu instid0(SALU_CYCLE_1)
	s_cmp_ge_i32 s9, s34
	s_cbranch_scc0 .LBB33_9
; %bb.10:
	v_mov_b32_e32 v0, v70
.LBB33_11:
	v_cmp_lt_i32_e32 vcc_lo, v78, v72
	s_cmp_lg_u64 s[24:25], 0
	s_cselect_b32 s2, -1, 0
	s_cmp_eq_u32 s14, 0
	v_cndmask_b32_e32 v1, v0, v78, vcc_lo
	v_cmp_lt_i32_e32 vcc_lo, v77, v72
	s_cselect_b32 s3, -1, 0
	s_delay_alu instid0(SALU_CYCLE_1) | instskip(NEXT) | instid1(VALU_DEP_2)
	s_and_b32 s2, s3, s2
	v_lshlrev_b32_e32 v1, 2, v1
	v_cndmask_b32_e32 v3, v0, v77, vcc_lo
	v_cmp_lt_i32_e32 vcc_lo, v75, v72
	ds_bpermute_b32 v2, v1, v80
	v_lshlrev_b32_e32 v3, 2, v3
	v_cndmask_b32_e32 v5, v0, v75, vcc_lo
	v_cmp_lt_i32_e32 vcc_lo, v74, v72
	s_waitcnt lgkmcnt(0)
	s_delay_alu instid0(VALU_DEP_2)
	v_dual_add_f32 v2, v80, v2 :: v_dual_lshlrev_b32 v5, 2, v5
	ds_bpermute_b32 v1, v1, v117
	ds_bpermute_b32 v4, v3, v2
	s_waitcnt lgkmcnt(0)
	v_dual_add_f32 v2, v2, v4 :: v_dual_add_f32 v1, v117, v1
	ds_bpermute_b32 v3, v3, v1
	s_waitcnt lgkmcnt(0)
	v_add_f32_e32 v1, v1, v3
	ds_bpermute_b32 v3, v5, v2
	ds_bpermute_b32 v4, v5, v1
	v_cndmask_b32_e32 v5, v0, v74, vcc_lo
	v_cmp_lt_i32_e32 vcc_lo, v73, v72
	s_delay_alu instid0(VALU_DEP_2) | instskip(SKIP_2) | instid1(VALU_DEP_1)
	v_lshlrev_b32_e32 v5, 2, v5
	v_cndmask_b32_e32 v0, v0, v73, vcc_lo
	s_and_b32 vcc_lo, exec_lo, s2
	v_lshlrev_b32_e32 v0, 2, v0
	s_waitcnt lgkmcnt(0)
	v_dual_add_f32 v2, v2, v3 :: v_dual_add_f32 v1, v1, v4
	ds_bpermute_b32 v3, v5, v2
	ds_bpermute_b32 v4, v5, v1
	s_waitcnt lgkmcnt(0)
	v_dual_add_f32 v2, v2, v3 :: v_dual_add_f32 v1, v1, v4
	ds_bpermute_b32 v3, v0, v2
	ds_bpermute_b32 v4, v0, v1
	s_waitcnt lgkmcnt(0)
	v_dual_add_f32 v0, v2, v3 :: v_dual_add_f32 v1, v1, v4
	s_cbranch_vccz .LBB33_14
; %bb.12:
	s_ashr_i32 s13, s12, 31
	v_mov_b32_e32 v2, 0
	s_lshl_b64 s[2:3], s[12:13], 2
	s_delay_alu instid0(SALU_CYCLE_1)
	s_add_u32 s2, s24, s2
	s_addc_u32 s3, s25, s3
	global_load_b64 v[2:3], v2, s[2:3]
	v_max_f32_e32 v4, v67, v67
	s_waitcnt vmcnt(0)
	v_dual_max_f32 v6, v68, v68 :: v_dual_max_f32 v5, v2, v2
	s_delay_alu instid0(VALU_DEP_1) | instskip(NEXT) | instid1(VALU_DEP_1)
	v_dual_max_f32 v7, v3, v3 :: v_dual_max_f32 v4, v4, v5
	v_dual_max_f32 v5, v6, v7 :: v_dual_sub_f32 v6, v67, v4
	s_delay_alu instid0(VALU_DEP_1) | instskip(SKIP_2) | instid1(VALU_DEP_4)
	v_sub_f32_e32 v7, v68, v5
	v_dual_sub_f32 v3, v3, v5 :: v_dual_sub_f32 v2, v2, v4
	v_mov_b32_e32 v68, v5
	v_cmp_ngt_f32_e32 vcc_lo, 0xc2ce8ed0, v6
	s_delay_alu instid0(VALU_DEP_4) | instskip(NEXT) | instid1(VALU_DEP_4)
	v_mul_f32_e32 v10, 0x3fb8aa3b, v7
	v_mul_f32_e32 v11, 0x3fb8aa3b, v3
	;; [unrolled: 1-line block ×3, first 2 shown]
	v_mov_b32_e32 v67, v4
	s_delay_alu instid0(VALU_DEP_4) | instskip(NEXT) | instid1(VALU_DEP_4)
	v_fma_f32 v16, 0x3fb8aa3b, v7, -v10
	v_fma_f32 v18, 0x3fb8aa3b, v3, -v11
	s_delay_alu instid0(VALU_DEP_4)
	v_rndne_f32_e32 v15, v9
	v_mul_f32_e32 v8, 0x3fb8aa3b, v6
	v_fma_f32 v14, 0x3fb8aa3b, v2, -v9
	v_rndne_f32_e32 v19, v11
	v_fmac_f32_e32 v18, 0x32a5705f, v3
	v_sub_f32_e32 v9, v9, v15
	v_fma_f32 v12, 0x3fb8aa3b, v6, -v8
	v_rndne_f32_e32 v13, v8
	v_sub_f32_e32 v11, v11, v19
	v_fmac_f32_e32 v16, 0x32a5705f, v7
	v_fmac_f32_e32 v14, 0x32a5705f, v2
	;; [unrolled: 1-line block ×3, first 2 shown]
	s_delay_alu instid0(VALU_DEP_4) | instskip(SKIP_1) | instid1(VALU_DEP_2)
	v_dual_sub_f32 v8, v8, v13 :: v_dual_add_f32 v11, v11, v18
	v_rndne_f32_e32 v17, v10
	v_dual_add_f32 v9, v9, v14 :: v_dual_add_f32 v8, v8, v12
	s_delay_alu instid0(VALU_DEP_3)
	v_exp_f32_e32 v11, v11
	v_cvt_i32_f32_e32 v12, v13
	v_cvt_i32_f32_e32 v13, v15
	;; [unrolled: 1-line block ×3, first 2 shown]
	v_exp_f32_e32 v8, v8
	v_exp_f32_e32 v9, v9
	v_cvt_i32_f32_e32 v14, v17
	s_delay_alu instid0(TRANS32_DEP_3) | instid1(VALU_DEP_2)
	v_ldexp_f32 v11, v11, v15
	v_sub_f32_e32 v10, v10, v17
	s_waitcnt_depctr 0xfff
	v_ldexp_f32 v8, v8, v12
	v_ldexp_f32 v9, v9, v13
	v_add_f32_e32 v10, v10, v16
	s_delay_alu instid0(VALU_DEP_3) | instskip(SKIP_1) | instid1(VALU_DEP_3)
	v_cndmask_b32_e32 v8, 0, v8, vcc_lo
	v_cmp_ngt_f32_e32 vcc_lo, 0xc2ce8ed0, v2
	v_exp_f32_e32 v10, v10
	v_cndmask_b32_e32 v9, 0, v9, vcc_lo
	v_cmp_ngt_f32_e32 vcc_lo, 0xc2ce8ed0, v7
	s_waitcnt_depctr 0xfff
	v_ldexp_f32 v10, v10, v14
	s_delay_alu instid0(VALU_DEP_1)
	v_cndmask_b32_e32 v10, 0, v10, vcc_lo
	v_cmp_ngt_f32_e32 vcc_lo, 0xc2ce8ed0, v3
	v_cndmask_b32_e32 v11, 0, v11, vcc_lo
	v_cmp_nlt_f32_e32 vcc_lo, 0x42b17218, v6
	v_cndmask_b32_e32 v6, 0x7f800000, v8, vcc_lo
	v_cmp_nlt_f32_e32 vcc_lo, 0x42b17218, v2
	s_delay_alu instid0(VALU_DEP_2) | instskip(SKIP_2) | instid1(VALU_DEP_3)
	v_cvt_f16_f32_e32 v8, v6
	v_cndmask_b32_e32 v2, 0x7f800000, v9, vcc_lo
	v_cmp_nlt_f32_e32 vcc_lo, 0x42b17218, v7
	v_pk_mul_f16 v87, v8, v87 op_sel_hi:[0,1]
	s_delay_alu instid0(VALU_DEP_3)
	v_fmac_f32_e32 v2, v0, v6
	v_cndmask_b32_e32 v7, 0x7f800000, v10, vcc_lo
	v_cmp_nlt_f32_e32 vcc_lo, 0x42b17218, v3
	v_pk_mul_f16 v93, v8, v93 op_sel_hi:[0,1]
	v_pk_mul_f16 v113, v8, v113 op_sel_hi:[0,1]
	;; [unrolled: 1-line block ×3, first 2 shown]
	v_cvt_f16_f32_e32 v0, v7
	v_cndmask_b32_e32 v3, 0x7f800000, v11, vcc_lo
	s_delay_alu instid0(VALU_DEP_2) | instskip(NEXT) | instid1(VALU_DEP_2)
	v_pk_mul_f16 v71, v0, v71 op_sel_hi:[0,1]
	v_fmac_f32_e32 v3, v1, v7
	v_pk_mul_f16 v112, v0, v112 op_sel_hi:[0,1]
	v_pk_mul_f16 v111, v0, v111 op_sel_hi:[0,1]
	;; [unrolled: 1-line block ×3, first 2 shown]
	s_delay_alu instid0(VALU_DEP_4)
	v_dual_mov_b32 v0, v2 :: v_dual_mov_b32 v1, v3
	s_mov_b32 s2, exec_lo
	v_cmpx_gt_i32_e64 s10, v32
	s_cbranch_execnz .LBB33_15
.LBB33_13:
	s_nop 0
	s_sendmsg sendmsg(MSG_DEALLOC_VGPRS)
	s_endpgm
.LBB33_14:
	s_delay_alu instid0(VALU_DEP_1)
	v_dual_mov_b32 v3, v1 :: v_dual_mov_b32 v2, v0
	s_mov_b32 s2, exec_lo
	v_cmpx_gt_i32_e64 s10, v32
	s_cbranch_execz .LBB33_13
.LBB33_15:
	s_load_b32 s1, s[0:1], 0xd4
	v_mov_b32_e32 v6, 1.0
	s_waitcnt lgkmcnt(0)
	s_cmp_lg_u32 s1, 1
	s_cselect_b32 s3, -1, 0
	s_cmp_eq_u32 s1, 1
	s_cselect_b32 s2, -1, 0
	s_and_b32 vcc_lo, exec_lo, s3
	s_cbranch_vccnz .LBB33_17
; %bb.16:
	v_div_scale_f32 v4, null, v0, v0, 1.0
	s_delay_alu instid0(VALU_DEP_1) | instskip(SKIP_2) | instid1(VALU_DEP_1)
	v_rcp_f32_e32 v5, v4
	s_waitcnt_depctr 0xfff
	v_fma_f32 v6, -v4, v5, 1.0
	v_fmac_f32_e32 v5, v6, v5
	v_div_scale_f32 v6, vcc_lo, 1.0, v0, 1.0
	s_delay_alu instid0(VALU_DEP_1) | instskip(NEXT) | instid1(VALU_DEP_1)
	v_mul_f32_e32 v7, v6, v5
	v_fma_f32 v8, -v4, v7, v6
	s_delay_alu instid0(VALU_DEP_1) | instskip(NEXT) | instid1(VALU_DEP_1)
	v_fmac_f32_e32 v7, v8, v5
	v_fma_f32 v4, -v4, v7, v6
	s_delay_alu instid0(VALU_DEP_1) | instskip(NEXT) | instid1(VALU_DEP_1)
	v_div_fmas_f32 v4, v4, v5, v7
	v_div_fixup_f32 v6, v4, v0, 1.0
.LBB33_17:
	v_mad_u64_u32 v[4:5], null, s33, s10, v[32:33]
	v_lshrrev_b32_e32 v0, 16, v93
	v_lshrrev_b32_e32 v10, 16, v87
	v_cvt_f32_f16_e32 v11, v87
	v_lshrrev_b32_e32 v12, 16, v114
	v_lshrrev_b32_e32 v14, 16, v113
	v_cvt_f32_f16_e32 v17, v113
	v_mad_u64_u32 v[7:8], null, v4, s11, s[12:13]
	v_cvt_f32_f16_e32 v8, v93
	v_mov_b32_e32 v16, 0
	v_cvt_f32_f16_e32 v0, v0
	v_cvt_f32_f16_e32 v12, v12
	v_cmp_eq_u32_e32 vcc_lo, 0, v33
	v_mul_f32_e32 v9, v6, v8
	v_mad_u64_u32 v[4:5], null, s1, v7, s[14:15]
	v_cvt_f32_f16_e32 v5, v114
	v_cvt_f32_f16_e32 v8, v10
	v_mul_f32_e32 v7, v6, v11
	v_mul_f32_e32 v11, v6, v17
	;; [unrolled: 1-line block ×4, first 2 shown]
	v_lshl_add_u32 v15, v4, 8, v69
	v_cvt_f32_f16_e32 v5, v14
	v_mul_f32_e32 v8, v6, v8
	v_mul_f32_e32 v14, v6, v12
	s_delay_alu instid0(VALU_DEP_4) | instskip(NEXT) | instid1(VALU_DEP_4)
	v_lshlrev_b64 v[17:18], 2, v[15:16]
	v_dual_mul_f32 v12, v6, v5 :: v_dual_add_nc_u32 v15, 0x80, v15
	s_delay_alu instid0(VALU_DEP_1) | instskip(NEXT) | instid1(VALU_DEP_3)
	v_lshlrev_b64 v[5:6], 2, v[15:16]
	v_add_co_u32 v15, s0, s28, v17
	s_delay_alu instid0(VALU_DEP_1) | instskip(NEXT) | instid1(VALU_DEP_3)
	v_add_co_ci_u32_e64 v16, s0, s29, v18, s0
	v_add_co_u32 v5, s0, s28, v5
	s_delay_alu instid0(VALU_DEP_1)
	v_add_co_ci_u32_e64 v6, s0, s29, v6, s0
	s_and_b32 s0, vcc_lo, s3
	s_clause 0x1
	global_store_b128 v[15:16], v[7:10], off
	global_store_b128 v[5:6], v[11:14], off
	s_and_saveexec_b32 s3, s0
	s_cbranch_execz .LBB33_19
; %bb.18:
	v_ashrrev_i32_e32 v5, 31, v4
	v_dual_mov_b32 v7, v67 :: v_dual_mov_b32 v8, v2
	s_delay_alu instid0(VALU_DEP_2) | instskip(NEXT) | instid1(VALU_DEP_1)
	v_lshlrev_b64 v[5:6], 3, v[4:5]
	v_add_co_u32 v5, vcc_lo, s30, v5
	s_delay_alu instid0(VALU_DEP_2)
	v_add_co_ci_u32_e32 v6, vcc_lo, s31, v6, vcc_lo
	global_store_b64 v[5:6], v[7:8], off
.LBB33_19:
	s_or_b32 exec_lo, exec_lo, s3
	v_mov_b32_e32 v2, 1.0
	s_and_not1_b32 vcc_lo, exec_lo, s2
	s_cbranch_vccnz .LBB33_21
; %bb.20:
	v_div_scale_f32 v0, null, v1, v1, 1.0
	s_delay_alu instid0(VALU_DEP_1) | instskip(SKIP_2) | instid1(VALU_DEP_1)
	v_rcp_f32_e32 v2, v0
	s_waitcnt_depctr 0xfff
	v_fma_f32 v5, -v0, v2, 1.0
	v_fmac_f32_e32 v2, v5, v2
	v_div_scale_f32 v5, vcc_lo, 1.0, v1, 1.0
	s_delay_alu instid0(VALU_DEP_1) | instskip(NEXT) | instid1(VALU_DEP_1)
	v_mul_f32_e32 v6, v5, v2
	v_fma_f32 v7, -v0, v6, v5
	s_delay_alu instid0(VALU_DEP_1) | instskip(NEXT) | instid1(VALU_DEP_1)
	v_fmac_f32_e32 v6, v7, v2
	v_fma_f32 v0, -v0, v6, v5
	s_delay_alu instid0(VALU_DEP_1) | instskip(NEXT) | instid1(VALU_DEP_1)
	v_div_fmas_f32 v0, v0, v2, v6
	v_div_fixup_f32 v2, v0, v1, 1.0
.LBB33_21:
	v_lshrrev_b32_e32 v1, 16, v112
	v_dual_mov_b32 v9, 0 :: v_dual_add_nc_u32 v0, s1, v4
	v_lshrrev_b32_e32 v4, 16, v71
	v_lshrrev_b32_e32 v14, 16, v111
	s_delay_alu instid0(VALU_DEP_4) | instskip(NEXT) | instid1(VALU_DEP_4)
	v_cvt_f32_f16_e32 v1, v1
	v_lshl_add_u32 v8, v0, 8, v69
	v_cvt_f32_f16_e32 v5, v112
	v_cvt_f32_f16_e32 v4, v4
	;; [unrolled: 1-line block ×3, first 2 shown]
	v_mul_f32_e32 v7, v2, v1
	v_lshlrev_b64 v[10:11], 2, v[8:9]
	v_add_nc_u32_e32 v8, 0x80, v8
	v_lshrrev_b32_e32 v1, 16, v110
	v_cvt_f32_f16_e32 v16, v14
	v_mul_f32_e32 v6, v2, v5
	v_mul_f32_e32 v5, v2, v4
	v_lshlrev_b64 v[14:15], 2, v[8:9]
	v_cvt_f32_f16_e32 v1, v1
	v_mul_f32_e32 v4, v2, v12
	v_add_co_u32 v12, vcc_lo, s28, v10
	v_cvt_f32_f16_e32 v10, v110
	v_cvt_f32_f16_e32 v17, v111
	v_add_co_ci_u32_e32 v13, vcc_lo, s29, v11, vcc_lo
	v_mul_f32_e32 v11, v2, v1
	v_add_co_u32 v1, vcc_lo, s28, v14
	v_mul_f32_e32 v10, v2, v10
	v_mul_f32_e32 v9, v2, v16
	;; [unrolled: 1-line block ×3, first 2 shown]
	v_add_co_ci_u32_e32 v2, vcc_lo, s29, v15, vcc_lo
	s_clause 0x1
	global_store_b128 v[12:13], v[4:7], off
	global_store_b128 v[1:2], v[8:11], off
	s_and_b32 exec_lo, exec_lo, s0
	s_cbranch_execz .LBB33_13
; %bb.22:
	v_ashrrev_i32_e32 v1, 31, v0
	v_mov_b32_e32 v2, v68
	s_delay_alu instid0(VALU_DEP_2) | instskip(NEXT) | instid1(VALU_DEP_1)
	v_lshlrev_b64 v[0:1], 3, v[0:1]
	v_add_co_u32 v0, vcc_lo, s30, v0
	s_delay_alu instid0(VALU_DEP_2)
	v_add_co_ci_u32_e32 v1, vcc_lo, s31, v1, vcc_lo
	global_store_b64 v[0:1], v[2:3], off
	s_nop 0
	s_sendmsg sendmsg(MSG_DEALLOC_VGPRS)
	s_endpgm
	.section	.rodata,"a",@progbits
	.p2align	6, 0x0
	.amdhsa_kernel _ZL15flash_attn_tileILi256ELi256ELi4ELi2ELb0EEvPKcS1_S1_S1_S1_PKiPfP15HIP_vector_typeIfLj2EEffffjfiS5_IjLj3EEiiiiiiiiiiiliiliiiiil
		.amdhsa_group_segment_fixed_size 21504
		.amdhsa_private_segment_fixed_size 0
		.amdhsa_kernarg_size 464
		.amdhsa_user_sgpr_count 13
		.amdhsa_user_sgpr_dispatch_ptr 0
		.amdhsa_user_sgpr_queue_ptr 0
		.amdhsa_user_sgpr_kernarg_segment_ptr 1
		.amdhsa_user_sgpr_dispatch_id 0
		.amdhsa_user_sgpr_private_segment_size 0
		.amdhsa_wavefront_size32 1
		.amdhsa_uses_dynamic_stack 0
		.amdhsa_enable_private_segment 0
		.amdhsa_system_sgpr_workgroup_id_x 1
		.amdhsa_system_sgpr_workgroup_id_y 1
		.amdhsa_system_sgpr_workgroup_id_z 1
		.amdhsa_system_sgpr_workgroup_info 0
		.amdhsa_system_vgpr_workitem_id 1
		.amdhsa_next_free_vgpr 234
		.amdhsa_next_free_sgpr 42
		.amdhsa_reserve_vcc 1
		.amdhsa_float_round_mode_32 0
		.amdhsa_float_round_mode_16_64 0
		.amdhsa_float_denorm_mode_32 3
		.amdhsa_float_denorm_mode_16_64 3
		.amdhsa_dx10_clamp 1
		.amdhsa_ieee_mode 1
		.amdhsa_fp16_overflow 0
		.amdhsa_workgroup_processor_mode 1
		.amdhsa_memory_ordered 1
		.amdhsa_forward_progress 0
		.amdhsa_shared_vgpr_count 0
		.amdhsa_exception_fp_ieee_invalid_op 0
		.amdhsa_exception_fp_denorm_src 0
		.amdhsa_exception_fp_ieee_div_zero 0
		.amdhsa_exception_fp_ieee_overflow 0
		.amdhsa_exception_fp_ieee_underflow 0
		.amdhsa_exception_fp_ieee_inexact 0
		.amdhsa_exception_int_div_zero 0
	.end_amdhsa_kernel
	.section	.text._ZL15flash_attn_tileILi256ELi256ELi4ELi2ELb0EEvPKcS1_S1_S1_S1_PKiPfP15HIP_vector_typeIfLj2EEffffjfiS5_IjLj3EEiiiiiiiiiiiliiliiiiil,"axG",@progbits,_ZL15flash_attn_tileILi256ELi256ELi4ELi2ELb0EEvPKcS1_S1_S1_S1_PKiPfP15HIP_vector_typeIfLj2EEffffjfiS5_IjLj3EEiiiiiiiiiiiliiliiiiil,comdat
.Lfunc_end33:
	.size	_ZL15flash_attn_tileILi256ELi256ELi4ELi2ELb0EEvPKcS1_S1_S1_S1_PKiPfP15HIP_vector_typeIfLj2EEffffjfiS5_IjLj3EEiiiiiiiiiiiliiliiiiil, .Lfunc_end33-_ZL15flash_attn_tileILi256ELi256ELi4ELi2ELb0EEvPKcS1_S1_S1_S1_PKiPfP15HIP_vector_typeIfLj2EEffffjfiS5_IjLj3EEiiiiiiiiiiiliiliiiiil
                                        ; -- End function
	.section	.AMDGPU.csdata,"",@progbits
; Kernel info:
; codeLenInByte = 14248
; NumSgprs: 44
; NumVgprs: 234
; ScratchSize: 0
; MemoryBound: 0
; FloatMode: 240
; IeeeMode: 1
; LDSByteSize: 21504 bytes/workgroup (compile time only)
; SGPRBlocks: 5
; VGPRBlocks: 29
; NumSGPRsForWavesPerEU: 44
; NumVGPRsForWavesPerEU: 234
; Occupancy: 6
; WaveLimiterHint : 1
; COMPUTE_PGM_RSRC2:SCRATCH_EN: 0
; COMPUTE_PGM_RSRC2:USER_SGPR: 13
; COMPUTE_PGM_RSRC2:TRAP_HANDLER: 0
; COMPUTE_PGM_RSRC2:TGID_X_EN: 1
; COMPUTE_PGM_RSRC2:TGID_Y_EN: 1
; COMPUTE_PGM_RSRC2:TGID_Z_EN: 1
; COMPUTE_PGM_RSRC2:TIDIG_COMP_CNT: 1
	.section	.text._ZL33flash_attn_stream_k_fixup_uniformILi256ELi4ELi2EEvPfPK15HIP_vector_typeIfLj2EEiiiiiiS1_IjLj3EES5_S5_,"axG",@progbits,_ZL33flash_attn_stream_k_fixup_uniformILi256ELi4ELi2EEvPfPK15HIP_vector_typeIfLj2EEiiiiiiS1_IjLj3EES5_S5_,comdat
	.globl	_ZL33flash_attn_stream_k_fixup_uniformILi256ELi4ELi2EEvPfPK15HIP_vector_typeIfLj2EEiiiiiiS1_IjLj3EES5_S5_ ; -- Begin function _ZL33flash_attn_stream_k_fixup_uniformILi256ELi4ELi2EEvPfPK15HIP_vector_typeIfLj2EEiiiiiiS1_IjLj3EES5_S5_
	.p2align	8
	.type	_ZL33flash_attn_stream_k_fixup_uniformILi256ELi4ELi2EEvPfPK15HIP_vector_typeIfLj2EEiiiiiiS1_IjLj3EES5_S5_,@function
_ZL33flash_attn_stream_k_fixup_uniformILi256ELi4ELi2EEvPfPK15HIP_vector_typeIfLj2EEiiiiiiS1_IjLj3EES5_S5_: ; @_ZL33flash_attn_stream_k_fixup_uniformILi256ELi4ELi2EEvPfPK15HIP_vector_typeIfLj2EEiiiiiiS1_IjLj3EES5_S5_
; %bb.0:
	s_clause 0x1
	s_load_b256 s[4:11], s[0:1], 0x1c
	s_load_b128 s[16:19], s[0:1], 0x3c
	s_waitcnt lgkmcnt(0)
	s_mul_hi_u32 s2, s7, s13
	s_delay_alu instid0(SALU_CYCLE_1) | instskip(NEXT) | instid1(SALU_CYCLE_1)
	s_add_i32 s2, s13, s2
	s_lshr_b32 s2, s2, s8
	s_delay_alu instid0(SALU_CYCLE_1) | instskip(SKIP_2) | instid1(SALU_CYCLE_1)
	s_mul_i32 s3, s2, s9
	s_load_b64 s[8:9], s[0:1], 0x10
	s_sub_i32 s7, s13, s3
	s_mul_hi_u32 s3, s7, s10
	s_delay_alu instid0(SALU_CYCLE_1) | instskip(NEXT) | instid1(SALU_CYCLE_1)
	s_add_i32 s3, s7, s3
	s_lshr_b32 s3, s3, s11
	s_delay_alu instid0(SALU_CYCLE_1) | instskip(NEXT) | instid1(SALU_CYCLE_1)
	s_mul_i32 s10, s3, s16
	s_sub_i32 s7, s7, s10
	s_delay_alu instid0(SALU_CYCLE_1) | instskip(NEXT) | instid1(SALU_CYCLE_1)
	s_mul_hi_u32 s10, s7, s17
	s_add_i32 s10, s7, s10
	s_delay_alu instid0(SALU_CYCLE_1) | instskip(NEXT) | instid1(SALU_CYCLE_1)
	s_lshr_b32 s10, s10, s18
	s_mul_i32 s11, s10, s19
	s_lshl_b32 s10, s10, 1
	s_sub_i32 s7, s7, s11
	s_delay_alu instid0(SALU_CYCLE_1) | instskip(NEXT) | instid1(SALU_CYCLE_1)
	s_lshl_b32 s11, s7, 2
	s_add_i32 s11, s11, s14
	s_waitcnt lgkmcnt(0)
	s_cmp_lt_i32 s11, s8
	s_cselect_b32 s11, -1, 0
	s_add_i32 s12, s10, s15
	s_delay_alu instid0(SALU_CYCLE_1) | instskip(SKIP_1) | instid1(SALU_CYCLE_1)
	s_cmp_lt_i32 s12, s5
	s_cselect_b32 s12, -1, 0
	s_and_b32 s11, s11, s12
	s_delay_alu instid0(SALU_CYCLE_1)
	s_and_not1_b32 vcc_lo, exec_lo, s11
	s_cbranch_vccnz .LBB34_6
; %bb.1:
	s_mul_i32 s2, s2, s8
	s_mul_i32 s5, s3, s5
	s_add_i32 s2, s2, s14
	s_mul_i32 s7, s9, s7
	s_mul_i32 s2, s2, s9
	s_lshl_b32 s7, s7, 10
	s_add_i32 s8, s2, s15
	s_load_b128 s[0:3], s[0:1], 0x0
	s_add_i32 s5, s8, s5
	s_lshl_b32 s9, s14, 1
	s_add_i32 s5, s5, s10
	s_delay_alu instid0(SALU_CYCLE_1) | instskip(NEXT) | instid1(SALU_CYCLE_1)
	s_lshl_b32 s5, s5, 8
	s_add_i32 s7, s7, s5
	s_mul_i32 s5, s13, s6
	v_or_b32_e32 v1, s7, v0
	s_add_i32 s10, s5, s6
	s_delay_alu instid0(VALU_DEP_1) | instskip(NEXT) | instid1(VALU_DEP_1)
	v_ashrrev_i32_e32 v2, 31, v1
	v_lshlrev_b64 v[1:2], 2, v[1:2]
	s_waitcnt lgkmcnt(0)
	s_delay_alu instid0(VALU_DEP_1) | instskip(NEXT) | instid1(VALU_DEP_2)
	v_add_co_u32 v1, vcc_lo, s0, v1
	v_add_co_ci_u32_e32 v2, vcc_lo, s1, v2, vcc_lo
	s_add_i32 s0, s9, s15
	s_lshl_b32 s1, s10, 3
	s_delay_alu instid0(SALU_CYCLE_1) | instskip(SKIP_2) | instid1(SALU_CYCLE_1)
	s_add_i32 s0, s0, s1
	global_load_b32 v5, v[1:2], off
	s_add_i32 s0, s0, -8
	s_ashr_i32 s1, s0, 31
	s_delay_alu instid0(SALU_CYCLE_1) | instskip(NEXT) | instid1(SALU_CYCLE_1)
	s_lshl_b64 s[0:1], s[0:1], 3
	s_add_u32 s0, s2, s0
	s_addc_u32 s1, s3, s1
	s_add_i32 s7, s10, -2
	s_load_b32 s11, s[0:1], 0x4
	s_cmp_lt_i32 s7, s5
	s_cbranch_scc1 .LBB34_4
; %bb.2:
	s_lshl_b32 s16, s4, 5
	s_load_b32 s12, s[0:1], 0x0
	s_ashr_i32 s17, s16, 31
	s_delay_alu instid0(SALU_CYCLE_1) | instskip(NEXT) | instid1(SALU_CYCLE_1)
	s_lshl_b64 s[0:1], s[16:17], 2
	s_add_u32 s7, s2, s0
	s_addc_u32 s8, s3, s1
	s_add_i32 s13, s13, 1
	s_lshl_b32 s0, s14, 9
	s_lshl_b32 s1, s15, 8
	s_mul_i32 s6, s6, s13
	s_add_i32 s0, s1, s0
	s_lshl_b32 s1, s6, 11
	s_delay_alu instid0(SALU_CYCLE_1)
	s_add_i32 s0, s0, s1
	s_lshl_b32 s1, s6, 3
	v_or_b32_e32 v0, s0, v0
	s_lshl_b32 s0, s4, 3
	s_add_i32 s1, s15, s1
	s_waitcnt lgkmcnt(0)
	v_mov_b32_e32 v6, s11
	s_add_i32 s0, s1, s0
	v_dual_mov_b32 v0, s12 :: v_dual_add_nc_u32 v3, 0xfffff000, v0
	s_add_i32 s0, s0, s9
	s_add_i32 s4, s10, -1
	s_add_i32 s0, s0, -16
.LBB34_3:                               ; =>This Inner Loop Header: Depth=1
	s_delay_alu instid0(VALU_DEP_1) | instskip(SKIP_1) | instid1(SALU_CYCLE_1)
	v_ashrrev_i32_e32 v4, 31, v3
	s_ashr_i32 s1, s0, 31
	s_lshl_b64 s[10:11], s[0:1], 3
	s_delay_alu instid0(SALU_CYCLE_1) | instskip(NEXT) | instid1(VALU_DEP_1)
	s_add_u32 s10, s2, s10
	v_lshlrev_b64 v[7:8], 2, v[3:4]
	s_addc_u32 s11, s3, s11
	s_add_i32 s4, s4, -1
	s_add_i32 s0, s0, -8
	s_cmp_le_i32 s4, s5
	s_load_b64 s[10:11], s[10:11], 0x0
	v_add_co_u32 v7, vcc_lo, s7, v7
	v_add_co_ci_u32_e32 v8, vcc_lo, s8, v8, vcc_lo
	global_load_b32 v4, v[7:8], off
	v_max_f32_e32 v7, v0, v0
	s_waitcnt lgkmcnt(0)
	v_max_f32_e64 v8, s10, s10
	s_delay_alu instid0(VALU_DEP_1) | instskip(NEXT) | instid1(VALU_DEP_1)
	v_max_f32_e32 v7, v7, v8
	v_sub_f32_e32 v8, s10, v7
	s_delay_alu instid0(VALU_DEP_1) | instskip(NEXT) | instid1(VALU_DEP_1)
	v_dual_sub_f32 v0, v0, v7 :: v_dual_mul_f32 v9, 0x3fb8aa3b, v8
	v_fma_f32 v10, 0x3fb8aa3b, v8, -v9
	v_rndne_f32_e32 v11, v9
	s_delay_alu instid0(VALU_DEP_3) | instskip(NEXT) | instid1(VALU_DEP_2)
	v_mul_f32_e32 v12, 0x3fb8aa3b, v0
	v_dual_fmac_f32 v10, 0x32a5705f, v8 :: v_dual_sub_f32 v9, v9, v11
	v_cvt_i32_f32_e32 v11, v11
	s_delay_alu instid0(VALU_DEP_3) | instskip(SKIP_1) | instid1(VALU_DEP_4)
	v_fma_f32 v13, 0x3fb8aa3b, v0, -v12
	v_rndne_f32_e32 v14, v12
	v_add_f32_e32 v9, v9, v10
	v_cmp_ngt_f32_e32 vcc_lo, 0xc2ce8ed0, v8
	s_delay_alu instid0(VALU_DEP_3) | instskip(NEXT) | instid1(VALU_DEP_3)
	v_sub_f32_e32 v10, v12, v14
	v_exp_f32_e32 v9, v9
	s_waitcnt_depctr 0xfff
	v_ldexp_f32 v9, v9, v11
	v_cvt_i32_f32_e32 v11, v14
	s_delay_alu instid0(VALU_DEP_2) | instskip(SKIP_1) | instid1(VALU_DEP_2)
	v_cndmask_b32_e32 v9, 0, v9, vcc_lo
	v_cmp_nlt_f32_e32 vcc_lo, 0x42b17218, v8
	v_cndmask_b32_e32 v9, 0x7f800000, v9, vcc_lo
	v_cmp_ngt_f32_e32 vcc_lo, 0xc2ce8ed0, v0
	v_fmac_f32_e32 v13, 0x32a5705f, v0
	s_delay_alu instid0(VALU_DEP_1) | instskip(NEXT) | instid1(VALU_DEP_1)
	v_add_f32_e32 v10, v10, v13
	v_exp_f32_e32 v10, v10
	s_waitcnt_depctr 0xfff
	v_ldexp_f32 v10, v10, v11
	s_delay_alu instid0(VALU_DEP_1)
	v_dual_mov_b32 v11, v6 :: v_dual_cndmask_b32 v10, 0, v10
	v_cmp_le_f32_e32 vcc_lo, 0xc1a00000, v8
	s_waitcnt vmcnt(1)
	v_dual_cndmask_b32 v8, 0, v9 :: v_dual_mov_b32 v9, v5
	v_cmp_nlt_f32_e32 vcc_lo, 0x42b17218, v0
	v_cndmask_b32_e32 v5, 0x7f800000, v10, vcc_lo
	s_delay_alu instid0(VALU_DEP_3) | instskip(SKIP_2) | instid1(VALU_DEP_3)
	v_mul_f32_e32 v10, s11, v8
	v_cmp_le_f32_e32 vcc_lo, 0xc1a00000, v0
	v_mov_b32_e32 v0, v7
	v_mov_b32_e32 v6, v10
	s_waitcnt vmcnt(0)
	v_dual_cndmask_b32 v12, 0, v5 :: v_dual_mul_f32 v5, v4, v8
	s_delay_alu instid0(VALU_DEP_1) | instskip(NEXT) | instid1(VALU_DEP_2)
	v_dual_fmac_f32 v6, v11, v12 :: v_dual_add_nc_u32 v3, 0xfffff800, v3
	v_fmac_f32_e32 v5, v9, v12
	s_cbranch_scc0 .LBB34_3
	s_branch .LBB34_5
.LBB34_4:
	s_waitcnt lgkmcnt(0)
	v_mov_b32_e32 v6, s11
.LBB34_5:
	s_waitcnt vmcnt(0)
	s_delay_alu instid0(VALU_DEP_1) | instskip(NEXT) | instid1(VALU_DEP_1)
	v_div_scale_f32 v0, null, v6, v6, v5
	v_rcp_f32_e32 v3, v0
	s_waitcnt_depctr 0xfff
	v_fma_f32 v4, -v0, v3, 1.0
	s_delay_alu instid0(VALU_DEP_1) | instskip(SKIP_1) | instid1(VALU_DEP_1)
	v_fmac_f32_e32 v3, v4, v3
	v_div_scale_f32 v4, vcc_lo, v5, v6, v5
	v_mul_f32_e32 v7, v4, v3
	s_delay_alu instid0(VALU_DEP_1) | instskip(NEXT) | instid1(VALU_DEP_1)
	v_fma_f32 v8, -v0, v7, v4
	v_fmac_f32_e32 v7, v8, v3
	s_delay_alu instid0(VALU_DEP_1) | instskip(NEXT) | instid1(VALU_DEP_1)
	v_fma_f32 v0, -v0, v7, v4
	v_div_fmas_f32 v0, v0, v3, v7
	s_delay_alu instid0(VALU_DEP_1)
	v_div_fixup_f32 v0, v0, v6, v5
	global_store_b32 v[1:2], v0, off
.LBB34_6:
	s_nop 0
	s_sendmsg sendmsg(MSG_DEALLOC_VGPRS)
	s_endpgm
	.section	.rodata,"a",@progbits
	.p2align	6, 0x0
	.amdhsa_kernel _ZL33flash_attn_stream_k_fixup_uniformILi256ELi4ELi2EEvPfPK15HIP_vector_typeIfLj2EEiiiiiiS1_IjLj3EES5_S5_
		.amdhsa_group_segment_fixed_size 0
		.amdhsa_private_segment_fixed_size 0
		.amdhsa_kernarg_size 76
		.amdhsa_user_sgpr_count 13
		.amdhsa_user_sgpr_dispatch_ptr 0
		.amdhsa_user_sgpr_queue_ptr 0
		.amdhsa_user_sgpr_kernarg_segment_ptr 1
		.amdhsa_user_sgpr_dispatch_id 0
		.amdhsa_user_sgpr_private_segment_size 0
		.amdhsa_wavefront_size32 1
		.amdhsa_uses_dynamic_stack 0
		.amdhsa_enable_private_segment 0
		.amdhsa_system_sgpr_workgroup_id_x 1
		.amdhsa_system_sgpr_workgroup_id_y 1
		.amdhsa_system_sgpr_workgroup_id_z 1
		.amdhsa_system_sgpr_workgroup_info 0
		.amdhsa_system_vgpr_workitem_id 0
		.amdhsa_next_free_vgpr 15
		.amdhsa_next_free_sgpr 20
		.amdhsa_reserve_vcc 1
		.amdhsa_float_round_mode_32 0
		.amdhsa_float_round_mode_16_64 0
		.amdhsa_float_denorm_mode_32 3
		.amdhsa_float_denorm_mode_16_64 3
		.amdhsa_dx10_clamp 1
		.amdhsa_ieee_mode 1
		.amdhsa_fp16_overflow 0
		.amdhsa_workgroup_processor_mode 1
		.amdhsa_memory_ordered 1
		.amdhsa_forward_progress 0
		.amdhsa_shared_vgpr_count 0
		.amdhsa_exception_fp_ieee_invalid_op 0
		.amdhsa_exception_fp_denorm_src 0
		.amdhsa_exception_fp_ieee_div_zero 0
		.amdhsa_exception_fp_ieee_overflow 0
		.amdhsa_exception_fp_ieee_underflow 0
		.amdhsa_exception_fp_ieee_inexact 0
		.amdhsa_exception_int_div_zero 0
	.end_amdhsa_kernel
	.section	.text._ZL33flash_attn_stream_k_fixup_uniformILi256ELi4ELi2EEvPfPK15HIP_vector_typeIfLj2EEiiiiiiS1_IjLj3EES5_S5_,"axG",@progbits,_ZL33flash_attn_stream_k_fixup_uniformILi256ELi4ELi2EEvPfPK15HIP_vector_typeIfLj2EEiiiiiiS1_IjLj3EES5_S5_,comdat
.Lfunc_end34:
	.size	_ZL33flash_attn_stream_k_fixup_uniformILi256ELi4ELi2EEvPfPK15HIP_vector_typeIfLj2EEiiiiiiS1_IjLj3EES5_S5_, .Lfunc_end34-_ZL33flash_attn_stream_k_fixup_uniformILi256ELi4ELi2EEvPfPK15HIP_vector_typeIfLj2EEiiiiiiS1_IjLj3EES5_S5_
                                        ; -- End function
	.section	.AMDGPU.csdata,"",@progbits
; Kernel info:
; codeLenInByte = 996
; NumSgprs: 22
; NumVgprs: 15
; ScratchSize: 0
; MemoryBound: 0
; FloatMode: 240
; IeeeMode: 1
; LDSByteSize: 0 bytes/workgroup (compile time only)
; SGPRBlocks: 2
; VGPRBlocks: 1
; NumSGPRsForWavesPerEU: 22
; NumVGPRsForWavesPerEU: 15
; Occupancy: 16
; WaveLimiterHint : 0
; COMPUTE_PGM_RSRC2:SCRATCH_EN: 0
; COMPUTE_PGM_RSRC2:USER_SGPR: 13
; COMPUTE_PGM_RSRC2:TRAP_HANDLER: 0
; COMPUTE_PGM_RSRC2:TGID_X_EN: 1
; COMPUTE_PGM_RSRC2:TGID_Y_EN: 1
; COMPUTE_PGM_RSRC2:TGID_Z_EN: 1
; COMPUTE_PGM_RSRC2:TIDIG_COMP_CNT: 0
	.section	.text._ZL33flash_attn_stream_k_fixup_generalILi256ELi4ELi2EEvPfPK15HIP_vector_typeIfLj2EEiiiiS1_IjLj3EES5_S5_S5_,"axG",@progbits,_ZL33flash_attn_stream_k_fixup_generalILi256ELi4ELi2EEvPfPK15HIP_vector_typeIfLj2EEiiiiS1_IjLj3EES5_S5_S5_,comdat
	.globl	_ZL33flash_attn_stream_k_fixup_generalILi256ELi4ELi2EEvPfPK15HIP_vector_typeIfLj2EEiiiiS1_IjLj3EES5_S5_S5_ ; -- Begin function _ZL33flash_attn_stream_k_fixup_generalILi256ELi4ELi2EEvPfPK15HIP_vector_typeIfLj2EEiiiiS1_IjLj3EES5_S5_S5_
	.p2align	8
	.type	_ZL33flash_attn_stream_k_fixup_generalILi256ELi4ELi2EEvPfPK15HIP_vector_typeIfLj2EEiiiiS1_IjLj3EES5_S5_S5_,@function
_ZL33flash_attn_stream_k_fixup_generalILi256ELi4ELi2EEvPfPK15HIP_vector_typeIfLj2EEiiiiS1_IjLj3EES5_S5_S5_: ; @_ZL33flash_attn_stream_k_fixup_generalILi256ELi4ELi2EEvPfPK15HIP_vector_typeIfLj2EEiiiiS1_IjLj3EES5_S5_S5_
; %bb.0:
	s_clause 0x1
	s_load_b128 s[4:7], s[0:1], 0x10
	s_load_b32 s20, s[0:1], 0x50
	s_mov_b32 s2, 0
	s_waitcnt lgkmcnt(0)
	s_mul_hi_i32 s3, s7, s13
	s_mul_i32 s12, s7, s13
	s_cmp_lg_u64 s[2:3], 0
	s_cbranch_scc0 .LBB35_21
; %bb.1:
	v_cvt_f32_ubyte0_e32 v1, 0
	v_cvt_f32_u32_e32 v2, s20
	s_sub_u32 s10, 0, s20
	s_subb_u32 s11, 0, 0
	s_delay_alu instid0(VALU_DEP_1) | instskip(NEXT) | instid1(VALU_DEP_1)
	v_fmamk_f32 v1, v1, 0x4f800000, v2
	v_rcp_f32_e32 v1, v1
	s_waitcnt_depctr 0xfff
	v_mul_f32_e32 v1, 0x5f7ffffc, v1
	s_delay_alu instid0(VALU_DEP_1) | instskip(NEXT) | instid1(VALU_DEP_1)
	v_mul_f32_e32 v2, 0x2f800000, v1
	v_trunc_f32_e32 v2, v2
	s_delay_alu instid0(VALU_DEP_1) | instskip(SKIP_1) | instid1(VALU_DEP_2)
	v_fmamk_f32 v1, v2, 0xcf800000, v1
	v_cvt_u32_f32_e32 v2, v2
	v_cvt_u32_f32_e32 v1, v1
	s_delay_alu instid0(VALU_DEP_2) | instskip(NEXT) | instid1(VALU_DEP_2)
	v_readfirstlane_b32 s8, v2
	v_readfirstlane_b32 s9, v1
	s_delay_alu instid0(VALU_DEP_2) | instskip(NEXT) | instid1(VALU_DEP_1)
	s_mul_i32 s16, s10, s8
	s_mul_hi_u32 s18, s10, s9
	s_mul_i32 s17, s11, s9
	s_add_i32 s16, s18, s16
	s_mul_i32 s19, s10, s9
	s_add_i32 s16, s16, s17
	s_mul_hi_u32 s18, s9, s19
	s_mul_hi_u32 s21, s8, s19
	s_mul_i32 s17, s8, s19
	s_mul_hi_u32 s19, s9, s16
	s_mul_i32 s9, s9, s16
	s_mul_hi_u32 s22, s8, s16
	s_add_u32 s9, s18, s9
	s_addc_u32 s18, 0, s19
	s_add_u32 s9, s9, s17
	s_mul_i32 s16, s8, s16
	s_addc_u32 s9, s18, s21
	s_addc_u32 s17, s22, 0
	s_add_u32 s9, s9, s16
	s_addc_u32 s16, 0, s17
	v_add_co_u32 v1, s9, v1, s9
	s_delay_alu instid0(VALU_DEP_1) | instskip(SKIP_1) | instid1(VALU_DEP_1)
	s_cmp_lg_u32 s9, 0
	s_addc_u32 s8, s8, s16
	v_readfirstlane_b32 s9, v1
	s_mul_i32 s16, s10, s8
	s_delay_alu instid0(VALU_DEP_1)
	s_mul_hi_u32 s17, s10, s9
	s_mul_i32 s11, s11, s9
	s_add_i32 s16, s17, s16
	s_mul_i32 s10, s10, s9
	s_add_i32 s16, s16, s11
	s_mul_hi_u32 s17, s8, s10
	s_mul_i32 s18, s8, s10
	s_mul_hi_u32 s10, s9, s10
	s_mul_hi_u32 s19, s9, s16
	s_mul_i32 s9, s9, s16
	s_mul_hi_u32 s11, s8, s16
	s_add_u32 s9, s10, s9
	s_addc_u32 s10, 0, s19
	s_add_u32 s9, s9, s18
	s_mul_i32 s16, s8, s16
	s_addc_u32 s9, s10, s17
	s_addc_u32 s10, s11, 0
	s_add_u32 s9, s9, s16
	s_addc_u32 s10, 0, s10
	v_add_co_u32 v1, s9, v1, s9
	s_delay_alu instid0(VALU_DEP_1) | instskip(SKIP_2) | instid1(SALU_CYCLE_1)
	s_cmp_lg_u32 s9, 0
	s_addc_u32 s16, s8, s10
	s_ashr_i32 s8, s3, 31
	s_add_u32 s10, s12, s8
	s_addc_u32 s11, s3, s8
	v_readfirstlane_b32 s3, v1
	s_mov_b32 s9, s8
	s_delay_alu instid0(SALU_CYCLE_1) | instskip(NEXT) | instid1(SALU_CYCLE_1)
	s_xor_b64 s[10:11], s[10:11], s[8:9]
	s_mul_i32 s18, s10, s16
	s_delay_alu instid0(VALU_DEP_1)
	s_mul_hi_u32 s19, s10, s3
	s_mul_hi_u32 s17, s10, s16
	;; [unrolled: 1-line block ×3, first 2 shown]
	s_mul_i32 s3, s11, s3
	s_add_u32 s18, s19, s18
	s_addc_u32 s17, 0, s17
	s_mul_hi_u32 s21, s11, s16
	s_add_u32 s3, s18, s3
	s_mul_i32 s16, s11, s16
	s_addc_u32 s3, s17, s22
	s_addc_u32 s17, s21, 0
	s_add_u32 s3, s3, s16
	s_addc_u32 s16, 0, s17
	s_mul_i32 s18, s20, s3
	s_add_u32 s17, s3, 1
	v_sub_co_u32 v1, s10, s10, s18
	s_mul_hi_u32 s18, s20, s3
	s_addc_u32 s19, s16, 0
	s_mul_i32 s21, s20, s16
	s_delay_alu instid0(VALU_DEP_1)
	v_sub_co_u32 v2, s22, v1, s20
	s_add_u32 s23, s3, 2
	s_addc_u32 s24, s16, 0
	s_add_i32 s18, s18, s21
	s_cmp_lg_u32 s10, 0
	v_readfirstlane_b32 s10, v2
	s_subb_u32 s11, s11, s18
	s_cmp_lg_u32 s22, 0
	s_subb_u32 s18, s11, 0
	s_delay_alu instid0(VALU_DEP_1) | instskip(SKIP_4) | instid1(SALU_CYCLE_1)
	s_cmp_ge_u32 s10, s20
	s_cselect_b32 s10, -1, 0
	s_cmp_eq_u32 s18, 0
	v_readfirstlane_b32 s18, v1
	s_cselect_b32 s10, s10, -1
	s_cmp_lg_u32 s10, 0
	s_cselect_b32 s10, s23, s17
	s_cselect_b32 s17, s24, s19
	s_cmp_ge_u32 s18, s20
	s_cselect_b32 s18, -1, 0
	s_cmp_eq_u32 s11, 0
	s_cselect_b32 s11, s18, -1
	s_delay_alu instid0(SALU_CYCLE_1) | instskip(SKIP_2) | instid1(SALU_CYCLE_1)
	s_cmp_lg_u32 s11, 0
	s_cselect_b32 s11, s17, s16
	s_cselect_b32 s10, s10, s3
	s_xor_b64 s[10:11], s[10:11], s[8:9]
	s_delay_alu instid0(SALU_CYCLE_1)
	s_sub_u32 s16, s10, s8
	s_load_b128 s[8:11], s[0:1], 0x44
	s_and_not1_b32 vcc_lo, exec_lo, s2
	s_cbranch_vccnz .LBB35_3
.LBB35_2:
	v_cvt_f32_u32_e32 v1, s20
	s_sub_i32 s3, 0, s20
	s_delay_alu instid0(VALU_DEP_1) | instskip(SKIP_2) | instid1(VALU_DEP_1)
	v_rcp_iflag_f32_e32 v1, v1
	s_waitcnt_depctr 0xfff
	v_mul_f32_e32 v1, 0x4f7ffffe, v1
	v_cvt_u32_f32_e32 v1, v1
	s_delay_alu instid0(VALU_DEP_1) | instskip(NEXT) | instid1(VALU_DEP_1)
	v_readfirstlane_b32 s2, v1
	s_mul_i32 s3, s3, s2
	s_delay_alu instid0(SALU_CYCLE_1) | instskip(NEXT) | instid1(SALU_CYCLE_1)
	s_mul_hi_u32 s3, s2, s3
	s_add_i32 s2, s2, s3
	s_delay_alu instid0(SALU_CYCLE_1) | instskip(NEXT) | instid1(SALU_CYCLE_1)
	s_mul_hi_u32 s2, s12, s2
	s_mul_i32 s3, s2, s20
	s_waitcnt lgkmcnt(0)
	s_add_i32 s11, s2, 1
	s_sub_i32 s3, s12, s3
	s_delay_alu instid0(SALU_CYCLE_1)
	s_sub_i32 s12, s3, s20
	s_cmp_ge_u32 s3, s20
	s_cselect_b32 s2, s11, s2
	s_cselect_b32 s3, s12, s3
	s_add_i32 s11, s2, 1
	s_cmp_ge_u32 s3, s20
	s_cselect_b32 s16, s11, s2
.LBB35_3:
	s_waitcnt lgkmcnt(0)
	s_add_i32 s11, s13, 1
	s_mov_b32 s2, 0
	s_mul_hi_i32 s3, s7, s11
	s_mul_i32 s11, s7, s11
	s_cmp_lg_u64 s[2:3], 0
	s_cbranch_scc0 .LBB35_22
; %bb.4:
	v_cvt_f32_ubyte0_e32 v1, 0
	v_cvt_f32_u32_e32 v2, s20
	s_sub_u32 s18, 0, s20
	s_subb_u32 s19, 0, 0
	s_delay_alu instid0(VALU_DEP_1) | instskip(NEXT) | instid1(VALU_DEP_1)
	v_fmamk_f32 v1, v1, 0x4f800000, v2
	v_rcp_f32_e32 v1, v1
	s_waitcnt_depctr 0xfff
	v_mul_f32_e32 v1, 0x5f7ffffc, v1
	s_delay_alu instid0(VALU_DEP_1) | instskip(NEXT) | instid1(VALU_DEP_1)
	v_mul_f32_e32 v2, 0x2f800000, v1
	v_trunc_f32_e32 v2, v2
	s_delay_alu instid0(VALU_DEP_1) | instskip(SKIP_1) | instid1(VALU_DEP_2)
	v_fmamk_f32 v1, v2, 0xcf800000, v1
	v_cvt_u32_f32_e32 v2, v2
	v_cvt_u32_f32_e32 v1, v1
	s_delay_alu instid0(VALU_DEP_2) | instskip(NEXT) | instid1(VALU_DEP_2)
	v_readfirstlane_b32 s12, v2
	v_readfirstlane_b32 s17, v1
	s_delay_alu instid0(VALU_DEP_2) | instskip(NEXT) | instid1(VALU_DEP_1)
	s_mul_i32 s21, s18, s12
	s_mul_hi_u32 s23, s18, s17
	s_mul_i32 s22, s19, s17
	s_add_i32 s21, s23, s21
	s_mul_i32 s24, s18, s17
	s_add_i32 s21, s21, s22
	s_mul_hi_u32 s23, s17, s24
	s_mul_hi_u32 s25, s12, s24
	s_mul_i32 s22, s12, s24
	s_mul_hi_u32 s24, s17, s21
	s_mul_i32 s17, s17, s21
	s_mul_hi_u32 s26, s12, s21
	s_add_u32 s17, s23, s17
	s_addc_u32 s23, 0, s24
	s_add_u32 s17, s17, s22
	s_mul_i32 s21, s12, s21
	s_addc_u32 s17, s23, s25
	s_addc_u32 s22, s26, 0
	s_add_u32 s17, s17, s21
	s_addc_u32 s21, 0, s22
	v_add_co_u32 v1, s17, v1, s17
	s_delay_alu instid0(VALU_DEP_1) | instskip(SKIP_1) | instid1(VALU_DEP_1)
	s_cmp_lg_u32 s17, 0
	s_addc_u32 s12, s12, s21
	v_readfirstlane_b32 s17, v1
	s_mul_i32 s21, s18, s12
	s_delay_alu instid0(VALU_DEP_1)
	s_mul_hi_u32 s22, s18, s17
	s_mul_i32 s19, s19, s17
	s_add_i32 s21, s22, s21
	s_mul_i32 s18, s18, s17
	s_add_i32 s21, s21, s19
	s_mul_hi_u32 s22, s12, s18
	s_mul_i32 s23, s12, s18
	s_mul_hi_u32 s18, s17, s18
	s_mul_hi_u32 s24, s17, s21
	s_mul_i32 s17, s17, s21
	s_mul_hi_u32 s19, s12, s21
	s_add_u32 s17, s18, s17
	s_addc_u32 s18, 0, s24
	s_add_u32 s17, s17, s23
	s_mul_i32 s21, s12, s21
	s_addc_u32 s17, s18, s22
	s_addc_u32 s18, s19, 0
	s_add_u32 s17, s17, s21
	s_addc_u32 s18, 0, s18
	v_add_co_u32 v1, s17, v1, s17
	s_delay_alu instid0(VALU_DEP_1) | instskip(SKIP_2) | instid1(SALU_CYCLE_1)
	s_cmp_lg_u32 s17, 0
	s_addc_u32 s12, s12, s18
	s_ashr_i32 s18, s3, 31
	s_add_u32 s22, s11, s18
	s_addc_u32 s23, s3, s18
	v_readfirstlane_b32 s3, v1
	s_mov_b32 s19, s18
	s_delay_alu instid0(SALU_CYCLE_1) | instskip(NEXT) | instid1(SALU_CYCLE_1)
	s_xor_b64 s[22:23], s[22:23], s[18:19]
	s_mul_i32 s21, s22, s12
	s_delay_alu instid0(VALU_DEP_1)
	s_mul_hi_u32 s24, s22, s3
	s_mul_hi_u32 s17, s22, s12
	;; [unrolled: 1-line block ×3, first 2 shown]
	s_mul_i32 s3, s23, s3
	s_add_u32 s21, s24, s21
	s_addc_u32 s17, 0, s17
	s_mul_hi_u32 s25, s23, s12
	s_add_u32 s3, s21, s3
	s_mul_i32 s12, s23, s12
	s_addc_u32 s3, s17, s26
	s_addc_u32 s17, s25, 0
	s_add_u32 s3, s3, s12
	s_addc_u32 s12, 0, s17
	s_mul_i32 s21, s20, s3
	s_add_u32 s17, s3, 1
	v_sub_co_u32 v1, s21, s22, s21
	s_mul_hi_u32 s22, s20, s3
	s_addc_u32 s24, s12, 0
	s_mul_i32 s25, s20, s12
	s_delay_alu instid0(VALU_DEP_1)
	v_sub_co_u32 v2, s26, v1, s20
	s_add_u32 s27, s3, 2
	s_addc_u32 s28, s12, 0
	s_add_i32 s22, s22, s25
	s_cmp_lg_u32 s21, 0
	v_readfirstlane_b32 s21, v2
	s_subb_u32 s22, s23, s22
	s_cmp_lg_u32 s26, 0
	s_subb_u32 s23, s22, 0
	s_delay_alu instid0(VALU_DEP_1) | instskip(SKIP_4) | instid1(SALU_CYCLE_1)
	s_cmp_ge_u32 s21, s20
	s_cselect_b32 s21, -1, 0
	s_cmp_eq_u32 s23, 0
	v_readfirstlane_b32 s23, v1
	s_cselect_b32 s21, s21, -1
	s_cmp_lg_u32 s21, 0
	s_cselect_b32 s17, s27, s17
	s_cselect_b32 s21, s28, s24
	s_cmp_ge_u32 s23, s20
	s_cselect_b32 s23, -1, 0
	s_cmp_eq_u32 s22, 0
	s_cselect_b32 s22, s23, -1
	s_delay_alu instid0(SALU_CYCLE_1) | instskip(SKIP_2) | instid1(SALU_CYCLE_1)
	s_cmp_lg_u32 s22, 0
	s_cselect_b32 s23, s21, s12
	s_cselect_b32 s22, s17, s3
	s_xor_b64 s[22:23], s[22:23], s[18:19]
	s_delay_alu instid0(SALU_CYCLE_1)
	s_sub_u32 s18, s22, s18
	s_and_not1_b32 vcc_lo, exec_lo, s2
	s_cbranch_vccnz .LBB35_6
.LBB35_5:
	v_cvt_f32_u32_e32 v1, s20
	s_sub_i32 s3, 0, s20
	s_delay_alu instid0(VALU_DEP_1) | instskip(SKIP_2) | instid1(VALU_DEP_1)
	v_rcp_iflag_f32_e32 v1, v1
	s_waitcnt_depctr 0xfff
	v_mul_f32_e32 v1, 0x4f7ffffe, v1
	v_cvt_u32_f32_e32 v1, v1
	s_delay_alu instid0(VALU_DEP_1) | instskip(NEXT) | instid1(VALU_DEP_1)
	v_readfirstlane_b32 s2, v1
	s_mul_i32 s3, s3, s2
	s_delay_alu instid0(SALU_CYCLE_1) | instskip(NEXT) | instid1(SALU_CYCLE_1)
	s_mul_hi_u32 s3, s2, s3
	s_add_i32 s2, s2, s3
	s_delay_alu instid0(SALU_CYCLE_1) | instskip(NEXT) | instid1(SALU_CYCLE_1)
	s_mul_hi_u32 s2, s11, s2
	s_mul_i32 s3, s2, s20
	s_delay_alu instid0(SALU_CYCLE_1)
	s_sub_i32 s3, s11, s3
	s_add_i32 s11, s2, 1
	s_sub_i32 s12, s3, s20
	s_cmp_ge_u32 s3, s20
	s_cselect_b32 s2, s11, s2
	s_cselect_b32 s3, s12, s3
	s_add_i32 s11, s2, 1
	s_cmp_ge_u32 s3, s20
	s_cselect_b32 s18, s11, s2
.LBB35_6:
	s_delay_alu instid0(SALU_CYCLE_1) | instskip(SKIP_3) | instid1(SALU_CYCLE_1)
	s_cmp_eq_u32 s16, s18
	s_mul_hi_u32 s2, s16, s8
	s_cselect_b32 s3, -1, 0
	s_add_i32 s2, s2, s16
	s_lshr_b32 s11, s2, s9
	s_delay_alu instid0(SALU_CYCLE_1) | instskip(NEXT) | instid1(SALU_CYCLE_1)
	s_mul_i32 s2, s11, s10
	s_cmp_eq_u32 s2, s16
	s_mul_hi_u32 s2, s18, s8
	s_cselect_b32 s12, -1, 0
	s_add_i32 s2, s2, s18
	s_delay_alu instid0(SALU_CYCLE_1) | instskip(NEXT) | instid1(SALU_CYCLE_1)
	s_lshr_b32 s2, s2, s9
	s_cmp_eq_u32 s11, s2
	s_mul_i32 s2, s2, s10
	s_cselect_b32 s17, -1, 0
	s_cmp_lg_u32 s2, s18
	s_cselect_b32 s2, -1, 0
	s_or_b32 s3, s3, s12
	s_and_b32 s2, s17, s2
	s_delay_alu instid0(SALU_CYCLE_1) | instskip(NEXT) | instid1(SALU_CYCLE_1)
	s_or_b32 s2, s3, s2
	s_and_b32 vcc_lo, exec_lo, s2
	s_cbranch_vccnz .LBB35_24
; %bb.7:
	s_load_b256 s[24:31], s[0:1], 0x20
	s_waitcnt lgkmcnt(0)
	s_mul_hi_u32 s2, s16, s24
	s_delay_alu instid0(SALU_CYCLE_1) | instskip(NEXT) | instid1(SALU_CYCLE_1)
	s_add_i32 s2, s2, s16
	s_lshr_b32 s17, s2, s25
	s_load_b32 s2, s[0:1], 0x40
	s_mul_i32 s3, s17, s26
	s_delay_alu instid0(SALU_CYCLE_1) | instskip(NEXT) | instid1(SALU_CYCLE_1)
	s_sub_i32 s3, s16, s3
	s_mul_hi_u32 s12, s3, s27
	s_delay_alu instid0(SALU_CYCLE_1) | instskip(NEXT) | instid1(SALU_CYCLE_1)
	s_add_i32 s12, s3, s12
	s_lshr_b32 s21, s12, s28
	s_delay_alu instid0(SALU_CYCLE_1) | instskip(NEXT) | instid1(SALU_CYCLE_1)
	s_mul_i32 s12, s21, s29
	s_sub_i32 s3, s3, s12
	s_delay_alu instid0(SALU_CYCLE_1) | instskip(NEXT) | instid1(SALU_CYCLE_1)
	s_mul_hi_u32 s12, s3, s30
	s_add_i32 s12, s3, s12
	s_delay_alu instid0(SALU_CYCLE_1)
	s_lshr_b32 s12, s12, s31
	s_waitcnt lgkmcnt(0)
	s_mul_i32 s2, s12, s2
	s_lshl_b32 s23, s12, 1
	s_sub_i32 s2, s3, s2
	s_mov_b32 s12, 0
	s_mul_hi_u32 s3, s2, s8
	s_delay_alu instid0(SALU_CYCLE_1) | instskip(NEXT) | instid1(SALU_CYCLE_1)
	s_add_i32 s2, s2, s3
	s_lshr_b32 s22, s2, s9
	s_delay_alu instid0(SALU_CYCLE_1) | instskip(NEXT) | instid1(SALU_CYCLE_1)
	s_lshl_b32 s2, s22, 2
	s_add_i32 s2, s2, s14
	s_delay_alu instid0(SALU_CYCLE_1) | instskip(SKIP_2) | instid1(SALU_CYCLE_1)
	s_cmp_lt_i32 s2, s4
	s_cselect_b32 s2, -1, 0
	s_add_i32 s3, s23, s15
	s_cmp_lt_i32 s3, s6
	s_cselect_b32 s3, -1, 0
	s_delay_alu instid0(SALU_CYCLE_1) | instskip(NEXT) | instid1(SALU_CYCLE_1)
	s_and_b32 s2, s2, s3
	s_and_not1_b32 vcc_lo, exec_lo, s2
	s_cbranch_vccnz .LBB35_24
; %bb.8:
	s_load_b128 s[0:3], s[0:1], 0x0
	s_lshl_b32 s18, s20, 5
	s_mov_b32 s19, s12
	s_lshl_b32 s24, s14, 1
	s_lshl_b64 s[18:19], s[18:19], 2
	s_mul_i32 s4, s17, s4
	s_add_i32 s17, s24, s15
	s_mul_i32 s21, s21, s6
	v_cvt_f32_ubyte0_e32 v4, 0
	v_cvt_f32_u32_e32 v5, s20
	s_waitcnt lgkmcnt(0)
	s_add_u32 s18, s2, s18
	s_addc_u32 s19, s3, s19
	s_add_i32 s4, s4, s14
	s_delay_alu instid0(SALU_CYCLE_1) | instskip(SKIP_4) | instid1(SALU_CYCLE_1)
	s_mul_i32 s4, s4, s5
	s_mul_i32 s5, s5, s22
	s_add_i32 s4, s4, s15
	s_lshl_b32 s5, s5, 10
	s_add_i32 s4, s4, s21
	s_add_i32 s4, s4, s23
	s_delay_alu instid0(SALU_CYCLE_1) | instskip(NEXT) | instid1(SALU_CYCLE_1)
	s_lshl_b32 s4, s4, 8
	s_add_i32 s5, s5, s4
	s_delay_alu instid0(SALU_CYCLE_1) | instskip(SKIP_1) | instid1(VALU_DEP_2)
	v_or_b32_e32 v1, s5, v0
	v_lshl_or_b32 v0, s17, 8, v0
	v_ashrrev_i32_e32 v2, 31, v1
	s_delay_alu instid0(VALU_DEP_1) | instskip(NEXT) | instid1(VALU_DEP_1)
	v_lshlrev_b64 v[1:2], 2, v[1:2]
	v_add_co_u32 v1, vcc_lo, s0, v1
	s_delay_alu instid0(VALU_DEP_2) | instskip(SKIP_1) | instid1(SALU_CYCLE_1)
	v_add_co_ci_u32_e32 v2, vcc_lo, s1, v2, vcc_lo
	s_lshl_b32 s0, s13, 3
	s_add_i32 s0, s17, s0
	global_load_b32 v3, v[1:2], off
	s_ashr_i32 s1, s0, 31
	s_delay_alu instid0(SALU_CYCLE_1) | instskip(NEXT) | instid1(SALU_CYCLE_1)
	s_lshl_b64 s[0:1], s[0:1], 3
	s_add_u32 s0, s2, s0
	s_addc_u32 s1, s3, s1
	s_add_i32 s14, s13, -1
	s_load_b64 s[0:1], s[0:1], 0x0
	v_fmac_f32_e32 v5, 0x4f800000, v4
	s_sub_i32 s6, 0, s20
	s_waitcnt lgkmcnt(0)
	v_mov_b32_e32 v8, s0
	s_delay_alu instid0(VALU_DEP_2) | instskip(SKIP_2) | instid1(VALU_DEP_2)
	v_rcp_f32_e32 v4, v5
	v_cvt_f32_u32_e32 v5, s20
	v_mov_b32_e32 v7, s1
	v_rcp_iflag_f32_e32 v5, v5
	s_waitcnt_depctr 0xfff
	v_mul_f32_e32 v4, 0x5f7ffffc, v4
	s_delay_alu instid0(VALU_DEP_1) | instskip(SKIP_1) | instid1(VALU_DEP_2)
	v_mul_f32_e32 v6, 0x2f800000, v4
	v_mul_f32_e32 v9, 0x4f7ffffe, v5
	v_trunc_f32_e32 v6, v6
	s_delay_alu instid0(VALU_DEP_1) | instskip(SKIP_1) | instid1(VALU_DEP_4)
	v_fmac_f32_e32 v4, 0xcf800000, v6
	v_cvt_u32_f32_e32 v5, v6
	v_cvt_u32_f32_e32 v6, v9
	s_delay_alu instid0(VALU_DEP_3)
	v_cvt_u32_f32_e32 v4, v4
.LBB35_9:                               ; =>This Inner Loop Header: Depth=1
	s_mul_hi_i32 s13, s14, s7
	s_mul_i32 s4, s14, s7
	s_cmp_lg_u64 s[12:13], 0
	s_mov_b32 s5, -1
                                        ; implicit-def: $sgpr0_sgpr1
	s_cbranch_scc0 .LBB35_11
; %bb.10:                               ;   in Loop: Header=BB35_9 Depth=1
	v_readfirstlane_b32 s0, v4
	v_readfirstlane_b32 s1, v5
	s_sub_u32 s5, 0, s20
	s_subb_u32 s15, 0, 0
	s_delay_alu instid0(VALU_DEP_2) | instskip(NEXT) | instid1(VALU_DEP_1)
	s_mul_hi_u32 s21, s5, s0
	s_mul_i32 s22, s5, s1
	s_mul_i32 s23, s15, s0
	s_add_i32 s21, s21, s22
	s_mul_i32 s22, s5, s0
	s_add_i32 s21, s21, s23
	s_mul_hi_u32 s23, s0, s22
	s_mul_i32 s24, s0, s21
	s_mul_hi_u32 s0, s0, s21
	s_add_u32 s23, s23, s24
	s_mul_i32 s25, s1, s22
	s_addc_u32 s0, 0, s0
	s_mul_hi_u32 s22, s1, s22
	s_mul_hi_u32 s24, s1, s21
	s_add_u32 s23, s23, s25
	s_addc_u32 s0, s0, s22
	s_mul_i32 s21, s1, s21
	s_addc_u32 s22, s24, 0
	s_add_u32 s0, s0, s21
	s_addc_u32 s21, 0, s22
	v_add_co_u32 v9, s0, v4, s0
	s_delay_alu instid0(VALU_DEP_1) | instskip(SKIP_1) | instid1(VALU_DEP_1)
	s_cmp_lg_u32 s0, 0
	s_addc_u32 s1, s1, s21
	v_readfirstlane_b32 s0, v9
	s_mul_i32 s21, s5, s1
	s_delay_alu instid0(VALU_DEP_1)
	s_mul_hi_u32 s22, s5, s0
	s_mul_i32 s15, s15, s0
	s_add_i32 s21, s22, s21
	s_mul_i32 s5, s5, s0
	s_add_i32 s21, s21, s15
	s_mul_hi_u32 s15, s1, s5
	s_mul_i32 s23, s1, s5
	s_mul_i32 s24, s0, s21
	s_mul_hi_u32 s5, s0, s5
	s_mul_hi_u32 s0, s0, s21
	s_add_u32 s5, s5, s24
	s_addc_u32 s0, 0, s0
	s_mul_hi_u32 s22, s1, s21
	s_add_u32 s5, s5, s23
	s_addc_u32 s0, s0, s15
	s_mul_i32 s5, s1, s21
	s_addc_u32 s15, s22, 0
	s_add_u32 s0, s0, s5
	s_addc_u32 s5, 0, s15
	v_add_co_u32 v9, s0, v9, s0
	s_delay_alu instid0(VALU_DEP_1) | instskip(SKIP_2) | instid1(SALU_CYCLE_1)
	s_cmp_lg_u32 s0, 0
	s_addc_u32 s5, s1, s5
	s_ashr_i32 s0, s13, 31
	s_add_u32 s22, s4, s0
	s_addc_u32 s23, s13, s0
	v_readfirstlane_b32 s13, v9
	s_mov_b32 s1, s0
	s_delay_alu instid0(SALU_CYCLE_1) | instskip(NEXT) | instid1(SALU_CYCLE_1)
	s_xor_b64 s[22:23], s[22:23], s[0:1]
	s_mul_i32 s15, s22, s5
	s_delay_alu instid0(VALU_DEP_1)
	s_mul_hi_u32 s21, s22, s13
	s_mul_hi_u32 s24, s22, s5
	s_add_u32 s15, s21, s15
	s_mul_i32 s25, s23, s13
	s_addc_u32 s21, 0, s24
	s_mul_hi_u32 s13, s23, s13
	s_mul_hi_u32 s24, s23, s5
	s_add_u32 s15, s15, s25
	s_addc_u32 s13, s21, s13
	s_mul_i32 s5, s23, s5
	s_addc_u32 s15, s24, 0
	s_add_u32 s5, s13, s5
	s_addc_u32 s13, 0, s15
	s_mul_i32 s21, s20, s5
	s_add_u32 s15, s5, 1
	v_sub_co_u32 v9, s21, s22, s21
	s_addc_u32 s22, s13, 0
	s_mul_i32 s25, s20, s13
	s_mul_hi_u32 s27, s20, s5
	s_delay_alu instid0(VALU_DEP_1)
	v_sub_co_u32 v10, s26, v9, s20
	s_add_u32 s24, s5, 2
	s_addc_u32 s28, s13, 0
	s_add_i32 s27, s27, s25
	s_cmp_lg_u32 s21, 0
	v_readfirstlane_b32 s21, v10
	s_subb_u32 s23, s23, s27
	s_cmp_lg_u32 s26, 0
	s_subb_u32 s25, s23, 0
	s_delay_alu instid0(VALU_DEP_1) | instskip(SKIP_4) | instid1(SALU_CYCLE_1)
	s_cmp_ge_u32 s21, s20
	s_cselect_b32 s21, -1, 0
	s_cmp_eq_u32 s25, 0
	v_readfirstlane_b32 s25, v9
	s_cselect_b32 s21, s21, -1
	s_cmp_lg_u32 s21, 0
	s_cselect_b32 s15, s24, s15
	s_cselect_b32 s21, s28, s22
	s_cmp_ge_u32 s25, s20
	s_cselect_b32 s22, -1, 0
	s_cmp_eq_u32 s23, 0
	s_cselect_b32 s22, s22, -1
	s_delay_alu instid0(SALU_CYCLE_1) | instskip(SKIP_4) | instid1(SALU_CYCLE_1)
	s_cmp_lg_u32 s22, 0
	s_cselect_b32 s23, s21, s13
	s_cselect_b32 s22, s15, s5
	s_mov_b32 s5, 0
	s_xor_b64 s[22:23], s[22:23], s[0:1]
	s_sub_u32 s0, s22, s0
.LBB35_11:                              ;   in Loop: Header=BB35_9 Depth=1
	s_and_not1_b32 vcc_lo, exec_lo, s5
	s_cbranch_vccnz .LBB35_13
; %bb.12:                               ;   in Loop: Header=BB35_9 Depth=1
	v_readfirstlane_b32 s0, v6
	s_delay_alu instid0(VALU_DEP_1) | instskip(NEXT) | instid1(SALU_CYCLE_1)
	s_mul_i32 s1, s6, s0
	s_mul_hi_u32 s1, s0, s1
	s_delay_alu instid0(SALU_CYCLE_1) | instskip(NEXT) | instid1(SALU_CYCLE_1)
	s_add_i32 s0, s0, s1
	s_mul_hi_u32 s0, s4, s0
	s_delay_alu instid0(SALU_CYCLE_1) | instskip(NEXT) | instid1(SALU_CYCLE_1)
	s_mul_i32 s1, s0, s20
	s_sub_i32 s1, s4, s1
	s_add_i32 s4, s0, 1
	s_sub_i32 s5, s1, s20
	s_cmp_ge_u32 s1, s20
	s_cselect_b32 s0, s4, s0
	s_cselect_b32 s1, s5, s1
	s_add_i32 s4, s0, 1
	s_cmp_ge_u32 s1, s20
	s_cselect_b32 s0, s4, s0
.LBB35_13:                              ;   in Loop: Header=BB35_9 Depth=1
	s_delay_alu instid0(SALU_CYCLE_1)
	s_cmp_lg_u32 s16, s0
	s_cbranch_scc0 .LBB35_17
; %bb.14:                               ;   in Loop: Header=BB35_9 Depth=1
	s_add_i32 s1, s14, s20
	s_mov_b32 s5, s12
	s_lshl_b32 s1, s1, 3
	s_mov_b32 s15, s16
	s_add_i32 s4, s1, s17
	s_mul_hi_u32 s1, s0, s8
	s_lshl_b64 s[4:5], s[4:5], 3
	s_delay_alu instid0(SALU_CYCLE_1) | instskip(SKIP_2) | instid1(SALU_CYCLE_1)
	s_add_u32 s4, s2, s4
	s_addc_u32 s5, s3, s5
	s_add_i32 s1, s1, s0
	s_lshr_b32 s1, s1, s9
	s_delay_alu instid0(SALU_CYCLE_1) | instskip(NEXT) | instid1(SALU_CYCLE_1)
	s_mul_i32 s13, s1, s10
	s_cmp_eq_u32 s13, s0
	s_cselect_b32 s13, -1, 0
	s_cmp_lt_u32 s1, s11
	s_cselect_b32 s1, -1, 0
	s_delay_alu instid0(SALU_CYCLE_1)
	s_or_b32 s1, s1, s13
	s_mov_b32 s13, -1
	s_and_b32 vcc_lo, exec_lo, s1
	s_mov_b32 s1, s14
	s_cbranch_vccnz .LBB35_16
; %bb.15:                               ;   in Loop: Header=BB35_9 Depth=1
	s_add_i32 s1, s14, -1
	s_mov_b32 s13, 0
	s_mov_b32 s15, s0
.LBB35_16:                              ;   in Loop: Header=BB35_9 Depth=1
	v_lshl_add_u32 v9, s14, 11, v0
	s_load_b64 s[4:5], s[4:5], 0x0
	s_delay_alu instid0(VALU_DEP_1) | instskip(NEXT) | instid1(VALU_DEP_1)
	v_ashrrev_i32_e32 v10, 31, v9
	v_lshlrev_b64 v[9:10], 2, v[9:10]
	s_delay_alu instid0(VALU_DEP_1) | instskip(NEXT) | instid1(VALU_DEP_2)
	v_add_co_u32 v9, vcc_lo, s18, v9
	v_add_co_ci_u32_e32 v10, vcc_lo, s19, v10, vcc_lo
	s_waitcnt lgkmcnt(0)
	v_max_f32_e64 v11, s4, s4
	global_load_b32 v10, v[9:10], off
	v_max_f32_e32 v9, v8, v8
	s_delay_alu instid0(VALU_DEP_1) | instskip(NEXT) | instid1(VALU_DEP_1)
	v_max_f32_e32 v9, v9, v11
	v_sub_f32_e32 v12, v8, v9
	s_delay_alu instid0(VALU_DEP_1) | instskip(NEXT) | instid1(VALU_DEP_1)
	v_dual_mul_f32 v14, 0x3fb8aa3b, v12 :: v_dual_sub_f32 v11, s4, v9
	v_rndne_f32_e32 v18, v14
	s_delay_alu instid0(VALU_DEP_2) | instskip(SKIP_2) | instid1(VALU_DEP_4)
	v_mul_f32_e32 v13, 0x3fb8aa3b, v11
	v_fma_f32 v17, 0x3fb8aa3b, v12, -v14
	v_cmp_ngt_f32_e32 vcc_lo, 0xc2ce8ed0, v11
	v_sub_f32_e32 v14, v14, v18
	s_delay_alu instid0(VALU_DEP_4) | instskip(SKIP_2) | instid1(VALU_DEP_3)
	v_fma_f32 v15, 0x3fb8aa3b, v11, -v13
	v_rndne_f32_e32 v16, v13
	v_fmac_f32_e32 v17, 0x32a5705f, v12
	v_fmac_f32_e32 v15, 0x32a5705f, v11
	s_delay_alu instid0(VALU_DEP_2) | instskip(NEXT) | instid1(VALU_DEP_1)
	v_dual_sub_f32 v13, v13, v16 :: v_dual_add_f32 v14, v14, v17
	v_add_f32_e32 v13, v13, v15
	s_delay_alu instid0(VALU_DEP_2) | instskip(SKIP_2) | instid1(VALU_DEP_3)
	v_exp_f32_e32 v14, v14
	v_cvt_i32_f32_e32 v15, v16
	v_cvt_i32_f32_e32 v16, v18
	v_exp_f32_e32 v13, v13
	s_waitcnt_depctr 0xfff
	v_ldexp_f32 v14, v14, v16
	v_ldexp_f32 v13, v13, v15
	s_delay_alu instid0(VALU_DEP_1) | instskip(SKIP_1) | instid1(VALU_DEP_4)
	v_cndmask_b32_e32 v13, 0, v13, vcc_lo
	v_cmp_ngt_f32_e32 vcc_lo, 0xc2ce8ed0, v12
	v_cndmask_b32_e32 v14, 0, v14, vcc_lo
	v_cmp_nlt_f32_e32 vcc_lo, 0x42b17218, v11
	s_delay_alu instid0(VALU_DEP_4) | instskip(SKIP_1) | instid1(VALU_DEP_4)
	v_cndmask_b32_e32 v13, 0x7f800000, v13, vcc_lo
	v_cmp_nlt_f32_e32 vcc_lo, 0x42b17218, v12
	v_cndmask_b32_e32 v14, 0x7f800000, v14, vcc_lo
	v_cmp_le_f32_e32 vcc_lo, 0xc1a00000, v11
	s_delay_alu instid0(VALU_DEP_4) | instskip(SKIP_1) | instid1(VALU_DEP_4)
	v_cndmask_b32_e32 v11, 0, v13, vcc_lo
	v_cmp_le_f32_e32 vcc_lo, 0xc1a00000, v12
	v_cndmask_b32_e32 v12, 0, v14, vcc_lo
	s_waitcnt vmcnt(0)
	s_delay_alu instid0(VALU_DEP_3) | instskip(NEXT) | instid1(VALU_DEP_1)
	v_mul_f32_e32 v10, v10, v11
	v_dual_mul_f32 v11, s5, v11 :: v_dual_fmac_f32 v10, v3, v12
	s_delay_alu instid0(VALU_DEP_1)
	v_fmac_f32_e32 v11, v7, v12
	s_cbranch_execz .LBB35_18
	s_branch .LBB35_19
.LBB35_17:                              ;   in Loop: Header=BB35_9 Depth=1
                                        ; implicit-def: $sgpr13
                                        ; implicit-def: $vgpr10
                                        ; implicit-def: $vgpr9
                                        ; implicit-def: $vgpr11
                                        ; implicit-def: $sgpr1
                                        ; implicit-def: $sgpr15
.LBB35_18:                              ;   in Loop: Header=BB35_9 Depth=1
	v_mov_b32_e32 v11, v7
	s_waitcnt vmcnt(0)
	v_dual_mov_b32 v9, v8 :: v_dual_mov_b32 v10, v3
	s_add_i32 s1, s14, -1
	s_mov_b32 s13, 0
	s_mov_b32 s15, s16
.LBB35_19:                              ;   in Loop: Header=BB35_9 Depth=1
	s_and_not1_b32 vcc_lo, exec_lo, s13
	s_cbranch_vccz .LBB35_23
; %bb.20:                               ;   in Loop: Header=BB35_9 Depth=1
	v_dual_mov_b32 v7, v11 :: v_dual_mov_b32 v8, v9
	s_waitcnt vmcnt(0)
	v_mov_b32_e32 v3, v10
	s_mov_b32 s16, s15
	s_mov_b32 s14, s1
	s_branch .LBB35_9
.LBB35_21:
                                        ; implicit-def: $sgpr16_sgpr17
	s_load_b128 s[8:11], s[0:1], 0x44
	s_branch .LBB35_2
.LBB35_22:
                                        ; implicit-def: $sgpr18_sgpr19
	s_branch .LBB35_5
.LBB35_23:
	v_div_scale_f32 v0, null, v11, v11, v10
	s_waitcnt vmcnt(0)
	s_delay_alu instid0(VALU_DEP_1) | instskip(SKIP_2) | instid1(VALU_DEP_1)
	v_rcp_f32_e32 v3, v0
	s_waitcnt_depctr 0xfff
	v_fma_f32 v4, -v0, v3, 1.0
	v_fmac_f32_e32 v3, v4, v3
	v_div_scale_f32 v4, vcc_lo, v10, v11, v10
	s_delay_alu instid0(VALU_DEP_1) | instskip(NEXT) | instid1(VALU_DEP_1)
	v_mul_f32_e32 v5, v4, v3
	v_fma_f32 v6, -v0, v5, v4
	s_delay_alu instid0(VALU_DEP_1) | instskip(NEXT) | instid1(VALU_DEP_1)
	v_fmac_f32_e32 v5, v6, v3
	v_fma_f32 v0, -v0, v5, v4
	s_delay_alu instid0(VALU_DEP_1) | instskip(NEXT) | instid1(VALU_DEP_1)
	v_div_fmas_f32 v0, v0, v3, v5
	v_div_fixup_f32 v0, v0, v11, v10
	global_store_b32 v[1:2], v0, off
.LBB35_24:
	s_nop 0
	s_sendmsg sendmsg(MSG_DEALLOC_VGPRS)
	s_endpgm
	.section	.rodata,"a",@progbits
	.p2align	6, 0x0
	.amdhsa_kernel _ZL33flash_attn_stream_k_fixup_generalILi256ELi4ELi2EEvPfPK15HIP_vector_typeIfLj2EEiiiiS1_IjLj3EES5_S5_S5_
		.amdhsa_group_segment_fixed_size 0
		.amdhsa_private_segment_fixed_size 0
		.amdhsa_kernarg_size 336
		.amdhsa_user_sgpr_count 13
		.amdhsa_user_sgpr_dispatch_ptr 0
		.amdhsa_user_sgpr_queue_ptr 0
		.amdhsa_user_sgpr_kernarg_segment_ptr 1
		.amdhsa_user_sgpr_dispatch_id 0
		.amdhsa_user_sgpr_private_segment_size 0
		.amdhsa_wavefront_size32 1
		.amdhsa_uses_dynamic_stack 0
		.amdhsa_enable_private_segment 0
		.amdhsa_system_sgpr_workgroup_id_x 1
		.amdhsa_system_sgpr_workgroup_id_y 1
		.amdhsa_system_sgpr_workgroup_id_z 1
		.amdhsa_system_sgpr_workgroup_info 0
		.amdhsa_system_vgpr_workitem_id 0
		.amdhsa_next_free_vgpr 19
		.amdhsa_next_free_sgpr 32
		.amdhsa_reserve_vcc 1
		.amdhsa_float_round_mode_32 0
		.amdhsa_float_round_mode_16_64 0
		.amdhsa_float_denorm_mode_32 3
		.amdhsa_float_denorm_mode_16_64 3
		.amdhsa_dx10_clamp 1
		.amdhsa_ieee_mode 1
		.amdhsa_fp16_overflow 0
		.amdhsa_workgroup_processor_mode 1
		.amdhsa_memory_ordered 1
		.amdhsa_forward_progress 0
		.amdhsa_shared_vgpr_count 0
		.amdhsa_exception_fp_ieee_invalid_op 0
		.amdhsa_exception_fp_denorm_src 0
		.amdhsa_exception_fp_ieee_div_zero 0
		.amdhsa_exception_fp_ieee_overflow 0
		.amdhsa_exception_fp_ieee_underflow 0
		.amdhsa_exception_fp_ieee_inexact 0
		.amdhsa_exception_int_div_zero 0
	.end_amdhsa_kernel
	.section	.text._ZL33flash_attn_stream_k_fixup_generalILi256ELi4ELi2EEvPfPK15HIP_vector_typeIfLj2EEiiiiS1_IjLj3EES5_S5_S5_,"axG",@progbits,_ZL33flash_attn_stream_k_fixup_generalILi256ELi4ELi2EEvPfPK15HIP_vector_typeIfLj2EEiiiiS1_IjLj3EES5_S5_S5_,comdat
.Lfunc_end35:
	.size	_ZL33flash_attn_stream_k_fixup_generalILi256ELi4ELi2EEvPfPK15HIP_vector_typeIfLj2EEiiiiS1_IjLj3EES5_S5_S5_, .Lfunc_end35-_ZL33flash_attn_stream_k_fixup_generalILi256ELi4ELi2EEvPfPK15HIP_vector_typeIfLj2EEiiiiS1_IjLj3EES5_S5_S5_
                                        ; -- End function
	.section	.AMDGPU.csdata,"",@progbits
; Kernel info:
; codeLenInByte = 3224
; NumSgprs: 34
; NumVgprs: 19
; ScratchSize: 0
; MemoryBound: 0
; FloatMode: 240
; IeeeMode: 1
; LDSByteSize: 0 bytes/workgroup (compile time only)
; SGPRBlocks: 4
; VGPRBlocks: 2
; NumSGPRsForWavesPerEU: 34
; NumVGPRsForWavesPerEU: 19
; Occupancy: 16
; WaveLimiterHint : 0
; COMPUTE_PGM_RSRC2:SCRATCH_EN: 0
; COMPUTE_PGM_RSRC2:USER_SGPR: 13
; COMPUTE_PGM_RSRC2:TRAP_HANDLER: 0
; COMPUTE_PGM_RSRC2:TGID_X_EN: 1
; COMPUTE_PGM_RSRC2:TGID_Y_EN: 1
; COMPUTE_PGM_RSRC2:TGID_Z_EN: 1
; COMPUTE_PGM_RSRC2:TIDIG_COMP_CNT: 0
	.section	.text._ZL15flash_attn_tileILi256ELi256ELi2ELi2ELb0EEvPKcS1_S1_S1_S1_PKiPfP15HIP_vector_typeIfLj2EEffffjfiS5_IjLj3EEiiiiiiiiiiiliiliiiiil,"axG",@progbits,_ZL15flash_attn_tileILi256ELi256ELi2ELi2ELb0EEvPKcS1_S1_S1_S1_PKiPfP15HIP_vector_typeIfLj2EEffffjfiS5_IjLj3EEiiiiiiiiiiiliiliiiiil,comdat
	.globl	_ZL15flash_attn_tileILi256ELi256ELi2ELi2ELb0EEvPKcS1_S1_S1_S1_PKiPfP15HIP_vector_typeIfLj2EEffffjfiS5_IjLj3EEiiiiiiiiiiiliiliiiiil ; -- Begin function _ZL15flash_attn_tileILi256ELi256ELi2ELi2ELb0EEvPKcS1_S1_S1_S1_PKiPfP15HIP_vector_typeIfLj2EEffffjfiS5_IjLj3EEiiiiiiiiiiiliiliiiiil
	.p2align	8
	.type	_ZL15flash_attn_tileILi256ELi256ELi2ELi2ELb0EEvPKcS1_S1_S1_S1_PKiPfP15HIP_vector_typeIfLj2EEffffjfiS5_IjLj3EEiiiiiiiiiiiliiliiiiil,@function
_ZL15flash_attn_tileILi256ELi256ELi2ELi2ELb0EEvPKcS1_S1_S1_S1_PKiPfP15HIP_vector_typeIfLj2EEffffjfiS5_IjLj3EEiiiiiiiiiiiliiliiiiil: ; @_ZL15flash_attn_tileILi256ELi256ELi2ELi2ELb0EEvPKcS1_S1_S1_S1_PKiPfP15HIP_vector_typeIfLj2EEffffjfiS5_IjLj3EEiiiiiiiiiiiliiliiiiil
; %bb.0:
	s_clause 0x1
	s_load_b128 s[8:11], s[0:1], 0x5c
	s_load_b64 s[34:35], s[0:1], 0x80
	s_mov_b64 s[36:37], 0
	s_waitcnt lgkmcnt(0)
	s_lshr_b32 s2, s11, 31
	s_delay_alu instid0(SALU_CYCLE_1) | instskip(NEXT) | instid1(SALU_CYCLE_1)
	s_add_i32 s2, s11, s2
	s_ashr_i32 s2, s2, 1
	s_delay_alu instid0(SALU_CYCLE_1) | instskip(SKIP_1) | instid1(VALU_DEP_1)
	v_cvt_f32_u32_e32 v1, s2
	s_sub_i32 s4, 0, s2
	v_rcp_iflag_f32_e32 v1, v1
	s_waitcnt_depctr 0xfff
	v_mul_f32_e32 v1, 0x4f7ffffe, v1
	s_delay_alu instid0(VALU_DEP_1) | instskip(NEXT) | instid1(VALU_DEP_1)
	v_cvt_u32_f32_e32 v1, v1
	v_readfirstlane_b32 s3, v1
	s_delay_alu instid0(VALU_DEP_1) | instskip(NEXT) | instid1(SALU_CYCLE_1)
	s_mul_i32 s4, s4, s3
	s_mul_hi_u32 s4, s3, s4
	s_delay_alu instid0(SALU_CYCLE_1) | instskip(NEXT) | instid1(SALU_CYCLE_1)
	s_add_i32 s3, s3, s4
	s_mul_hi_u32 s3, s15, s3
	s_delay_alu instid0(SALU_CYCLE_1) | instskip(SKIP_2) | instid1(SALU_CYCLE_1)
	s_mul_i32 s4, s3, s2
	s_add_i32 s5, s3, 1
	s_sub_i32 s4, s15, s4
	s_sub_i32 s6, s4, s2
	s_cmp_ge_u32 s4, s2
	s_cselect_b32 s3, s5, s3
	s_cselect_b32 s4, s6, s4
	s_add_i32 s5, s3, 1
	s_cmp_ge_u32 s4, s2
	s_cselect_b32 s33, s5, s3
	s_abs_i32 s2, s35
	s_abs_i32 s7, s11
	v_cvt_f32_u32_e32 v1, s2
	s_sub_i32 s4, 0, s2
	s_lshl_b32 s5, s15, 1
	s_mul_i32 s6, s33, s11
	s_delay_alu instid0(VALU_DEP_1) | instskip(SKIP_3) | instid1(VALU_DEP_1)
	v_rcp_iflag_f32_e32 v1, v1
	s_sub_i32 s15, s5, s6
	s_waitcnt_depctr 0xfff
	v_mul_f32_e32 v1, 0x4f7ffffe, v1
	v_cvt_u32_f32_e32 v1, v1
	s_delay_alu instid0(VALU_DEP_1) | instskip(NEXT) | instid1(VALU_DEP_1)
	v_readfirstlane_b32 s3, v1
	s_mul_i32 s4, s4, s3
	s_delay_alu instid0(SALU_CYCLE_1) | instskip(NEXT) | instid1(SALU_CYCLE_1)
	s_mul_hi_u32 s4, s3, s4
	s_add_i32 s3, s3, s4
	s_xor_b32 s4, s11, s35
	s_mul_hi_u32 s3, s7, s3
	s_ashr_i32 s4, s4, 31
	s_mul_i32 s5, s3, s2
	s_add_i32 s6, s3, 1
	s_sub_i32 s5, s7, s5
	s_delay_alu instid0(SALU_CYCLE_1)
	s_sub_i32 s7, s5, s2
	s_cmp_ge_u32 s5, s2
	s_cselect_b32 s3, s6, s3
	s_cselect_b32 s5, s7, s5
	s_add_i32 s6, s3, 1
	s_cmp_ge_u32 s5, s2
	s_cselect_b32 s2, s6, s3
	s_delay_alu instid0(SALU_CYCLE_1) | instskip(NEXT) | instid1(SALU_CYCLE_1)
	s_xor_b32 s2, s2, s4
	s_sub_i32 s35, s2, s4
	s_clause 0x1
	s_load_b512 s[16:31], s[0:1], 0x0
	s_load_b64 s[2:3], s[0:1], 0xb8
	s_abs_i32 s12, s35
	s_delay_alu instid0(SALU_CYCLE_1) | instskip(NEXT) | instid1(VALU_DEP_1)
	v_cvt_f32_u32_e32 v1, s12
	v_rcp_iflag_f32_e32 v1, v1
	s_waitcnt_depctr 0xfff
	v_mul_f32_e32 v1, 0x4f7ffffe, v1
	s_waitcnt lgkmcnt(0)
	s_cmp_eq_u64 s[22:23], 0
	s_delay_alu instid0(VALU_DEP_1) | instskip(NEXT) | instid1(VALU_DEP_1)
	v_cvt_u32_f32_e32 v1, v1
	v_readfirstlane_b32 s38, v1
	s_cbranch_scc1 .LBB36_2
; %bb.1:
	s_abs_i32 s2, s2
	s_abs_i32 s6, s33
	v_cvt_f32_u32_e32 v1, s2
	s_sub_i32 s5, 0, s2
	s_delay_alu instid0(VALU_DEP_1) | instskip(SKIP_2) | instid1(VALU_DEP_1)
	v_rcp_iflag_f32_e32 v1, v1
	s_waitcnt_depctr 0xfff
	v_mul_f32_e32 v1, 0x4f7ffffe, v1
	v_cvt_u32_f32_e32 v1, v1
	s_delay_alu instid0(VALU_DEP_1) | instskip(NEXT) | instid1(VALU_DEP_1)
	v_readfirstlane_b32 s4, v1
	s_mul_i32 s5, s5, s4
	s_delay_alu instid0(SALU_CYCLE_1) | instskip(NEXT) | instid1(SALU_CYCLE_1)
	s_mul_hi_u32 s5, s4, s5
	s_add_i32 s7, s4, s5
	s_load_b64 s[4:5], s[0:1], 0xc8
	s_mul_hi_u32 s7, s6, s7
	s_delay_alu instid0(SALU_CYCLE_1) | instskip(NEXT) | instid1(SALU_CYCLE_1)
	s_mul_i32 s7, s7, s2
	s_sub_i32 s6, s6, s7
	s_ashr_i32 s7, s33, 31
	s_sub_i32 s36, s6, s2
	s_cmp_ge_u32 s6, s2
	s_cselect_b32 s6, s36, s6
	s_delay_alu instid0(SALU_CYCLE_1) | instskip(SKIP_2) | instid1(SALU_CYCLE_1)
	s_sub_i32 s36, s6, s2
	s_cmp_ge_u32 s6, s2
	s_cselect_b32 s2, s36, s6
	s_xor_b32 s2, s2, s7
	s_delay_alu instid0(SALU_CYCLE_1)
	s_sub_i32 s2, s2, s7
	s_waitcnt lgkmcnt(0)
	s_mul_i32 s5, s2, s5
	s_mul_hi_u32 s6, s2, s4
	s_ashr_i32 s7, s2, 31
	s_add_i32 s5, s6, s5
	s_mul_i32 s7, s7, s4
	s_mul_i32 s2, s2, s4
	s_add_i32 s5, s5, s7
	s_add_u32 s36, s22, s2
	s_addc_u32 s37, s23, s5
.LBB36_2:
	v_bfe_u32 v2, v0, 10, 10
	s_load_b128 s[4:7], s[0:1], 0x70
	v_and_b32_e32 v32, 0x3ff, v0
	s_delay_alu instid0(VALU_DEP_2) | instskip(SKIP_1) | instid1(VALU_DEP_3)
	v_lshrrev_b32_e32 v1, 1, v2
	v_and_b32_e32 v68, 1, v2
	v_lshlrev_b32_e32 v11, 1, v32
	s_delay_alu instid0(VALU_DEP_3) | instskip(NEXT) | instid1(VALU_DEP_1)
	v_lshl_add_u32 v33, s13, 1, v1
	v_mul_hi_u32 v1, s8, v33
	s_waitcnt lgkmcnt(0)
	s_mul_i32 s2, s33, s6
	s_mul_i32 s6, s15, s5
	s_delay_alu instid0(VALU_DEP_1)
	v_add_nc_u32_e32 v1, v33, v1
	s_ashr_i32 s7, s2, 31
	s_add_u32 s2, s16, s2
	s_addc_u32 s7, s17, s7
	s_ashr_i32 s8, s6, 31
	v_lshrrev_b32_e32 v1, s9, v1
	s_add_u32 s2, s2, s6
	s_addc_u32 s6, s7, s8
	s_ashr_i32 s7, s4, 31
	s_delay_alu instid0(SALU_CYCLE_1) | instskip(SKIP_2) | instid1(SALU_CYCLE_1)
	v_alignbit_b32 v5, s7, s4, 2
	v_mul_lo_u32 v1, v1, s10
	s_ashr_i32 s4, s5, 31
	s_lshr_b32 s8, s4, 2
	s_delay_alu instid0(SALU_CYCLE_1) | instskip(NEXT) | instid1(VALU_DEP_2)
	v_mul_lo_u32 v6, s8, v68
	v_sub_nc_u32_e32 v1, v33, v1
	s_delay_alu instid0(VALU_DEP_1) | instskip(SKIP_4) | instid1(VALU_DEP_1)
	v_mad_u64_u32 v[3:4], null, v5, v1, 0
	v_alignbit_b32 v5, s4, s5, 2
	s_lshr_b32 s4, s7, 2
	s_mov_b32 s5, 0
	s_cmp_eq_u64 s[26:27], 0
	v_mad_u64_u32 v[7:8], null, s4, v1, v[4:5]
	v_mul_lo_u32 v5, v5, v68
	s_delay_alu instid0(VALU_DEP_2) | instskip(NEXT) | instid1(VALU_DEP_2)
	v_mov_b32_e32 v4, v7
	v_lshlrev_b64 v[5:6], 2, v[5:6]
	s_delay_alu instid0(VALU_DEP_2) | instskip(NEXT) | instid1(VALU_DEP_2)
	v_lshlrev_b64 v[3:4], 2, v[3:4]
	v_add_co_u32 v0, vcc_lo, s2, v5
	s_delay_alu instid0(VALU_DEP_3) | instskip(SKIP_1) | instid1(VALU_DEP_3)
	v_add_co_ci_u32_e32 v5, vcc_lo, s6, v6, vcc_lo
	v_lshlrev_b32_e32 v6, 4, v32
	v_add_co_u32 v0, vcc_lo, v0, v3
	s_delay_alu instid0(VALU_DEP_3) | instskip(SKIP_1) | instid1(VALU_DEP_2)
	v_add_co_ci_u32_e32 v3, vcc_lo, v5, v4, vcc_lo
	s_load_b32 s2, s[0:1], 0x40
	v_add_co_u32 v7, vcc_lo, v0, v6
	s_delay_alu instid0(VALU_DEP_2) | instskip(SKIP_4) | instid1(VALU_DEP_1)
	v_add_co_ci_u32_e32 v8, vcc_lo, 0, v3, vcc_lo
	s_clause 0x1
	global_load_b128 v[3:6], v[7:8], off
	global_load_b128 v[7:10], v[7:8], off offset:512
	v_lshlrev_b32_e32 v0, 7, v2
	v_add_lshl_u32 v0, v11, v0, 2
	s_delay_alu instid0(VALU_DEP_1)
	v_add_nc_u32_e32 v0, 0x4000, v0
	s_waitcnt vmcnt(1) lgkmcnt(0)
	v_fma_mixlo_f16 v12, v5, s2, 0
	v_fma_mixlo_f16 v11, v3, s2, 0
	s_waitcnt vmcnt(0)
	v_fma_mixlo_f16 v14, v9, s2, 0
	v_fma_mixlo_f16 v13, v7, s2, 0
	v_fma_mixhi_f16 v12, v6, s2, 0
	v_fma_mixhi_f16 v11, v4, s2, 0
	s_delay_alu instid0(VALU_DEP_4) | instskip(NEXT) | instid1(VALU_DEP_4)
	v_fma_mixhi_f16 v14, v10, s2, 0
	v_fma_mixhi_f16 v13, v8, s2, 0
	ds_store_2addr_b64 v0, v[11:12], v[13:14] offset0:64 offset1:96
	s_waitcnt lgkmcnt(0)
	s_barrier
	buffer_gl0_inv
	s_cbranch_scc1 .LBB36_4
; %bb.3:
	s_load_b32 s2, s[0:1], 0xd0
	s_waitcnt lgkmcnt(0)
	s_mul_i32 s2, s2, s33
	s_delay_alu instid0(SALU_CYCLE_1) | instskip(NEXT) | instid1(SALU_CYCLE_1)
	s_add_i32 s4, s2, s13
	s_lshl_b64 s[4:5], s[4:5], 2
	s_delay_alu instid0(SALU_CYCLE_1)
	s_add_u32 s4, s26, s4
	s_addc_u32 s5, s27, s5
	s_load_b32 s34, s[4:5], 0x0
.LBB36_4:
	v_lshlrev_b32_e32 v69, 2, v32
	v_mbcnt_lo_u32_b32 v70, -1, 0
	s_lshl_b32 s9, s14, 5
	s_waitcnt lgkmcnt(0)
	s_cmp_lt_i32 s9, s34
	s_cbranch_scc1 .LBB36_6
; %bb.5:
	v_mbcnt_lo_u32_b32 v0, -1, 0
	v_mov_b32_e32 v72, 32
	s_mov_b32 s2, 0
	s_mov_b32 s4, 0xfeffffff
	s_delay_alu instid0(VALU_DEP_2)
	v_xor_b32_e32 v80, 16, v0
	v_xor_b32_e32 v78, 8, v0
	;; [unrolled: 1-line block ×5, first 2 shown]
	s_branch .LBB36_7
.LBB36_6:
	s_mov_b32 s2, -1
                                        ; implicit-def: $sgpr4
                                        ; implicit-def: $vgpr0
                                        ; implicit-def: $vgpr72
                                        ; implicit-def: $vgpr80
                                        ; implicit-def: $vgpr78
                                        ; implicit-def: $vgpr76
                                        ; implicit-def: $vgpr75
                                        ; implicit-def: $vgpr73
.LBB36_7:
	s_delay_alu instid0(SALU_CYCLE_1) | instskip(SKIP_2) | instid1(VALU_DEP_3)
	v_cndmask_b32_e64 v3, 0, 1, s2
	v_dual_mov_b32 v88, s2 :: v_dual_mov_b32 v91, s2
	v_dual_mov_b32 v34, s4 :: v_dual_mov_b32 v109, s2
	v_cmp_ne_u32_e32 vcc_lo, 1, v3
	v_mov_b32_e32 v92, s2
	v_mov_b32_e32 v110, s2
	s_cbranch_vccnz .LBB36_11
; %bb.8:
	s_clause 0x1
	s_load_b128 s[4:7], s[0:1], 0x98
	s_load_b64 s[22:23], s[0:1], 0x8c
	s_sub_i32 s2, 0, s12
	s_abs_i32 s8, s15
	s_mul_i32 s2, s2, s38
	s_ashr_i32 s13, s15, 31
	s_mul_hi_u32 s2, s38, s2
	s_ashr_i32 s35, s35, 31
	s_add_i32 s38, s38, s2
	s_ashr_i32 s2, s3, 1
	s_mul_hi_u32 s3, s8, s38
	s_ashr_i32 s38, s33, 31
	s_load_b64 s[26:27], s[0:1], 0xa8
	s_mul_i32 s39, s3, s12
	v_dual_mov_b32 v72, 32 :: v_dual_lshlrev_b32 v71, 2, v69
	v_dual_mov_b32 v109, 0 :: v_dual_lshlrev_b32 v4, 9, v2
	v_mad_u64_u32 v[35:36], null, v1, s2, v[32:33]
	s_waitcnt lgkmcnt(0)
	s_mul_i32 s5, s33, s5
	s_mul_hi_u32 s40, s33, s4
	s_mul_i32 s41, s38, s4
	s_add_i32 s5, s40, s5
	s_mul_i32 s4, s33, s4
	s_ashr_i32 s16, s6, 2
	s_ashr_i32 s17, s22, 2
	s_add_i32 s5, s5, s41
	s_add_u32 s4, s18, s4
	s_addc_u32 s5, s19, s5
	s_sub_i32 s8, s8, s39
	s_xor_b32 s13, s13, s35
	s_add_i32 s18, s3, 1
	s_sub_i32 s19, s8, s12
	s_cmp_ge_u32 s8, s12
	s_mul_i32 s38, s38, s26
	s_cselect_b32 s3, s18, s3
	s_cselect_b32 s8, s19, s8
	s_add_i32 s18, s3, 1
	s_cmp_ge_u32 s8, s12
	s_mul_i32 s8, s33, s27
	s_cselect_b32 s3, s18, s3
	s_mul_hi_u32 s12, s33, s26
	s_xor_b32 s3, s3, s13
	v_mul_lo_u32 v3, s17, v2
	s_sub_i32 s3, s3, s13
	v_mul_lo_u32 v0, s16, v2
	s_mul_i32 s18, s3, s23
	s_mul_i32 s13, s33, s26
	s_ashr_i32 s19, s18, 31
	s_add_u32 s18, s4, s18
	s_addc_u32 s19, s5, s19
	s_add_i32 s4, s12, s8
	s_mul_i32 s3, s3, s7
	s_add_i32 s4, s4, s38
	s_add_u32 s5, s20, s13
	s_addc_u32 s4, s21, s4
	s_ashr_i32 s7, s3, 31
	s_add_u32 s20, s5, s3
	s_addc_u32 s21, s4, s7
	s_and_b32 s3, s22, -4
	s_and_b32 s4, s6, -4
	v_dual_mov_b32 v34, 0xfeffffff :: v_dual_add_nc_u32 v5, s3, v3
	v_dual_mov_b32 v110, 0 :: v_dual_add_nc_u32 v13, s4, v0
	s_delay_alu instid0(VALU_DEP_2) | instskip(SKIP_1) | instid1(VALU_DEP_3)
	v_dual_mov_b32 v88, 0 :: v_dual_add_nc_u32 v7, s3, v5
	v_dual_mov_b32 v92, 0 :: v_dual_add_nc_u32 v81, 0x4200, v4
	v_add_nc_u32_e32 v17, s4, v13
	v_dual_mov_b32 v91, 0 :: v_dual_add_nc_u32 v82, v4, v71
	s_delay_alu instid0(VALU_DEP_4) | instskip(SKIP_1) | instid1(VALU_DEP_4)
	v_add_nc_u32_e32 v9, s3, v7
	v_ashrrev_i32_e32 v4, 31, v3
	v_add_nc_u32_e32 v21, s4, v17
	v_ashrrev_i32_e32 v6, 31, v5
	v_ashrrev_i32_e32 v8, 31, v7
	v_add_nc_u32_e32 v11, s3, v9
	v_ashrrev_i32_e32 v10, 31, v9
	v_add_nc_u32_e32 v25, s4, v21
	v_ashrrev_i32_e32 v1, 31, v0
	v_ashrrev_i32_e32 v14, 31, v13
	;; [unrolled: 5-line block ×4, first 2 shown]
	v_add_nc_u32_e32 v23, s3, v19
	v_ashrrev_i32_e32 v20, 31, v19
	v_add_nc_u32_e32 v66, s4, v29
	v_ashrrev_i32_e32 v30, 31, v29
	v_lshl_add_u32 v77, v2, 6, 0x4a00
	v_ashrrev_i32_e32 v24, 31, v23
	v_mad_u32_u24 v79, 0x210, v2, v71
	v_ashrrev_i32_e32 v67, 31, v66
	v_lshlrev_b32_e32 v101, 3, v32
	v_lshlrev_b64 v[36:37], 2, v[3:4]
	v_lshlrev_b64 v[38:39], 2, v[5:6]
	;; [unrolled: 1-line block ×16, first 2 shown]
	v_mul_u32_u24_e32 v74, 0x210, v32
	v_add_nc_u32_e32 v83, 0x840, v79
	v_add_nc_u32_e32 v84, 0x1080, v79
	;; [unrolled: 1-line block ×7, first 2 shown]
	v_lshl_add_u32 v93, v32, 1, v77
	v_add_nc_u32_e32 v94, 0x800, v82
	v_add_nc_u32_e32 v95, 0x1000, v82
	;; [unrolled: 1-line block ×7, first 2 shown]
	v_xor_b32_e32 v80, 16, v70
	v_xor_b32_e32 v78, 8, v70
	;; [unrolled: 1-line block ×5, first 2 shown]
	v_add_nc_u32_e32 v102, 0x800, v101
	v_add_nc_u32_e32 v103, 0x1000, v101
	;; [unrolled: 1-line block ×7, first 2 shown]
	s_add_u32 s12, s0, 0xd0
	s_addc_u32 s13, s1, 0
.LBB36_9:                               ; =>This Inner Loop Header: Depth=1
	s_mul_hi_i32 s3, s9, s17
	s_mul_i32 s2, s9, s17
	v_mov_b32_e32 v113, 0
	s_lshl_b64 s[2:3], s[2:3], 2
	v_add_nc_u32_e32 v111, s9, v35
	s_add_u32 s8, s18, s2
	s_addc_u32 s22, s19, s3
	v_add_co_u32 v0, vcc_lo, s8, v38
	v_add_co_u32 v1, s2, s8, v40
	v_add_co_u32 v2, s3, s8, v42
	;; [unrolled: 1-line block ×7, first 2 shown]
	s_delay_alu instid0(VALU_DEP_1)
	v_add_co_ci_u32_e64 v10, s8, s22, v37, s8
	v_add_co_ci_u32_e32 v11, vcc_lo, s22, v39, vcc_lo
	v_add_co_ci_u32_e64 v13, vcc_lo, s22, v41, s2
	v_add_co_ci_u32_e64 v14, vcc_lo, s22, v43, s3
	;; [unrolled: 1-line block ×6, first 2 shown]
	v_add_co_u32 v4, vcc_lo, v0, v71
	v_add_co_u32 v0, s8, v9, v71
	v_add_co_u32 v8, s2, v1, v71
	v_add_co_ci_u32_e64 v1, s8, 0, v10, s8
	v_add_co_u32 v12, s3, v2, v71
	v_add_co_u32 v20, s5, v5, v71
	v_add_co_ci_u32_e32 v5, vcc_lo, 0, v11, vcc_lo
	v_add_co_u32 v16, s4, v3, v71
	v_add_co_u32 v24, s6, v6, v71
	;; [unrolled: 1-line block ×3, first 2 shown]
	v_add_co_ci_u32_e64 v9, vcc_lo, 0, v13, s2
	v_add_co_ci_u32_e64 v13, vcc_lo, 0, v14, s3
	;; [unrolled: 1-line block ×6, first 2 shown]
	s_clause 0x7
	global_load_b128 v[0:3], v[0:1], off
	global_load_b128 v[4:7], v[4:5], off
	;; [unrolled: 1-line block ×8, first 2 shown]
	v_ashrrev_i32_e32 v112, 31, v111
	s_mul_hi_i32 s3, s9, s16
	s_mul_i32 s2, s9, s16
	s_waitcnt vmcnt(7)
	ds_store_b128 v79, v[0:3]
	s_waitcnt vmcnt(6)
	ds_store_b128 v83, v[4:7]
	;; [unrolled: 2-line block ×8, first 2 shown]
	s_waitcnt lgkmcnt(0)
	s_barrier
	buffer_gl0_inv
	ds_load_b128 v[0:3], v74
	ds_load_b128 v[4:7], v81
	s_waitcnt lgkmcnt(0)
	;;#ASMSTART
	v_dot2_f32_f16 v113, v0, v4, v113
	;;#ASMEND
	;;#ASMSTART
	v_dot2_f32_f16 v113, v1, v5, v113
	;;#ASMEND
	;;#ASMSTART
	v_dot2_f32_f16 v113, v2, v6, v113
	;;#ASMEND
	;;#ASMSTART
	v_dot2_f32_f16 v113, v3, v7, v113
	;;#ASMEND
	ds_load_b128 v[0:3], v74 offset:16
	ds_load_b128 v[4:7], v81 offset:16
	s_waitcnt lgkmcnt(0)
	;;#ASMSTART
	v_dot2_f32_f16 v113, v0, v4, v113
	;;#ASMEND
	;;#ASMSTART
	v_dot2_f32_f16 v113, v1, v5, v113
	;;#ASMEND
	;;#ASMSTART
	v_dot2_f32_f16 v113, v2, v6, v113
	;;#ASMEND
	;;#ASMSTART
	v_dot2_f32_f16 v113, v3, v7, v113
	;;#ASMEND
	ds_load_b128 v[0:3], v74 offset:32
	ds_load_b128 v[4:7], v81 offset:32
	;; [unrolled: 15-line block ×31, first 2 shown]
	v_lshlrev_b64 v[111:112], 1, v[111:112]
	s_waitcnt lgkmcnt(0)
	;;#ASMSTART
	v_dot2_f32_f16 v113, v0, v4, v113
	;;#ASMEND
	s_delay_alu instid0(VALU_DEP_1) | instskip(NEXT) | instid1(VALU_DEP_2)
	v_add_co_u32 v111, vcc_lo, s36, v111
	v_add_co_ci_u32_e32 v112, vcc_lo, s37, v112, vcc_lo
	;;#ASMSTART
	v_dot2_f32_f16 v113, v1, v5, v113
	;;#ASMEND
	;;#ASMSTART
	v_dot2_f32_f16 v113, v2, v6, v113
	;;#ASMEND
	;;#ASMSTART
	v_dot2_f32_f16 v113, v3, v7, v113
	;;#ASMEND
	flat_load_u16 v111, v[111:112]
	v_mov_b32_e32 v112, v34
	s_lshl_b64 s[2:3], s[2:3], 2
	s_waitcnt vmcnt(0) lgkmcnt(0)
	s_add_u32 s8, s20, s2
	s_addc_u32 s22, s21, s3
	v_add_co_u32 v0, vcc_lo, s8, v54
	v_add_co_u32 v1, s2, s8, v56
	v_add_co_u32 v2, s3, s8, v58
	;; [unrolled: 1-line block ×7, first 2 shown]
	s_delay_alu instid0(VALU_DEP_1)
	v_add_co_ci_u32_e64 v10, s8, s22, v53, s8
	v_add_co_ci_u32_e32 v11, vcc_lo, s22, v55, vcc_lo
	v_add_co_ci_u32_e64 v13, vcc_lo, s22, v57, s2
	v_add_co_ci_u32_e64 v14, vcc_lo, s22, v59, s3
	;; [unrolled: 1-line block ×6, first 2 shown]
	v_add_co_u32 v4, vcc_lo, v0, v71
	v_add_co_u32 v0, s8, v9, v71
	v_add_co_u32 v8, s2, v1, v71
	v_add_co_ci_u32_e64 v1, s8, 0, v10, s8
	v_add_co_u32 v12, s3, v2, v71
	v_add_co_u32 v20, s5, v5, v71
	v_add_co_ci_u32_e32 v5, vcc_lo, 0, v11, vcc_lo
	v_add_co_u32 v16, s4, v3, v71
	v_add_co_u32 v24, s6, v6, v71
	;; [unrolled: 1-line block ×3, first 2 shown]
	v_add_co_ci_u32_e64 v9, vcc_lo, 0, v13, s2
	v_add_co_ci_u32_e64 v13, vcc_lo, 0, v14, s3
	;; [unrolled: 1-line block ×6, first 2 shown]
	s_barrier
	buffer_gl0_inv
	s_clause 0x7
	global_load_b128 v[0:3], v[0:1], off
	global_load_b128 v[4:7], v[4:5], off
	;; [unrolled: 1-line block ×8, first 2 shown]
	v_cmp_gt_i32_e32 vcc_lo, 32, v80
	v_max_f32_e32 v118, v112, v112
	v_cndmask_b32_e32 v34, v70, v80, vcc_lo
	v_cmp_gt_i32_e32 vcc_lo, 32, v78
	s_delay_alu instid0(VALU_DEP_2) | instskip(SKIP_4) | instid1(VALU_DEP_2)
	v_lshlrev_b32_e32 v34, 2, v34
	v_cndmask_b32_e32 v114, v70, v78, vcc_lo
	v_cmp_gt_i32_e32 vcc_lo, 32, v76
	v_cndmask_b32_e32 v115, v70, v76, vcc_lo
	v_cmp_gt_i32_e32 vcc_lo, 32, v75
	v_lshlrev_b32_e32 v115, 2, v115
	v_cndmask_b32_e32 v116, v70, v75, vcc_lo
	v_cmp_gt_i32_e32 vcc_lo, 32, v73
	v_cndmask_b32_e32 v117, v70, v73, vcc_lo
	s_delay_alu instid0(VALU_DEP_1) | instskip(SKIP_1) | instid1(VALU_DEP_1)
	v_lshlrev_b32_e32 v117, 2, v117
	v_cvt_f32_f16_e32 v111, v111
	v_dual_add_f32 v111, v113, v111 :: v_dual_lshlrev_b32 v114, 2, v114
	s_delay_alu instid0(VALU_DEP_1) | instskip(NEXT) | instid1(VALU_DEP_1)
	v_dual_add_f32 v113, 0x40051340, v111 :: v_dual_lshlrev_b32 v116, 2, v116
	v_max_f32_e32 v113, v118, v113
	ds_bpermute_b32 v34, v34, v113
	s_waitcnt lgkmcnt(0)
	v_max_f32_e32 v34, v34, v34
	s_delay_alu instid0(VALU_DEP_1) | instskip(SKIP_3) | instid1(VALU_DEP_1)
	v_max_f32_e32 v34, v113, v34
	ds_bpermute_b32 v113, v114, v34
	s_waitcnt lgkmcnt(0)
	v_max_f32_e32 v113, v113, v113
	v_max_f32_e32 v34, v34, v113
	ds_bpermute_b32 v113, v115, v34
	s_waitcnt lgkmcnt(0)
	v_max_f32_e32 v113, v113, v113
	s_delay_alu instid0(VALU_DEP_1) | instskip(SKIP_3) | instid1(VALU_DEP_1)
	v_max_f32_e32 v34, v34, v113
	ds_bpermute_b32 v113, v116, v34
	s_waitcnt lgkmcnt(0)
	v_max_f32_e32 v113, v113, v113
	v_max_f32_e32 v34, v34, v113
	ds_bpermute_b32 v113, v117, v34
	s_waitcnt lgkmcnt(0)
	v_max_f32_e32 v113, v113, v113
	s_delay_alu instid0(VALU_DEP_1) | instskip(NEXT) | instid1(VALU_DEP_1)
	v_max_f32_e32 v34, v34, v113
	v_sub_f32_e32 v112, v112, v34
	s_delay_alu instid0(VALU_DEP_1) | instskip(SKIP_1) | instid1(VALU_DEP_2)
	v_mul_f32_e32 v113, 0x3fb8aa3b, v112
	v_cmp_ngt_f32_e64 s2, 0xc2ce8ed0, v112
	v_fma_f32 v115, 0x3fb8aa3b, v112, -v113
	v_rndne_f32_e32 v116, v113
	s_delay_alu instid0(VALU_DEP_2) | instskip(NEXT) | instid1(VALU_DEP_2)
	v_fmac_f32_e32 v115, 0x32a5705f, v112
	v_sub_f32_e32 v113, v113, v116
	v_cvt_i32_f32_e32 v116, v116
	s_delay_alu instid0(VALU_DEP_2) | instskip(SKIP_1) | instid1(VALU_DEP_2)
	v_add_f32_e32 v113, v113, v115
	v_sub_f32_e32 v111, v111, v34
	v_exp_f32_e32 v113, v113
	s_delay_alu instid0(VALU_DEP_1) | instskip(NEXT) | instid1(VALU_DEP_1)
	v_mul_f32_e32 v114, 0x3fb8aa3b, v111
	v_fma_f32 v117, 0x3fb8aa3b, v111, -v114
	v_rndne_f32_e32 v118, v114
	s_waitcnt_depctr 0xfff
	v_ldexp_f32 v113, v113, v116
	v_dual_fmac_f32 v117, 0x32a5705f, v111 :: v_dual_sub_f32 v114, v114, v118
	v_cvt_i32_f32_e32 v118, v118
	s_delay_alu instid0(VALU_DEP_3) | instskip(SKIP_1) | instid1(VALU_DEP_4)
	v_cndmask_b32_e64 v113, 0, v113, s2
	v_cmp_nlt_f32_e64 s2, 0x42b17218, v112
	v_add_f32_e32 v114, v114, v117
	v_cmp_ngt_f32_e32 vcc_lo, 0xc2ce8ed0, v111
	s_delay_alu instid0(VALU_DEP_3) | instskip(NEXT) | instid1(VALU_DEP_3)
	v_cndmask_b32_e64 v221, 0x7f800000, v113, s2
	v_exp_f32_e32 v114, v114
	s_delay_alu instid0(VALU_DEP_1) | instskip(NEXT) | instid1(VALU_DEP_1)
	v_cvt_f16_f32_e64 v223, v221
	v_pk_mul_f16 v224, v223, v110 op_sel_hi:[0,1]
	s_waitcnt_depctr 0xfff
	v_ldexp_f32 v114, v114, v118
	v_pk_mul_f16 v225, v223, v109 op_sel_hi:[0,1]
	s_delay_alu instid0(VALU_DEP_2) | instskip(SKIP_1) | instid1(VALU_DEP_2)
	v_cndmask_b32_e32 v114, 0, v114, vcc_lo
	v_cmp_nlt_f32_e32 vcc_lo, 0x42b17218, v111
	v_cndmask_b32_e32 v222, 0x7f800000, v114, vcc_lo
	s_delay_alu instid0(VALU_DEP_1)
	v_cvt_f16_f32_e64 v111, v222
	ds_store_b16 v93, v111
	s_waitcnt vmcnt(7)
	ds_store_b128 v82, v[0:3]
	s_waitcnt vmcnt(6)
	ds_store_b128 v94, v[4:7]
	;; [unrolled: 2-line block ×8, first 2 shown]
	s_waitcnt lgkmcnt(0)
	s_barrier
	buffer_gl0_inv
	ds_load_2addr_b64 v[0:3], v101 offset1:32
	ds_load_b128 v[4:7], v77
	ds_load_b128 v[8:11], v77 offset:16
	ds_load_b128 v[12:15], v77 offset:32
	;; [unrolled: 1-line block ×3, first 2 shown]
	ds_load_2addr_b64 v[20:23], v101 offset0:64 offset1:96
	ds_load_2addr_b64 v[24:27], v101 offset0:128 offset1:160
	ds_load_2addr_b64 v[28:31], v101 offset0:192 offset1:224
	ds_load_2addr_b64 v[109:112], v102 offset1:32
	ds_load_2addr_b64 v[113:116], v102 offset0:64 offset1:96
	ds_load_2addr_b64 v[117:120], v102 offset0:128 offset1:160
	ds_load_2addr_b64 v[121:124], v102 offset0:192 offset1:224
	ds_load_2addr_b64 v[125:128], v103 offset1:32
	;; [unrolled: 4-line block ×7, first 2 shown]
	ds_load_2addr_b64 v[209:212], v108 offset0:64 offset1:96
	ds_load_2addr_b64 v[213:216], v108 offset0:128 offset1:160
	;; [unrolled: 1-line block ×3, first 2 shown]
	s_waitcnt lgkmcnt(34)
	v_pk_mul_f16 v0, v0, v4 op_sel_hi:[1,0]
	v_pk_mul_f16 v1, v1, v4 op_sel_hi:[1,0]
	v_pk_fma_f16 v2, v2, v4, v224 op_sel_hi:[1,0,1]
	v_pk_fma_f16 v3, v3, v4, v225 op_sel_hi:[1,0,1]
	s_waitcnt lgkmcnt(0)
	v_pk_fma_f16 v0, v88, v223, v0 op_sel_hi:[1,0,1]
	v_pk_fma_f16 v1, v92, v223, v1 op_sel_hi:[1,0,1]
	v_pk_fma_f16 v2, v22, v4, v2 op_sel:[0,1,0]
	v_pk_fma_f16 v3, v23, v4, v3 op_sel:[0,1,0]
	s_barrier
	v_pk_fma_f16 v0, v20, v4, v0 op_sel:[0,1,0]
	v_pk_fma_f16 v1, v21, v4, v1 op_sel:[0,1,0]
	v_pk_fma_f16 v2, v26, v5, v2 op_sel_hi:[1,0,1]
	v_pk_fma_f16 v3, v27, v5, v3 op_sel_hi:[1,0,1]
	buffer_gl0_inv
	v_pk_fma_f16 v0, v24, v5, v0 op_sel_hi:[1,0,1]
	v_pk_fma_f16 v1, v25, v5, v1 op_sel_hi:[1,0,1]
	v_pk_fma_f16 v2, v30, v5, v2 op_sel:[0,1,0]
	v_pk_fma_f16 v3, v31, v5, v3 op_sel:[0,1,0]
	s_load_b32 s2, s[12:13], 0x4
	v_pk_fma_f16 v0, v28, v5, v0 op_sel:[0,1,0]
	v_pk_fma_f16 v1, v29, v5, v1 op_sel:[0,1,0]
	v_pk_fma_f16 v2, v111, v6, v2 op_sel_hi:[1,0,1]
	v_pk_fma_f16 v3, v112, v6, v3 op_sel_hi:[1,0,1]
	v_fma_f32 v91, v91, v221, v222
	v_pk_fma_f16 v0, v109, v6, v0 op_sel_hi:[1,0,1]
	v_pk_fma_f16 v1, v110, v6, v1 op_sel_hi:[1,0,1]
	v_pk_fma_f16 v2, v115, v6, v2 op_sel:[0,1,0]
	v_pk_fma_f16 v3, v116, v6, v3 op_sel:[0,1,0]
	s_delay_alu instid0(VALU_DEP_4) | instskip(NEXT) | instid1(VALU_DEP_4)
	v_pk_fma_f16 v0, v113, v6, v0 op_sel:[0,1,0]
	v_pk_fma_f16 v1, v114, v6, v1 op_sel:[0,1,0]
	s_delay_alu instid0(VALU_DEP_4) | instskip(NEXT) | instid1(VALU_DEP_4)
	v_pk_fma_f16 v2, v119, v7, v2 op_sel_hi:[1,0,1]
	v_pk_fma_f16 v3, v120, v7, v3 op_sel_hi:[1,0,1]
	s_delay_alu instid0(VALU_DEP_4) | instskip(NEXT) | instid1(VALU_DEP_4)
	v_pk_fma_f16 v0, v117, v7, v0 op_sel_hi:[1,0,1]
	v_pk_fma_f16 v1, v118, v7, v1 op_sel_hi:[1,0,1]
	s_delay_alu instid0(VALU_DEP_4) | instskip(NEXT) | instid1(VALU_DEP_4)
	v_pk_fma_f16 v2, v123, v7, v2 op_sel:[0,1,0]
	v_pk_fma_f16 v3, v124, v7, v3 op_sel:[0,1,0]
	s_waitcnt lgkmcnt(0)
	s_lshl_b32 s2, s2, 5
	v_pk_fma_f16 v0, v121, v7, v0 op_sel:[0,1,0]
	v_pk_fma_f16 v1, v122, v7, v1 op_sel:[0,1,0]
	v_pk_fma_f16 v2, v127, v8, v2 op_sel_hi:[1,0,1]
	v_pk_fma_f16 v3, v128, v8, v3 op_sel_hi:[1,0,1]
	s_add_i32 s9, s2, s9
	v_pk_fma_f16 v0, v125, v8, v0 op_sel_hi:[1,0,1]
	v_pk_fma_f16 v1, v126, v8, v1 op_sel_hi:[1,0,1]
	v_pk_fma_f16 v2, v131, v8, v2 op_sel:[0,1,0]
	v_pk_fma_f16 v3, v132, v8, v3 op_sel:[0,1,0]
	s_cmp_lt_i32 s9, s34
	v_pk_fma_f16 v0, v129, v8, v0 op_sel:[0,1,0]
	v_pk_fma_f16 v1, v130, v8, v1 op_sel:[0,1,0]
	v_pk_fma_f16 v2, v135, v9, v2 op_sel_hi:[1,0,1]
	v_pk_fma_f16 v3, v136, v9, v3 op_sel_hi:[1,0,1]
	s_delay_alu instid0(VALU_DEP_4) | instskip(NEXT) | instid1(VALU_DEP_4)
	v_pk_fma_f16 v0, v133, v9, v0 op_sel_hi:[1,0,1]
	v_pk_fma_f16 v1, v134, v9, v1 op_sel_hi:[1,0,1]
	s_delay_alu instid0(VALU_DEP_4) | instskip(NEXT) | instid1(VALU_DEP_4)
	v_pk_fma_f16 v2, v139, v9, v2 op_sel:[0,1,0]
	v_pk_fma_f16 v3, v140, v9, v3 op_sel:[0,1,0]
	s_delay_alu instid0(VALU_DEP_4) | instskip(NEXT) | instid1(VALU_DEP_4)
	v_pk_fma_f16 v0, v137, v9, v0 op_sel:[0,1,0]
	v_pk_fma_f16 v1, v138, v9, v1 op_sel:[0,1,0]
	s_delay_alu instid0(VALU_DEP_4) | instskip(NEXT) | instid1(VALU_DEP_4)
	v_pk_fma_f16 v2, v143, v10, v2 op_sel_hi:[1,0,1]
	v_pk_fma_f16 v3, v144, v10, v3 op_sel_hi:[1,0,1]
	s_delay_alu instid0(VALU_DEP_4) | instskip(NEXT) | instid1(VALU_DEP_4)
	v_pk_fma_f16 v0, v141, v10, v0 op_sel_hi:[1,0,1]
	v_pk_fma_f16 v1, v142, v10, v1 op_sel_hi:[1,0,1]
	s_delay_alu instid0(VALU_DEP_4) | instskip(NEXT) | instid1(VALU_DEP_4)
	v_pk_fma_f16 v2, v147, v10, v2 op_sel:[0,1,0]
	v_pk_fma_f16 v3, v148, v10, v3 op_sel:[0,1,0]
	s_delay_alu instid0(VALU_DEP_4) | instskip(NEXT) | instid1(VALU_DEP_4)
	v_pk_fma_f16 v0, v145, v10, v0 op_sel:[0,1,0]
	v_pk_fma_f16 v1, v146, v10, v1 op_sel:[0,1,0]
	s_delay_alu instid0(VALU_DEP_4) | instskip(NEXT) | instid1(VALU_DEP_4)
	;; [unrolled: 12-line block ×10, first 2 shown]
	v_pk_fma_f16 v2, v215, v19, v2 op_sel_hi:[1,0,1]
	v_pk_fma_f16 v3, v216, v19, v3 op_sel_hi:[1,0,1]
	s_delay_alu instid0(VALU_DEP_4) | instskip(NEXT) | instid1(VALU_DEP_4)
	v_pk_fma_f16 v0, v213, v19, v0 op_sel_hi:[1,0,1]
	v_pk_fma_f16 v1, v214, v19, v1 op_sel_hi:[1,0,1]
	s_delay_alu instid0(VALU_DEP_4) | instskip(NEXT) | instid1(VALU_DEP_4)
	v_pk_fma_f16 v110, v219, v19, v2 op_sel:[0,1,0]
	v_pk_fma_f16 v109, v220, v19, v3 op_sel:[0,1,0]
	s_delay_alu instid0(VALU_DEP_4) | instskip(NEXT) | instid1(VALU_DEP_4)
	v_pk_fma_f16 v88, v217, v19, v0 op_sel:[0,1,0]
	v_pk_fma_f16 v92, v218, v19, v1 op_sel:[0,1,0]
	s_cbranch_scc1 .LBB36_9
; %bb.10:
	v_mov_b32_e32 v0, v70
.LBB36_11:
	v_cmp_lt_i32_e32 vcc_lo, v80, v72
	s_cmp_eq_u64 s[24:25], 0
	s_cselect_b32 s2, -1, 0
	s_cmp_lg_u32 s14, 0
	v_cndmask_b32_e32 v1, v0, v80, vcc_lo
	v_cmp_lt_i32_e32 vcc_lo, v78, v72
	s_cselect_b32 s3, -1, 0
	s_delay_alu instid0(SALU_CYCLE_1) | instskip(SKIP_2) | instid1(VALU_DEP_2)
	s_or_b32 s2, s3, s2
	v_cndmask_b32_e32 v2, v0, v78, vcc_lo
	v_cmp_lt_i32_e32 vcc_lo, v76, v72
	v_lshlrev_b32_e32 v2, 2, v2
	v_lshlrev_b32_e32 v1, 2, v1
	v_cndmask_b32_e32 v3, v0, v76, vcc_lo
	v_cmp_lt_i32_e32 vcc_lo, v75, v72
	ds_bpermute_b32 v1, v1, v91
	v_lshlrev_b32_e32 v3, 2, v3
	s_waitcnt lgkmcnt(0)
	v_add_f32_e32 v1, v91, v1
	ds_bpermute_b32 v2, v2, v1
	s_waitcnt lgkmcnt(0)
	v_add_f32_e32 v1, v1, v2
	ds_bpermute_b32 v2, v3, v1
	v_cndmask_b32_e32 v3, v0, v75, vcc_lo
	v_cmp_lt_i32_e32 vcc_lo, v73, v72
	s_delay_alu instid0(VALU_DEP_2) | instskip(SKIP_2) | instid1(VALU_DEP_1)
	v_dual_cndmask_b32 v0, v0, v73 :: v_dual_lshlrev_b32 v3, 2, v3
	s_and_b32 vcc_lo, exec_lo, s2
	s_waitcnt lgkmcnt(0)
	v_dual_add_f32 v1, v1, v2 :: v_dual_lshlrev_b32 v0, 2, v0
	ds_bpermute_b32 v2, v3, v1
	s_waitcnt lgkmcnt(0)
	v_add_f32_e32 v1, v1, v2
	ds_bpermute_b32 v0, v0, v1
	s_waitcnt lgkmcnt(0)
	v_add_f32_e32 v35, v1, v0
	s_cbranch_vccnz .LBB36_13
; %bb.12:
	v_add_nc_u32_e32 v0, s15, v68
	s_delay_alu instid0(VALU_DEP_1) | instskip(NEXT) | instid1(VALU_DEP_1)
	v_ashrrev_i32_e32 v1, 31, v0
	v_lshlrev_b64 v[0:1], 2, v[0:1]
	s_delay_alu instid0(VALU_DEP_1) | instskip(NEXT) | instid1(VALU_DEP_2)
	v_add_co_u32 v0, vcc_lo, s24, v0
	v_add_co_ci_u32_e32 v1, vcc_lo, s25, v1, vcc_lo
	global_load_b32 v0, v[0:1], off
	s_waitcnt vmcnt(0)
	v_dual_max_f32 v1, v34, v34 :: v_dual_max_f32 v2, v0, v0
	s_delay_alu instid0(VALU_DEP_1) | instskip(NEXT) | instid1(VALU_DEP_1)
	v_max_f32_e32 v1, v1, v2
	v_sub_f32_e32 v0, v0, v1
	s_delay_alu instid0(VALU_DEP_1) | instskip(NEXT) | instid1(VALU_DEP_1)
	v_mul_f32_e32 v4, 0x3fb8aa3b, v0
	v_fma_f32 v7, 0x3fb8aa3b, v0, -v4
	v_sub_f32_e32 v2, v34, v1
	v_rndne_f32_e32 v8, v4
	s_delay_alu instid0(VALU_DEP_3) | instskip(NEXT) | instid1(VALU_DEP_3)
	v_dual_mov_b32 v34, v1 :: v_dual_fmac_f32 v7, 0x32a5705f, v0
	v_mul_f32_e32 v3, 0x3fb8aa3b, v2
	v_cmp_ngt_f32_e32 vcc_lo, 0xc2ce8ed0, v2
	s_delay_alu instid0(VALU_DEP_4) | instskip(NEXT) | instid1(VALU_DEP_3)
	v_sub_f32_e32 v4, v4, v8
	v_fma_f32 v5, 0x3fb8aa3b, v2, -v3
	v_rndne_f32_e32 v6, v3
	s_delay_alu instid0(VALU_DEP_2) | instskip(NEXT) | instid1(VALU_DEP_2)
	v_dual_add_f32 v4, v4, v7 :: v_dual_fmac_f32 v5, 0x32a5705f, v2
	v_sub_f32_e32 v3, v3, v6
	s_delay_alu instid0(VALU_DEP_2) | instskip(NEXT) | instid1(VALU_DEP_1)
	v_exp_f32_e32 v4, v4
	v_add_f32_e32 v3, v3, v5
	v_cvt_i32_f32_e32 v5, v6
	v_cvt_i32_f32_e32 v6, v8
	s_delay_alu instid0(VALU_DEP_3) | instskip(SKIP_3) | instid1(VALU_DEP_1)
	v_exp_f32_e32 v3, v3
	s_waitcnt_depctr 0xfff
	v_ldexp_f32 v4, v4, v6
	v_ldexp_f32 v3, v3, v5
	v_cndmask_b32_e32 v3, 0, v3, vcc_lo
	v_cmp_ngt_f32_e32 vcc_lo, 0xc2ce8ed0, v0
	s_delay_alu instid0(VALU_DEP_4) | instskip(SKIP_1) | instid1(VALU_DEP_4)
	v_cndmask_b32_e32 v4, 0, v4, vcc_lo
	v_cmp_nlt_f32_e32 vcc_lo, 0x42b17218, v2
	v_cndmask_b32_e32 v2, 0x7f800000, v3, vcc_lo
	v_cmp_nlt_f32_e32 vcc_lo, 0x42b17218, v0
	s_delay_alu instid0(VALU_DEP_4) | instskip(NEXT) | instid1(VALU_DEP_1)
	v_cndmask_b32_e32 v0, 0x7f800000, v4, vcc_lo
	v_fmac_f32_e32 v0, v35, v2
	s_delay_alu instid0(VALU_DEP_1) | instskip(SKIP_1) | instid1(VALU_DEP_1)
	v_mov_b32_e32 v35, v0
	v_cvt_f16_f32_e32 v3, v2
	v_pk_mul_f16 v88, v3, v88 op_sel_hi:[0,1]
	v_pk_mul_f16 v92, v3, v92 op_sel_hi:[0,1]
	;; [unrolled: 1-line block ×4, first 2 shown]
.LBB36_13:
	s_mov_b32 s2, exec_lo
	v_cmpx_gt_i32_e64 s10, v33
	s_cbranch_execz .LBB36_16
; %bb.14:
	v_div_scale_f32 v3, null, v35, v35, 1.0
	v_mad_u64_u32 v[0:1], null, s33, s10, v[33:34]
	s_load_b32 s1, s[0:1], 0xd4
	s_delay_alu instid0(VALU_DEP_2) | instskip(SKIP_3) | instid1(VALU_DEP_4)
	v_rcp_f32_e32 v5, v3
	v_div_scale_f32 v4, vcc_lo, 1.0, v35, 1.0
	v_lshrrev_b32_e32 v6, 16, v92
	v_lshrrev_b32_e32 v8, 16, v88
	v_mul_lo_u32 v0, v0, s11
	v_lshrrev_b32_e32 v10, 16, v109
	v_lshrrev_b32_e32 v11, 16, v110
	v_cvt_f32_f16_e32 v6, v6
	v_cvt_f32_f16_e32 v8, v8
	s_delay_alu instid0(TRANS32_DEP_1)
	v_fma_f32 v1, -v3, v5, 1.0
	v_cvt_f32_f16_e32 v7, v92
	v_cvt_f32_f16_e32 v13, v88
	v_add3_u32 v2, s15, v68, v0
	v_cvt_f32_f16_e32 v14, v109
	v_fmac_f32_e32 v5, v1, v5
	v_cvt_f32_f16_e32 v15, v110
	v_cvt_f32_f16_e32 v16, v10
	v_cvt_f32_f16_e32 v17, v11
	s_waitcnt lgkmcnt(0)
	v_mad_u64_u32 v[0:1], null, s1, v2, s[14:15]
	v_dual_mov_b32 v2, 0 :: v_dual_mul_f32 v9, v4, v5
	s_cmp_lg_u32 s1, 1
	v_cmp_eq_u32_e64 s0, 0, v32
	s_cselect_b32 s1, -1, 0
	s_delay_alu instid0(VALU_DEP_2) | instskip(NEXT) | instid1(VALU_DEP_2)
	v_fma_f32 v1, -v3, v9, v4
	s_and_b32 s0, s0, s1
	s_delay_alu instid0(VALU_DEP_1) | instskip(SKIP_1) | instid1(VALU_DEP_2)
	v_fmac_f32_e32 v9, v1, v5
	v_lshl_add_u32 v1, v0, 8, v69
	v_fma_f32 v12, -v3, v9, v4
	s_delay_alu instid0(VALU_DEP_2) | instskip(NEXT) | instid1(VALU_DEP_2)
	v_lshlrev_b64 v[3:4], 2, v[1:2]
	v_div_fmas_f32 v5, v12, v5, v9
	s_delay_alu instid0(VALU_DEP_2) | instskip(NEXT) | instid1(VALU_DEP_3)
	v_add_co_u32 v9, vcc_lo, s28, v3
	v_add_co_ci_u32_e32 v10, vcc_lo, s29, v4, vcc_lo
	s_delay_alu instid0(VALU_DEP_3) | instskip(NEXT) | instid1(VALU_DEP_1)
	v_div_fixup_f32 v5, v5, v35, 1.0
	v_cndmask_b32_e64 v5, v5, 1.0, s1
	s_delay_alu instid0(VALU_DEP_1) | instskip(NEXT) | instid1(VALU_DEP_1)
	v_dual_mul_f32 v4, v5, v6 :: v_dual_add_nc_u32 v1, 0x80, v1
	v_lshlrev_b64 v[1:2], 2, v[1:2]
	v_mul_f32_e32 v3, v5, v7
	v_mul_f32_e32 v7, v5, v14
	;; [unrolled: 1-line block ×3, first 2 shown]
	s_delay_alu instid0(VALU_DEP_4)
	v_add_co_u32 v11, vcc_lo, s28, v1
	v_add_co_ci_u32_e32 v12, vcc_lo, s29, v2, vcc_lo
	v_mul_f32_e32 v2, v5, v8
	v_mul_f32_e32 v1, v5, v13
	;; [unrolled: 1-line block ×4, first 2 shown]
	s_clause 0x1
	global_store_b128 v[9:10], v[1:4], off
	global_store_b128 v[11:12], v[5:8], off
	s_and_b32 exec_lo, exec_lo, s0
	s_cbranch_execz .LBB36_16
; %bb.15:
	v_ashrrev_i32_e32 v1, 31, v0
	s_delay_alu instid0(VALU_DEP_1) | instskip(NEXT) | instid1(VALU_DEP_1)
	v_lshlrev_b64 v[0:1], 3, v[0:1]
	v_add_co_u32 v0, vcc_lo, s30, v0
	s_delay_alu instid0(VALU_DEP_2)
	v_add_co_ci_u32_e32 v1, vcc_lo, s31, v1, vcc_lo
	global_store_b64 v[0:1], v[34:35], off
.LBB36_16:
	s_nop 0
	s_sendmsg sendmsg(MSG_DEALLOC_VGPRS)
	s_endpgm
	.section	.rodata,"a",@progbits
	.p2align	6, 0x0
	.amdhsa_kernel _ZL15flash_attn_tileILi256ELi256ELi2ELi2ELb0EEvPKcS1_S1_S1_S1_PKiPfP15HIP_vector_typeIfLj2EEffffjfiS5_IjLj3EEiiiiiiiiiiiliiliiiiil
		.amdhsa_group_segment_fixed_size 19200
		.amdhsa_private_segment_fixed_size 0
		.amdhsa_kernarg_size 464
		.amdhsa_user_sgpr_count 13
		.amdhsa_user_sgpr_dispatch_ptr 0
		.amdhsa_user_sgpr_queue_ptr 0
		.amdhsa_user_sgpr_kernarg_segment_ptr 1
		.amdhsa_user_sgpr_dispatch_id 0
		.amdhsa_user_sgpr_private_segment_size 0
		.amdhsa_wavefront_size32 1
		.amdhsa_uses_dynamic_stack 0
		.amdhsa_enable_private_segment 0
		.amdhsa_system_sgpr_workgroup_id_x 1
		.amdhsa_system_sgpr_workgroup_id_y 1
		.amdhsa_system_sgpr_workgroup_id_z 1
		.amdhsa_system_sgpr_workgroup_info 0
		.amdhsa_system_vgpr_workitem_id 1
		.amdhsa_next_free_vgpr 226
		.amdhsa_next_free_sgpr 42
		.amdhsa_reserve_vcc 1
		.amdhsa_float_round_mode_32 0
		.amdhsa_float_round_mode_16_64 0
		.amdhsa_float_denorm_mode_32 3
		.amdhsa_float_denorm_mode_16_64 3
		.amdhsa_dx10_clamp 1
		.amdhsa_ieee_mode 1
		.amdhsa_fp16_overflow 0
		.amdhsa_workgroup_processor_mode 1
		.amdhsa_memory_ordered 1
		.amdhsa_forward_progress 0
		.amdhsa_shared_vgpr_count 0
		.amdhsa_exception_fp_ieee_invalid_op 0
		.amdhsa_exception_fp_denorm_src 0
		.amdhsa_exception_fp_ieee_div_zero 0
		.amdhsa_exception_fp_ieee_overflow 0
		.amdhsa_exception_fp_ieee_underflow 0
		.amdhsa_exception_fp_ieee_inexact 0
		.amdhsa_exception_int_div_zero 0
	.end_amdhsa_kernel
	.section	.text._ZL15flash_attn_tileILi256ELi256ELi2ELi2ELb0EEvPKcS1_S1_S1_S1_PKiPfP15HIP_vector_typeIfLj2EEffffjfiS5_IjLj3EEiiiiiiiiiiiliiliiiiil,"axG",@progbits,_ZL15flash_attn_tileILi256ELi256ELi2ELi2ELb0EEvPKcS1_S1_S1_S1_PKiPfP15HIP_vector_typeIfLj2EEffffjfiS5_IjLj3EEiiiiiiiiiiiliiliiiiil,comdat
.Lfunc_end36:
	.size	_ZL15flash_attn_tileILi256ELi256ELi2ELi2ELb0EEvPKcS1_S1_S1_S1_PKiPfP15HIP_vector_typeIfLj2EEffffjfiS5_IjLj3EEiiiiiiiiiiiliiliiiiil, .Lfunc_end36-_ZL15flash_attn_tileILi256ELi256ELi2ELi2ELb0EEvPKcS1_S1_S1_S1_PKiPfP15HIP_vector_typeIfLj2EEffffjfiS5_IjLj3EEiiiiiiiiiiiliiliiiiil
                                        ; -- End function
	.section	.AMDGPU.csdata,"",@progbits
; Kernel info:
; codeLenInByte = 9116
; NumSgprs: 44
; NumVgprs: 226
; ScratchSize: 0
; MemoryBound: 0
; FloatMode: 240
; IeeeMode: 1
; LDSByteSize: 19200 bytes/workgroup (compile time only)
; SGPRBlocks: 5
; VGPRBlocks: 28
; NumSGPRsForWavesPerEU: 44
; NumVGPRsForWavesPerEU: 226
; Occupancy: 6
; WaveLimiterHint : 1
; COMPUTE_PGM_RSRC2:SCRATCH_EN: 0
; COMPUTE_PGM_RSRC2:USER_SGPR: 13
; COMPUTE_PGM_RSRC2:TRAP_HANDLER: 0
; COMPUTE_PGM_RSRC2:TGID_X_EN: 1
; COMPUTE_PGM_RSRC2:TGID_Y_EN: 1
; COMPUTE_PGM_RSRC2:TGID_Z_EN: 1
; COMPUTE_PGM_RSRC2:TIDIG_COMP_CNT: 1
	.section	.text._ZL33flash_attn_stream_k_fixup_uniformILi256ELi2ELi2EEvPfPK15HIP_vector_typeIfLj2EEiiiiiiS1_IjLj3EES5_S5_,"axG",@progbits,_ZL33flash_attn_stream_k_fixup_uniformILi256ELi2ELi2EEvPfPK15HIP_vector_typeIfLj2EEiiiiiiS1_IjLj3EES5_S5_,comdat
	.globl	_ZL33flash_attn_stream_k_fixup_uniformILi256ELi2ELi2EEvPfPK15HIP_vector_typeIfLj2EEiiiiiiS1_IjLj3EES5_S5_ ; -- Begin function _ZL33flash_attn_stream_k_fixup_uniformILi256ELi2ELi2EEvPfPK15HIP_vector_typeIfLj2EEiiiiiiS1_IjLj3EES5_S5_
	.p2align	8
	.type	_ZL33flash_attn_stream_k_fixup_uniformILi256ELi2ELi2EEvPfPK15HIP_vector_typeIfLj2EEiiiiiiS1_IjLj3EES5_S5_,@function
_ZL33flash_attn_stream_k_fixup_uniformILi256ELi2ELi2EEvPfPK15HIP_vector_typeIfLj2EEiiiiiiS1_IjLj3EES5_S5_: ; @_ZL33flash_attn_stream_k_fixup_uniformILi256ELi2ELi2EEvPfPK15HIP_vector_typeIfLj2EEiiiiiiS1_IjLj3EES5_S5_
; %bb.0:
	s_clause 0x1
	s_load_b256 s[4:11], s[0:1], 0x1c
	s_load_b128 s[16:19], s[0:1], 0x3c
	s_waitcnt lgkmcnt(0)
	s_mul_hi_u32 s2, s7, s13
	s_delay_alu instid0(SALU_CYCLE_1) | instskip(NEXT) | instid1(SALU_CYCLE_1)
	s_add_i32 s2, s13, s2
	s_lshr_b32 s2, s2, s8
	s_delay_alu instid0(SALU_CYCLE_1) | instskip(SKIP_2) | instid1(SALU_CYCLE_1)
	s_mul_i32 s3, s2, s9
	s_load_b64 s[8:9], s[0:1], 0x10
	s_sub_i32 s7, s13, s3
	s_mul_hi_u32 s3, s7, s10
	s_delay_alu instid0(SALU_CYCLE_1) | instskip(NEXT) | instid1(SALU_CYCLE_1)
	s_add_i32 s3, s7, s3
	s_lshr_b32 s3, s3, s11
	s_delay_alu instid0(SALU_CYCLE_1) | instskip(NEXT) | instid1(SALU_CYCLE_1)
	s_mul_i32 s10, s3, s16
	s_sub_i32 s7, s7, s10
	s_delay_alu instid0(SALU_CYCLE_1) | instskip(NEXT) | instid1(SALU_CYCLE_1)
	s_mul_hi_u32 s10, s7, s17
	s_add_i32 s10, s7, s10
	s_delay_alu instid0(SALU_CYCLE_1) | instskip(NEXT) | instid1(SALU_CYCLE_1)
	s_lshr_b32 s10, s10, s18
	s_mul_i32 s11, s10, s19
	s_lshl_b32 s10, s10, 1
	s_sub_i32 s7, s7, s11
	s_delay_alu instid0(SALU_CYCLE_1) | instskip(NEXT) | instid1(SALU_CYCLE_1)
	s_lshl_b32 s11, s7, 1
	s_add_i32 s11, s11, s14
	s_waitcnt lgkmcnt(0)
	s_cmp_lt_i32 s11, s8
	s_cselect_b32 s11, -1, 0
	s_add_i32 s12, s10, s15
	s_delay_alu instid0(SALU_CYCLE_1) | instskip(SKIP_1) | instid1(SALU_CYCLE_1)
	s_cmp_lt_i32 s12, s5
	s_cselect_b32 s12, -1, 0
	s_and_b32 s11, s11, s12
	s_delay_alu instid0(SALU_CYCLE_1)
	s_and_not1_b32 vcc_lo, exec_lo, s11
	s_cbranch_vccnz .LBB37_6
; %bb.1:
	s_mul_i32 s2, s2, s8
	s_mul_i32 s5, s3, s5
	s_add_i32 s2, s2, s14
	s_mul_i32 s7, s9, s7
	s_mul_i32 s2, s2, s9
	s_lshl_b32 s7, s7, 9
	s_add_i32 s8, s2, s15
	s_load_b128 s[0:3], s[0:1], 0x0
	s_add_i32 s5, s8, s5
	s_lshl_b32 s9, s14, 1
	s_add_i32 s5, s5, s10
	s_delay_alu instid0(SALU_CYCLE_1) | instskip(NEXT) | instid1(SALU_CYCLE_1)
	s_lshl_b32 s5, s5, 8
	s_add_i32 s7, s7, s5
	s_mul_i32 s5, s13, s6
	v_or_b32_e32 v1, s7, v0
	s_add_i32 s10, s5, s6
	s_delay_alu instid0(VALU_DEP_1) | instskip(NEXT) | instid1(VALU_DEP_1)
	v_ashrrev_i32_e32 v2, 31, v1
	v_lshlrev_b64 v[1:2], 2, v[1:2]
	s_waitcnt lgkmcnt(0)
	s_delay_alu instid0(VALU_DEP_1) | instskip(NEXT) | instid1(VALU_DEP_2)
	v_add_co_u32 v1, vcc_lo, s0, v1
	v_add_co_ci_u32_e32 v2, vcc_lo, s1, v2, vcc_lo
	s_add_i32 s0, s9, s15
	s_lshl_b32 s1, s10, 2
	s_delay_alu instid0(SALU_CYCLE_1) | instskip(SKIP_2) | instid1(SALU_CYCLE_1)
	s_add_i32 s0, s0, s1
	global_load_b32 v5, v[1:2], off
	s_add_i32 s0, s0, -4
	s_ashr_i32 s1, s0, 31
	s_delay_alu instid0(SALU_CYCLE_1) | instskip(NEXT) | instid1(SALU_CYCLE_1)
	s_lshl_b64 s[0:1], s[0:1], 3
	s_add_u32 s0, s2, s0
	s_addc_u32 s1, s3, s1
	s_add_i32 s7, s10, -2
	s_load_b32 s11, s[0:1], 0x4
	s_cmp_lt_i32 s7, s5
	s_cbranch_scc1 .LBB37_4
; %bb.2:
	s_lshl_b32 s16, s4, 4
	s_load_b32 s12, s[0:1], 0x0
	s_ashr_i32 s17, s16, 31
	s_delay_alu instid0(SALU_CYCLE_1) | instskip(NEXT) | instid1(SALU_CYCLE_1)
	s_lshl_b64 s[0:1], s[16:17], 2
	s_add_u32 s7, s2, s0
	s_addc_u32 s8, s3, s1
	s_add_i32 s13, s13, 1
	s_lshl_b32 s0, s14, 9
	s_lshl_b32 s1, s15, 8
	s_mul_i32 s6, s6, s13
	s_add_i32 s0, s1, s0
	s_lshl_b32 s1, s6, 10
	s_delay_alu instid0(SALU_CYCLE_1)
	s_add_i32 s0, s0, s1
	s_lshl_b32 s1, s6, 2
	v_or_b32_e32 v0, s0, v0
	s_lshl_b32 s0, s4, 2
	s_add_i32 s1, s15, s1
	s_waitcnt lgkmcnt(0)
	v_mov_b32_e32 v6, s11
	s_add_i32 s0, s1, s0
	v_dual_mov_b32 v0, s12 :: v_dual_add_nc_u32 v3, 0xfffff800, v0
	s_add_i32 s0, s0, s9
	s_add_i32 s4, s10, -1
	s_add_i32 s0, s0, -8
.LBB37_3:                               ; =>This Inner Loop Header: Depth=1
	s_delay_alu instid0(VALU_DEP_1) | instskip(SKIP_1) | instid1(SALU_CYCLE_1)
	v_ashrrev_i32_e32 v4, 31, v3
	s_ashr_i32 s1, s0, 31
	s_lshl_b64 s[10:11], s[0:1], 3
	s_delay_alu instid0(SALU_CYCLE_1) | instskip(NEXT) | instid1(VALU_DEP_1)
	s_add_u32 s10, s2, s10
	v_lshlrev_b64 v[7:8], 2, v[3:4]
	s_addc_u32 s11, s3, s11
	s_add_i32 s4, s4, -1
	s_add_i32 s0, s0, -4
	s_cmp_le_i32 s4, s5
	s_load_b64 s[10:11], s[10:11], 0x0
	v_add_co_u32 v7, vcc_lo, s7, v7
	v_add_co_ci_u32_e32 v8, vcc_lo, s8, v8, vcc_lo
	global_load_b32 v4, v[7:8], off
	v_max_f32_e32 v7, v0, v0
	s_waitcnt lgkmcnt(0)
	v_max_f32_e64 v8, s10, s10
	s_delay_alu instid0(VALU_DEP_1) | instskip(NEXT) | instid1(VALU_DEP_1)
	v_max_f32_e32 v7, v7, v8
	v_sub_f32_e32 v8, s10, v7
	s_delay_alu instid0(VALU_DEP_1) | instskip(NEXT) | instid1(VALU_DEP_1)
	v_dual_sub_f32 v0, v0, v7 :: v_dual_mul_f32 v9, 0x3fb8aa3b, v8
	v_fma_f32 v10, 0x3fb8aa3b, v8, -v9
	v_rndne_f32_e32 v11, v9
	s_delay_alu instid0(VALU_DEP_3) | instskip(NEXT) | instid1(VALU_DEP_2)
	v_mul_f32_e32 v12, 0x3fb8aa3b, v0
	v_dual_fmac_f32 v10, 0x32a5705f, v8 :: v_dual_sub_f32 v9, v9, v11
	v_cvt_i32_f32_e32 v11, v11
	s_delay_alu instid0(VALU_DEP_3) | instskip(SKIP_1) | instid1(VALU_DEP_4)
	v_fma_f32 v13, 0x3fb8aa3b, v0, -v12
	v_rndne_f32_e32 v14, v12
	v_add_f32_e32 v9, v9, v10
	v_cmp_ngt_f32_e32 vcc_lo, 0xc2ce8ed0, v8
	s_delay_alu instid0(VALU_DEP_3) | instskip(NEXT) | instid1(VALU_DEP_3)
	v_sub_f32_e32 v10, v12, v14
	v_exp_f32_e32 v9, v9
	s_waitcnt_depctr 0xfff
	v_ldexp_f32 v9, v9, v11
	v_cvt_i32_f32_e32 v11, v14
	s_delay_alu instid0(VALU_DEP_2) | instskip(SKIP_1) | instid1(VALU_DEP_2)
	v_cndmask_b32_e32 v9, 0, v9, vcc_lo
	v_cmp_nlt_f32_e32 vcc_lo, 0x42b17218, v8
	v_cndmask_b32_e32 v9, 0x7f800000, v9, vcc_lo
	v_cmp_ngt_f32_e32 vcc_lo, 0xc2ce8ed0, v0
	v_fmac_f32_e32 v13, 0x32a5705f, v0
	s_delay_alu instid0(VALU_DEP_1) | instskip(NEXT) | instid1(VALU_DEP_1)
	v_add_f32_e32 v10, v10, v13
	v_exp_f32_e32 v10, v10
	s_waitcnt_depctr 0xfff
	v_ldexp_f32 v10, v10, v11
	s_delay_alu instid0(VALU_DEP_1)
	v_dual_mov_b32 v11, v6 :: v_dual_cndmask_b32 v10, 0, v10
	v_cmp_le_f32_e32 vcc_lo, 0xc1a00000, v8
	s_waitcnt vmcnt(1)
	v_dual_cndmask_b32 v8, 0, v9 :: v_dual_mov_b32 v9, v5
	v_cmp_nlt_f32_e32 vcc_lo, 0x42b17218, v0
	v_cndmask_b32_e32 v5, 0x7f800000, v10, vcc_lo
	s_delay_alu instid0(VALU_DEP_3) | instskip(SKIP_2) | instid1(VALU_DEP_3)
	v_mul_f32_e32 v10, s11, v8
	v_cmp_le_f32_e32 vcc_lo, 0xc1a00000, v0
	v_mov_b32_e32 v0, v7
	v_mov_b32_e32 v6, v10
	s_waitcnt vmcnt(0)
	v_dual_cndmask_b32 v12, 0, v5 :: v_dual_mul_f32 v5, v4, v8
	s_delay_alu instid0(VALU_DEP_1) | instskip(NEXT) | instid1(VALU_DEP_2)
	v_dual_fmac_f32 v6, v11, v12 :: v_dual_add_nc_u32 v3, 0xfffffc00, v3
	v_fmac_f32_e32 v5, v9, v12
	s_cbranch_scc0 .LBB37_3
	s_branch .LBB37_5
.LBB37_4:
	s_waitcnt lgkmcnt(0)
	v_mov_b32_e32 v6, s11
.LBB37_5:
	s_waitcnt vmcnt(0)
	s_delay_alu instid0(VALU_DEP_1) | instskip(NEXT) | instid1(VALU_DEP_1)
	v_div_scale_f32 v0, null, v6, v6, v5
	v_rcp_f32_e32 v3, v0
	s_waitcnt_depctr 0xfff
	v_fma_f32 v4, -v0, v3, 1.0
	s_delay_alu instid0(VALU_DEP_1) | instskip(SKIP_1) | instid1(VALU_DEP_1)
	v_fmac_f32_e32 v3, v4, v3
	v_div_scale_f32 v4, vcc_lo, v5, v6, v5
	v_mul_f32_e32 v7, v4, v3
	s_delay_alu instid0(VALU_DEP_1) | instskip(NEXT) | instid1(VALU_DEP_1)
	v_fma_f32 v8, -v0, v7, v4
	v_fmac_f32_e32 v7, v8, v3
	s_delay_alu instid0(VALU_DEP_1) | instskip(NEXT) | instid1(VALU_DEP_1)
	v_fma_f32 v0, -v0, v7, v4
	v_div_fmas_f32 v0, v0, v3, v7
	s_delay_alu instid0(VALU_DEP_1)
	v_div_fixup_f32 v0, v0, v6, v5
	global_store_b32 v[1:2], v0, off
.LBB37_6:
	s_nop 0
	s_sendmsg sendmsg(MSG_DEALLOC_VGPRS)
	s_endpgm
	.section	.rodata,"a",@progbits
	.p2align	6, 0x0
	.amdhsa_kernel _ZL33flash_attn_stream_k_fixup_uniformILi256ELi2ELi2EEvPfPK15HIP_vector_typeIfLj2EEiiiiiiS1_IjLj3EES5_S5_
		.amdhsa_group_segment_fixed_size 0
		.amdhsa_private_segment_fixed_size 0
		.amdhsa_kernarg_size 76
		.amdhsa_user_sgpr_count 13
		.amdhsa_user_sgpr_dispatch_ptr 0
		.amdhsa_user_sgpr_queue_ptr 0
		.amdhsa_user_sgpr_kernarg_segment_ptr 1
		.amdhsa_user_sgpr_dispatch_id 0
		.amdhsa_user_sgpr_private_segment_size 0
		.amdhsa_wavefront_size32 1
		.amdhsa_uses_dynamic_stack 0
		.amdhsa_enable_private_segment 0
		.amdhsa_system_sgpr_workgroup_id_x 1
		.amdhsa_system_sgpr_workgroup_id_y 1
		.amdhsa_system_sgpr_workgroup_id_z 1
		.amdhsa_system_sgpr_workgroup_info 0
		.amdhsa_system_vgpr_workitem_id 0
		.amdhsa_next_free_vgpr 15
		.amdhsa_next_free_sgpr 20
		.amdhsa_reserve_vcc 1
		.amdhsa_float_round_mode_32 0
		.amdhsa_float_round_mode_16_64 0
		.amdhsa_float_denorm_mode_32 3
		.amdhsa_float_denorm_mode_16_64 3
		.amdhsa_dx10_clamp 1
		.amdhsa_ieee_mode 1
		.amdhsa_fp16_overflow 0
		.amdhsa_workgroup_processor_mode 1
		.amdhsa_memory_ordered 1
		.amdhsa_forward_progress 0
		.amdhsa_shared_vgpr_count 0
		.amdhsa_exception_fp_ieee_invalid_op 0
		.amdhsa_exception_fp_denorm_src 0
		.amdhsa_exception_fp_ieee_div_zero 0
		.amdhsa_exception_fp_ieee_overflow 0
		.amdhsa_exception_fp_ieee_underflow 0
		.amdhsa_exception_fp_ieee_inexact 0
		.amdhsa_exception_int_div_zero 0
	.end_amdhsa_kernel
	.section	.text._ZL33flash_attn_stream_k_fixup_uniformILi256ELi2ELi2EEvPfPK15HIP_vector_typeIfLj2EEiiiiiiS1_IjLj3EES5_S5_,"axG",@progbits,_ZL33flash_attn_stream_k_fixup_uniformILi256ELi2ELi2EEvPfPK15HIP_vector_typeIfLj2EEiiiiiiS1_IjLj3EES5_S5_,comdat
.Lfunc_end37:
	.size	_ZL33flash_attn_stream_k_fixup_uniformILi256ELi2ELi2EEvPfPK15HIP_vector_typeIfLj2EEiiiiiiS1_IjLj3EES5_S5_, .Lfunc_end37-_ZL33flash_attn_stream_k_fixup_uniformILi256ELi2ELi2EEvPfPK15HIP_vector_typeIfLj2EEiiiiiiS1_IjLj3EES5_S5_
                                        ; -- End function
	.section	.AMDGPU.csdata,"",@progbits
; Kernel info:
; codeLenInByte = 996
; NumSgprs: 22
; NumVgprs: 15
; ScratchSize: 0
; MemoryBound: 0
; FloatMode: 240
; IeeeMode: 1
; LDSByteSize: 0 bytes/workgroup (compile time only)
; SGPRBlocks: 2
; VGPRBlocks: 1
; NumSGPRsForWavesPerEU: 22
; NumVGPRsForWavesPerEU: 15
; Occupancy: 16
; WaveLimiterHint : 0
; COMPUTE_PGM_RSRC2:SCRATCH_EN: 0
; COMPUTE_PGM_RSRC2:USER_SGPR: 13
; COMPUTE_PGM_RSRC2:TRAP_HANDLER: 0
; COMPUTE_PGM_RSRC2:TGID_X_EN: 1
; COMPUTE_PGM_RSRC2:TGID_Y_EN: 1
; COMPUTE_PGM_RSRC2:TGID_Z_EN: 1
; COMPUTE_PGM_RSRC2:TIDIG_COMP_CNT: 0
	.section	.text._ZL33flash_attn_stream_k_fixup_generalILi256ELi2ELi2EEvPfPK15HIP_vector_typeIfLj2EEiiiiS1_IjLj3EES5_S5_S5_,"axG",@progbits,_ZL33flash_attn_stream_k_fixup_generalILi256ELi2ELi2EEvPfPK15HIP_vector_typeIfLj2EEiiiiS1_IjLj3EES5_S5_S5_,comdat
	.globl	_ZL33flash_attn_stream_k_fixup_generalILi256ELi2ELi2EEvPfPK15HIP_vector_typeIfLj2EEiiiiS1_IjLj3EES5_S5_S5_ ; -- Begin function _ZL33flash_attn_stream_k_fixup_generalILi256ELi2ELi2EEvPfPK15HIP_vector_typeIfLj2EEiiiiS1_IjLj3EES5_S5_S5_
	.p2align	8
	.type	_ZL33flash_attn_stream_k_fixup_generalILi256ELi2ELi2EEvPfPK15HIP_vector_typeIfLj2EEiiiiS1_IjLj3EES5_S5_S5_,@function
_ZL33flash_attn_stream_k_fixup_generalILi256ELi2ELi2EEvPfPK15HIP_vector_typeIfLj2EEiiiiS1_IjLj3EES5_S5_S5_: ; @_ZL33flash_attn_stream_k_fixup_generalILi256ELi2ELi2EEvPfPK15HIP_vector_typeIfLj2EEiiiiS1_IjLj3EES5_S5_S5_
; %bb.0:
	s_clause 0x1
	s_load_b128 s[4:7], s[0:1], 0x10
	s_load_b32 s20, s[0:1], 0x50
	s_mov_b32 s2, 0
	s_waitcnt lgkmcnt(0)
	s_mul_hi_i32 s3, s7, s13
	s_mul_i32 s12, s7, s13
	s_cmp_lg_u64 s[2:3], 0
	s_cbranch_scc0 .LBB38_21
; %bb.1:
	v_cvt_f32_ubyte0_e32 v1, 0
	v_cvt_f32_u32_e32 v2, s20
	s_sub_u32 s10, 0, s20
	s_subb_u32 s11, 0, 0
	s_delay_alu instid0(VALU_DEP_1) | instskip(NEXT) | instid1(VALU_DEP_1)
	v_fmamk_f32 v1, v1, 0x4f800000, v2
	v_rcp_f32_e32 v1, v1
	s_waitcnt_depctr 0xfff
	v_mul_f32_e32 v1, 0x5f7ffffc, v1
	s_delay_alu instid0(VALU_DEP_1) | instskip(NEXT) | instid1(VALU_DEP_1)
	v_mul_f32_e32 v2, 0x2f800000, v1
	v_trunc_f32_e32 v2, v2
	s_delay_alu instid0(VALU_DEP_1) | instskip(SKIP_1) | instid1(VALU_DEP_2)
	v_fmamk_f32 v1, v2, 0xcf800000, v1
	v_cvt_u32_f32_e32 v2, v2
	v_cvt_u32_f32_e32 v1, v1
	s_delay_alu instid0(VALU_DEP_2) | instskip(NEXT) | instid1(VALU_DEP_2)
	v_readfirstlane_b32 s8, v2
	v_readfirstlane_b32 s9, v1
	s_delay_alu instid0(VALU_DEP_2) | instskip(NEXT) | instid1(VALU_DEP_1)
	s_mul_i32 s16, s10, s8
	s_mul_hi_u32 s18, s10, s9
	s_mul_i32 s17, s11, s9
	s_add_i32 s16, s18, s16
	s_mul_i32 s19, s10, s9
	s_add_i32 s16, s16, s17
	s_mul_hi_u32 s18, s9, s19
	s_mul_hi_u32 s21, s8, s19
	s_mul_i32 s17, s8, s19
	s_mul_hi_u32 s19, s9, s16
	s_mul_i32 s9, s9, s16
	s_mul_hi_u32 s22, s8, s16
	s_add_u32 s9, s18, s9
	s_addc_u32 s18, 0, s19
	s_add_u32 s9, s9, s17
	s_mul_i32 s16, s8, s16
	s_addc_u32 s9, s18, s21
	s_addc_u32 s17, s22, 0
	s_add_u32 s9, s9, s16
	s_addc_u32 s16, 0, s17
	v_add_co_u32 v1, s9, v1, s9
	s_delay_alu instid0(VALU_DEP_1) | instskip(SKIP_1) | instid1(VALU_DEP_1)
	s_cmp_lg_u32 s9, 0
	s_addc_u32 s8, s8, s16
	v_readfirstlane_b32 s9, v1
	s_mul_i32 s16, s10, s8
	s_delay_alu instid0(VALU_DEP_1)
	s_mul_hi_u32 s17, s10, s9
	s_mul_i32 s11, s11, s9
	s_add_i32 s16, s17, s16
	s_mul_i32 s10, s10, s9
	s_add_i32 s16, s16, s11
	s_mul_hi_u32 s17, s8, s10
	s_mul_i32 s18, s8, s10
	s_mul_hi_u32 s10, s9, s10
	s_mul_hi_u32 s19, s9, s16
	s_mul_i32 s9, s9, s16
	s_mul_hi_u32 s11, s8, s16
	s_add_u32 s9, s10, s9
	s_addc_u32 s10, 0, s19
	s_add_u32 s9, s9, s18
	s_mul_i32 s16, s8, s16
	s_addc_u32 s9, s10, s17
	s_addc_u32 s10, s11, 0
	s_add_u32 s9, s9, s16
	s_addc_u32 s10, 0, s10
	v_add_co_u32 v1, s9, v1, s9
	s_delay_alu instid0(VALU_DEP_1) | instskip(SKIP_2) | instid1(SALU_CYCLE_1)
	s_cmp_lg_u32 s9, 0
	s_addc_u32 s16, s8, s10
	s_ashr_i32 s8, s3, 31
	s_add_u32 s10, s12, s8
	s_addc_u32 s11, s3, s8
	v_readfirstlane_b32 s3, v1
	s_mov_b32 s9, s8
	s_delay_alu instid0(SALU_CYCLE_1) | instskip(NEXT) | instid1(SALU_CYCLE_1)
	s_xor_b64 s[10:11], s[10:11], s[8:9]
	s_mul_i32 s18, s10, s16
	s_delay_alu instid0(VALU_DEP_1)
	s_mul_hi_u32 s19, s10, s3
	s_mul_hi_u32 s17, s10, s16
	;; [unrolled: 1-line block ×3, first 2 shown]
	s_mul_i32 s3, s11, s3
	s_add_u32 s18, s19, s18
	s_addc_u32 s17, 0, s17
	s_mul_hi_u32 s21, s11, s16
	s_add_u32 s3, s18, s3
	s_mul_i32 s16, s11, s16
	s_addc_u32 s3, s17, s22
	s_addc_u32 s17, s21, 0
	s_add_u32 s3, s3, s16
	s_addc_u32 s16, 0, s17
	s_mul_i32 s18, s20, s3
	s_add_u32 s17, s3, 1
	v_sub_co_u32 v1, s10, s10, s18
	s_mul_hi_u32 s18, s20, s3
	s_addc_u32 s19, s16, 0
	s_mul_i32 s21, s20, s16
	s_delay_alu instid0(VALU_DEP_1)
	v_sub_co_u32 v2, s22, v1, s20
	s_add_u32 s23, s3, 2
	s_addc_u32 s24, s16, 0
	s_add_i32 s18, s18, s21
	s_cmp_lg_u32 s10, 0
	v_readfirstlane_b32 s10, v2
	s_subb_u32 s11, s11, s18
	s_cmp_lg_u32 s22, 0
	s_subb_u32 s18, s11, 0
	s_delay_alu instid0(VALU_DEP_1) | instskip(SKIP_4) | instid1(SALU_CYCLE_1)
	s_cmp_ge_u32 s10, s20
	s_cselect_b32 s10, -1, 0
	s_cmp_eq_u32 s18, 0
	v_readfirstlane_b32 s18, v1
	s_cselect_b32 s10, s10, -1
	s_cmp_lg_u32 s10, 0
	s_cselect_b32 s10, s23, s17
	s_cselect_b32 s17, s24, s19
	s_cmp_ge_u32 s18, s20
	s_cselect_b32 s18, -1, 0
	s_cmp_eq_u32 s11, 0
	s_cselect_b32 s11, s18, -1
	s_delay_alu instid0(SALU_CYCLE_1) | instskip(SKIP_2) | instid1(SALU_CYCLE_1)
	s_cmp_lg_u32 s11, 0
	s_cselect_b32 s11, s17, s16
	s_cselect_b32 s10, s10, s3
	s_xor_b64 s[10:11], s[10:11], s[8:9]
	s_delay_alu instid0(SALU_CYCLE_1)
	s_sub_u32 s16, s10, s8
	s_load_b128 s[8:11], s[0:1], 0x44
	s_and_not1_b32 vcc_lo, exec_lo, s2
	s_cbranch_vccnz .LBB38_3
.LBB38_2:
	v_cvt_f32_u32_e32 v1, s20
	s_sub_i32 s3, 0, s20
	s_delay_alu instid0(VALU_DEP_1) | instskip(SKIP_2) | instid1(VALU_DEP_1)
	v_rcp_iflag_f32_e32 v1, v1
	s_waitcnt_depctr 0xfff
	v_mul_f32_e32 v1, 0x4f7ffffe, v1
	v_cvt_u32_f32_e32 v1, v1
	s_delay_alu instid0(VALU_DEP_1) | instskip(NEXT) | instid1(VALU_DEP_1)
	v_readfirstlane_b32 s2, v1
	s_mul_i32 s3, s3, s2
	s_delay_alu instid0(SALU_CYCLE_1) | instskip(NEXT) | instid1(SALU_CYCLE_1)
	s_mul_hi_u32 s3, s2, s3
	s_add_i32 s2, s2, s3
	s_delay_alu instid0(SALU_CYCLE_1) | instskip(NEXT) | instid1(SALU_CYCLE_1)
	s_mul_hi_u32 s2, s12, s2
	s_mul_i32 s3, s2, s20
	s_waitcnt lgkmcnt(0)
	s_add_i32 s11, s2, 1
	s_sub_i32 s3, s12, s3
	s_delay_alu instid0(SALU_CYCLE_1)
	s_sub_i32 s12, s3, s20
	s_cmp_ge_u32 s3, s20
	s_cselect_b32 s2, s11, s2
	s_cselect_b32 s3, s12, s3
	s_add_i32 s11, s2, 1
	s_cmp_ge_u32 s3, s20
	s_cselect_b32 s16, s11, s2
.LBB38_3:
	s_waitcnt lgkmcnt(0)
	s_add_i32 s11, s13, 1
	s_mov_b32 s2, 0
	s_mul_hi_i32 s3, s7, s11
	s_mul_i32 s11, s7, s11
	s_cmp_lg_u64 s[2:3], 0
	s_cbranch_scc0 .LBB38_22
; %bb.4:
	v_cvt_f32_ubyte0_e32 v1, 0
	v_cvt_f32_u32_e32 v2, s20
	s_sub_u32 s18, 0, s20
	s_subb_u32 s19, 0, 0
	s_delay_alu instid0(VALU_DEP_1) | instskip(NEXT) | instid1(VALU_DEP_1)
	v_fmamk_f32 v1, v1, 0x4f800000, v2
	v_rcp_f32_e32 v1, v1
	s_waitcnt_depctr 0xfff
	v_mul_f32_e32 v1, 0x5f7ffffc, v1
	s_delay_alu instid0(VALU_DEP_1) | instskip(NEXT) | instid1(VALU_DEP_1)
	v_mul_f32_e32 v2, 0x2f800000, v1
	v_trunc_f32_e32 v2, v2
	s_delay_alu instid0(VALU_DEP_1) | instskip(SKIP_1) | instid1(VALU_DEP_2)
	v_fmamk_f32 v1, v2, 0xcf800000, v1
	v_cvt_u32_f32_e32 v2, v2
	v_cvt_u32_f32_e32 v1, v1
	s_delay_alu instid0(VALU_DEP_2) | instskip(NEXT) | instid1(VALU_DEP_2)
	v_readfirstlane_b32 s12, v2
	v_readfirstlane_b32 s17, v1
	s_delay_alu instid0(VALU_DEP_2) | instskip(NEXT) | instid1(VALU_DEP_1)
	s_mul_i32 s21, s18, s12
	s_mul_hi_u32 s23, s18, s17
	s_mul_i32 s22, s19, s17
	s_add_i32 s21, s23, s21
	s_mul_i32 s24, s18, s17
	s_add_i32 s21, s21, s22
	s_mul_hi_u32 s23, s17, s24
	s_mul_hi_u32 s25, s12, s24
	s_mul_i32 s22, s12, s24
	s_mul_hi_u32 s24, s17, s21
	s_mul_i32 s17, s17, s21
	s_mul_hi_u32 s26, s12, s21
	s_add_u32 s17, s23, s17
	s_addc_u32 s23, 0, s24
	s_add_u32 s17, s17, s22
	s_mul_i32 s21, s12, s21
	s_addc_u32 s17, s23, s25
	s_addc_u32 s22, s26, 0
	s_add_u32 s17, s17, s21
	s_addc_u32 s21, 0, s22
	v_add_co_u32 v1, s17, v1, s17
	s_delay_alu instid0(VALU_DEP_1) | instskip(SKIP_1) | instid1(VALU_DEP_1)
	s_cmp_lg_u32 s17, 0
	s_addc_u32 s12, s12, s21
	v_readfirstlane_b32 s17, v1
	s_mul_i32 s21, s18, s12
	s_delay_alu instid0(VALU_DEP_1)
	s_mul_hi_u32 s22, s18, s17
	s_mul_i32 s19, s19, s17
	s_add_i32 s21, s22, s21
	s_mul_i32 s18, s18, s17
	s_add_i32 s21, s21, s19
	s_mul_hi_u32 s22, s12, s18
	s_mul_i32 s23, s12, s18
	s_mul_hi_u32 s18, s17, s18
	s_mul_hi_u32 s24, s17, s21
	s_mul_i32 s17, s17, s21
	s_mul_hi_u32 s19, s12, s21
	s_add_u32 s17, s18, s17
	s_addc_u32 s18, 0, s24
	s_add_u32 s17, s17, s23
	s_mul_i32 s21, s12, s21
	s_addc_u32 s17, s18, s22
	s_addc_u32 s18, s19, 0
	s_add_u32 s17, s17, s21
	s_addc_u32 s18, 0, s18
	v_add_co_u32 v1, s17, v1, s17
	s_delay_alu instid0(VALU_DEP_1) | instskip(SKIP_2) | instid1(SALU_CYCLE_1)
	s_cmp_lg_u32 s17, 0
	s_addc_u32 s12, s12, s18
	s_ashr_i32 s18, s3, 31
	s_add_u32 s22, s11, s18
	s_addc_u32 s23, s3, s18
	v_readfirstlane_b32 s3, v1
	s_mov_b32 s19, s18
	s_delay_alu instid0(SALU_CYCLE_1) | instskip(NEXT) | instid1(SALU_CYCLE_1)
	s_xor_b64 s[22:23], s[22:23], s[18:19]
	s_mul_i32 s21, s22, s12
	s_delay_alu instid0(VALU_DEP_1)
	s_mul_hi_u32 s24, s22, s3
	s_mul_hi_u32 s17, s22, s12
	;; [unrolled: 1-line block ×3, first 2 shown]
	s_mul_i32 s3, s23, s3
	s_add_u32 s21, s24, s21
	s_addc_u32 s17, 0, s17
	s_mul_hi_u32 s25, s23, s12
	s_add_u32 s3, s21, s3
	s_mul_i32 s12, s23, s12
	s_addc_u32 s3, s17, s26
	s_addc_u32 s17, s25, 0
	s_add_u32 s3, s3, s12
	s_addc_u32 s12, 0, s17
	s_mul_i32 s21, s20, s3
	s_add_u32 s17, s3, 1
	v_sub_co_u32 v1, s21, s22, s21
	s_mul_hi_u32 s22, s20, s3
	s_addc_u32 s24, s12, 0
	s_mul_i32 s25, s20, s12
	s_delay_alu instid0(VALU_DEP_1)
	v_sub_co_u32 v2, s26, v1, s20
	s_add_u32 s27, s3, 2
	s_addc_u32 s28, s12, 0
	s_add_i32 s22, s22, s25
	s_cmp_lg_u32 s21, 0
	v_readfirstlane_b32 s21, v2
	s_subb_u32 s22, s23, s22
	s_cmp_lg_u32 s26, 0
	s_subb_u32 s23, s22, 0
	s_delay_alu instid0(VALU_DEP_1) | instskip(SKIP_4) | instid1(SALU_CYCLE_1)
	s_cmp_ge_u32 s21, s20
	s_cselect_b32 s21, -1, 0
	s_cmp_eq_u32 s23, 0
	v_readfirstlane_b32 s23, v1
	s_cselect_b32 s21, s21, -1
	s_cmp_lg_u32 s21, 0
	s_cselect_b32 s17, s27, s17
	s_cselect_b32 s21, s28, s24
	s_cmp_ge_u32 s23, s20
	s_cselect_b32 s23, -1, 0
	s_cmp_eq_u32 s22, 0
	s_cselect_b32 s22, s23, -1
	s_delay_alu instid0(SALU_CYCLE_1) | instskip(SKIP_2) | instid1(SALU_CYCLE_1)
	s_cmp_lg_u32 s22, 0
	s_cselect_b32 s23, s21, s12
	s_cselect_b32 s22, s17, s3
	s_xor_b64 s[22:23], s[22:23], s[18:19]
	s_delay_alu instid0(SALU_CYCLE_1)
	s_sub_u32 s18, s22, s18
	s_and_not1_b32 vcc_lo, exec_lo, s2
	s_cbranch_vccnz .LBB38_6
.LBB38_5:
	v_cvt_f32_u32_e32 v1, s20
	s_sub_i32 s3, 0, s20
	s_delay_alu instid0(VALU_DEP_1) | instskip(SKIP_2) | instid1(VALU_DEP_1)
	v_rcp_iflag_f32_e32 v1, v1
	s_waitcnt_depctr 0xfff
	v_mul_f32_e32 v1, 0x4f7ffffe, v1
	v_cvt_u32_f32_e32 v1, v1
	s_delay_alu instid0(VALU_DEP_1) | instskip(NEXT) | instid1(VALU_DEP_1)
	v_readfirstlane_b32 s2, v1
	s_mul_i32 s3, s3, s2
	s_delay_alu instid0(SALU_CYCLE_1) | instskip(NEXT) | instid1(SALU_CYCLE_1)
	s_mul_hi_u32 s3, s2, s3
	s_add_i32 s2, s2, s3
	s_delay_alu instid0(SALU_CYCLE_1) | instskip(NEXT) | instid1(SALU_CYCLE_1)
	s_mul_hi_u32 s2, s11, s2
	s_mul_i32 s3, s2, s20
	s_delay_alu instid0(SALU_CYCLE_1)
	s_sub_i32 s3, s11, s3
	s_add_i32 s11, s2, 1
	s_sub_i32 s12, s3, s20
	s_cmp_ge_u32 s3, s20
	s_cselect_b32 s2, s11, s2
	s_cselect_b32 s3, s12, s3
	s_add_i32 s11, s2, 1
	s_cmp_ge_u32 s3, s20
	s_cselect_b32 s18, s11, s2
.LBB38_6:
	s_delay_alu instid0(SALU_CYCLE_1) | instskip(SKIP_3) | instid1(SALU_CYCLE_1)
	s_cmp_eq_u32 s16, s18
	s_mul_hi_u32 s2, s16, s8
	s_cselect_b32 s3, -1, 0
	s_add_i32 s2, s2, s16
	s_lshr_b32 s11, s2, s9
	s_delay_alu instid0(SALU_CYCLE_1) | instskip(NEXT) | instid1(SALU_CYCLE_1)
	s_mul_i32 s2, s11, s10
	s_cmp_eq_u32 s2, s16
	s_mul_hi_u32 s2, s18, s8
	s_cselect_b32 s12, -1, 0
	s_add_i32 s2, s2, s18
	s_delay_alu instid0(SALU_CYCLE_1) | instskip(NEXT) | instid1(SALU_CYCLE_1)
	s_lshr_b32 s2, s2, s9
	s_cmp_eq_u32 s11, s2
	s_mul_i32 s2, s2, s10
	s_cselect_b32 s17, -1, 0
	s_cmp_lg_u32 s2, s18
	s_cselect_b32 s2, -1, 0
	s_or_b32 s3, s3, s12
	s_and_b32 s2, s17, s2
	s_delay_alu instid0(SALU_CYCLE_1) | instskip(NEXT) | instid1(SALU_CYCLE_1)
	s_or_b32 s2, s3, s2
	s_and_b32 vcc_lo, exec_lo, s2
	s_cbranch_vccnz .LBB38_24
; %bb.7:
	s_load_b256 s[24:31], s[0:1], 0x20
	s_waitcnt lgkmcnt(0)
	s_mul_hi_u32 s2, s16, s24
	s_delay_alu instid0(SALU_CYCLE_1) | instskip(NEXT) | instid1(SALU_CYCLE_1)
	s_add_i32 s2, s2, s16
	s_lshr_b32 s17, s2, s25
	s_load_b32 s2, s[0:1], 0x40
	s_mul_i32 s3, s17, s26
	s_delay_alu instid0(SALU_CYCLE_1) | instskip(NEXT) | instid1(SALU_CYCLE_1)
	s_sub_i32 s3, s16, s3
	s_mul_hi_u32 s12, s3, s27
	s_delay_alu instid0(SALU_CYCLE_1) | instskip(NEXT) | instid1(SALU_CYCLE_1)
	s_add_i32 s12, s3, s12
	s_lshr_b32 s21, s12, s28
	s_delay_alu instid0(SALU_CYCLE_1) | instskip(NEXT) | instid1(SALU_CYCLE_1)
	s_mul_i32 s12, s21, s29
	s_sub_i32 s3, s3, s12
	s_delay_alu instid0(SALU_CYCLE_1) | instskip(NEXT) | instid1(SALU_CYCLE_1)
	s_mul_hi_u32 s12, s3, s30
	s_add_i32 s12, s3, s12
	s_delay_alu instid0(SALU_CYCLE_1)
	s_lshr_b32 s12, s12, s31
	s_waitcnt lgkmcnt(0)
	s_mul_i32 s2, s12, s2
	s_lshl_b32 s23, s12, 1
	s_sub_i32 s2, s3, s2
	s_mov_b32 s12, 0
	s_mul_hi_u32 s3, s2, s8
	s_delay_alu instid0(SALU_CYCLE_1) | instskip(NEXT) | instid1(SALU_CYCLE_1)
	s_add_i32 s2, s2, s3
	s_lshr_b32 s22, s2, s9
	s_delay_alu instid0(SALU_CYCLE_1) | instskip(NEXT) | instid1(SALU_CYCLE_1)
	s_lshl_b32 s2, s22, 1
	s_add_i32 s2, s2, s14
	s_delay_alu instid0(SALU_CYCLE_1) | instskip(SKIP_2) | instid1(SALU_CYCLE_1)
	s_cmp_lt_i32 s2, s4
	s_cselect_b32 s2, -1, 0
	s_add_i32 s3, s23, s15
	s_cmp_lt_i32 s3, s6
	s_cselect_b32 s3, -1, 0
	s_delay_alu instid0(SALU_CYCLE_1) | instskip(NEXT) | instid1(SALU_CYCLE_1)
	s_and_b32 s2, s2, s3
	s_and_not1_b32 vcc_lo, exec_lo, s2
	s_cbranch_vccnz .LBB38_24
; %bb.8:
	s_load_b128 s[0:3], s[0:1], 0x0
	s_lshl_b32 s18, s20, 4
	s_mov_b32 s19, s12
	s_lshl_b32 s24, s14, 1
	s_lshl_b64 s[18:19], s[18:19], 2
	s_mul_i32 s4, s17, s4
	s_add_i32 s17, s24, s15
	s_mul_i32 s21, s21, s6
	v_cvt_f32_ubyte0_e32 v4, 0
	v_cvt_f32_u32_e32 v5, s20
	s_waitcnt lgkmcnt(0)
	s_add_u32 s18, s2, s18
	s_addc_u32 s19, s3, s19
	s_add_i32 s4, s4, s14
	s_delay_alu instid0(SALU_CYCLE_1) | instskip(SKIP_4) | instid1(SALU_CYCLE_1)
	s_mul_i32 s4, s4, s5
	s_mul_i32 s5, s5, s22
	s_add_i32 s4, s4, s15
	s_lshl_b32 s5, s5, 9
	s_add_i32 s4, s4, s21
	s_add_i32 s4, s4, s23
	s_delay_alu instid0(SALU_CYCLE_1) | instskip(NEXT) | instid1(SALU_CYCLE_1)
	s_lshl_b32 s4, s4, 8
	s_add_i32 s5, s5, s4
	s_delay_alu instid0(SALU_CYCLE_1) | instskip(SKIP_1) | instid1(VALU_DEP_2)
	v_or_b32_e32 v1, s5, v0
	v_lshl_or_b32 v0, s17, 8, v0
	v_ashrrev_i32_e32 v2, 31, v1
	s_delay_alu instid0(VALU_DEP_1) | instskip(NEXT) | instid1(VALU_DEP_1)
	v_lshlrev_b64 v[1:2], 2, v[1:2]
	v_add_co_u32 v1, vcc_lo, s0, v1
	s_delay_alu instid0(VALU_DEP_2) | instskip(SKIP_1) | instid1(SALU_CYCLE_1)
	v_add_co_ci_u32_e32 v2, vcc_lo, s1, v2, vcc_lo
	s_lshl_b32 s0, s13, 2
	s_add_i32 s0, s17, s0
	global_load_b32 v3, v[1:2], off
	s_ashr_i32 s1, s0, 31
	s_delay_alu instid0(SALU_CYCLE_1) | instskip(NEXT) | instid1(SALU_CYCLE_1)
	s_lshl_b64 s[0:1], s[0:1], 3
	s_add_u32 s0, s2, s0
	s_addc_u32 s1, s3, s1
	s_add_i32 s14, s13, -1
	s_load_b64 s[0:1], s[0:1], 0x0
	v_fmac_f32_e32 v5, 0x4f800000, v4
	s_sub_i32 s6, 0, s20
	s_waitcnt lgkmcnt(0)
	v_mov_b32_e32 v8, s0
	s_delay_alu instid0(VALU_DEP_2) | instskip(SKIP_2) | instid1(VALU_DEP_2)
	v_rcp_f32_e32 v4, v5
	v_cvt_f32_u32_e32 v5, s20
	v_mov_b32_e32 v7, s1
	v_rcp_iflag_f32_e32 v5, v5
	s_waitcnt_depctr 0xfff
	v_mul_f32_e32 v4, 0x5f7ffffc, v4
	s_delay_alu instid0(VALU_DEP_1) | instskip(SKIP_1) | instid1(VALU_DEP_2)
	v_mul_f32_e32 v6, 0x2f800000, v4
	v_mul_f32_e32 v9, 0x4f7ffffe, v5
	v_trunc_f32_e32 v6, v6
	s_delay_alu instid0(VALU_DEP_1) | instskip(SKIP_1) | instid1(VALU_DEP_4)
	v_fmac_f32_e32 v4, 0xcf800000, v6
	v_cvt_u32_f32_e32 v5, v6
	v_cvt_u32_f32_e32 v6, v9
	s_delay_alu instid0(VALU_DEP_3)
	v_cvt_u32_f32_e32 v4, v4
.LBB38_9:                               ; =>This Inner Loop Header: Depth=1
	s_mul_hi_i32 s13, s14, s7
	s_mul_i32 s4, s14, s7
	s_cmp_lg_u64 s[12:13], 0
	s_mov_b32 s5, -1
                                        ; implicit-def: $sgpr0_sgpr1
	s_cbranch_scc0 .LBB38_11
; %bb.10:                               ;   in Loop: Header=BB38_9 Depth=1
	v_readfirstlane_b32 s0, v4
	v_readfirstlane_b32 s1, v5
	s_sub_u32 s5, 0, s20
	s_subb_u32 s15, 0, 0
	s_delay_alu instid0(VALU_DEP_2) | instskip(NEXT) | instid1(VALU_DEP_1)
	s_mul_hi_u32 s21, s5, s0
	s_mul_i32 s22, s5, s1
	s_mul_i32 s23, s15, s0
	s_add_i32 s21, s21, s22
	s_mul_i32 s22, s5, s0
	s_add_i32 s21, s21, s23
	s_mul_hi_u32 s23, s0, s22
	s_mul_i32 s24, s0, s21
	s_mul_hi_u32 s0, s0, s21
	s_add_u32 s23, s23, s24
	s_mul_i32 s25, s1, s22
	s_addc_u32 s0, 0, s0
	s_mul_hi_u32 s22, s1, s22
	s_mul_hi_u32 s24, s1, s21
	s_add_u32 s23, s23, s25
	s_addc_u32 s0, s0, s22
	s_mul_i32 s21, s1, s21
	s_addc_u32 s22, s24, 0
	s_add_u32 s0, s0, s21
	s_addc_u32 s21, 0, s22
	v_add_co_u32 v9, s0, v4, s0
	s_delay_alu instid0(VALU_DEP_1) | instskip(SKIP_1) | instid1(VALU_DEP_1)
	s_cmp_lg_u32 s0, 0
	s_addc_u32 s1, s1, s21
	v_readfirstlane_b32 s0, v9
	s_mul_i32 s21, s5, s1
	s_delay_alu instid0(VALU_DEP_1)
	s_mul_hi_u32 s22, s5, s0
	s_mul_i32 s15, s15, s0
	s_add_i32 s21, s22, s21
	s_mul_i32 s5, s5, s0
	s_add_i32 s21, s21, s15
	s_mul_hi_u32 s15, s1, s5
	s_mul_i32 s23, s1, s5
	s_mul_i32 s24, s0, s21
	s_mul_hi_u32 s5, s0, s5
	s_mul_hi_u32 s0, s0, s21
	s_add_u32 s5, s5, s24
	s_addc_u32 s0, 0, s0
	s_mul_hi_u32 s22, s1, s21
	s_add_u32 s5, s5, s23
	s_addc_u32 s0, s0, s15
	s_mul_i32 s5, s1, s21
	s_addc_u32 s15, s22, 0
	s_add_u32 s0, s0, s5
	s_addc_u32 s5, 0, s15
	v_add_co_u32 v9, s0, v9, s0
	s_delay_alu instid0(VALU_DEP_1) | instskip(SKIP_2) | instid1(SALU_CYCLE_1)
	s_cmp_lg_u32 s0, 0
	s_addc_u32 s5, s1, s5
	s_ashr_i32 s0, s13, 31
	s_add_u32 s22, s4, s0
	s_addc_u32 s23, s13, s0
	v_readfirstlane_b32 s13, v9
	s_mov_b32 s1, s0
	s_delay_alu instid0(SALU_CYCLE_1) | instskip(NEXT) | instid1(SALU_CYCLE_1)
	s_xor_b64 s[22:23], s[22:23], s[0:1]
	s_mul_i32 s15, s22, s5
	s_delay_alu instid0(VALU_DEP_1)
	s_mul_hi_u32 s21, s22, s13
	s_mul_hi_u32 s24, s22, s5
	s_add_u32 s15, s21, s15
	s_mul_i32 s25, s23, s13
	s_addc_u32 s21, 0, s24
	s_mul_hi_u32 s13, s23, s13
	s_mul_hi_u32 s24, s23, s5
	s_add_u32 s15, s15, s25
	s_addc_u32 s13, s21, s13
	s_mul_i32 s5, s23, s5
	s_addc_u32 s15, s24, 0
	s_add_u32 s5, s13, s5
	s_addc_u32 s13, 0, s15
	s_mul_i32 s21, s20, s5
	s_add_u32 s15, s5, 1
	v_sub_co_u32 v9, s21, s22, s21
	s_addc_u32 s22, s13, 0
	s_mul_i32 s25, s20, s13
	s_mul_hi_u32 s27, s20, s5
	s_delay_alu instid0(VALU_DEP_1)
	v_sub_co_u32 v10, s26, v9, s20
	s_add_u32 s24, s5, 2
	s_addc_u32 s28, s13, 0
	s_add_i32 s27, s27, s25
	s_cmp_lg_u32 s21, 0
	v_readfirstlane_b32 s21, v10
	s_subb_u32 s23, s23, s27
	s_cmp_lg_u32 s26, 0
	s_subb_u32 s25, s23, 0
	s_delay_alu instid0(VALU_DEP_1) | instskip(SKIP_4) | instid1(SALU_CYCLE_1)
	s_cmp_ge_u32 s21, s20
	s_cselect_b32 s21, -1, 0
	s_cmp_eq_u32 s25, 0
	v_readfirstlane_b32 s25, v9
	s_cselect_b32 s21, s21, -1
	s_cmp_lg_u32 s21, 0
	s_cselect_b32 s15, s24, s15
	s_cselect_b32 s21, s28, s22
	s_cmp_ge_u32 s25, s20
	s_cselect_b32 s22, -1, 0
	s_cmp_eq_u32 s23, 0
	s_cselect_b32 s22, s22, -1
	s_delay_alu instid0(SALU_CYCLE_1) | instskip(SKIP_4) | instid1(SALU_CYCLE_1)
	s_cmp_lg_u32 s22, 0
	s_cselect_b32 s23, s21, s13
	s_cselect_b32 s22, s15, s5
	s_mov_b32 s5, 0
	s_xor_b64 s[22:23], s[22:23], s[0:1]
	s_sub_u32 s0, s22, s0
.LBB38_11:                              ;   in Loop: Header=BB38_9 Depth=1
	s_and_not1_b32 vcc_lo, exec_lo, s5
	s_cbranch_vccnz .LBB38_13
; %bb.12:                               ;   in Loop: Header=BB38_9 Depth=1
	v_readfirstlane_b32 s0, v6
	s_delay_alu instid0(VALU_DEP_1) | instskip(NEXT) | instid1(SALU_CYCLE_1)
	s_mul_i32 s1, s6, s0
	s_mul_hi_u32 s1, s0, s1
	s_delay_alu instid0(SALU_CYCLE_1) | instskip(NEXT) | instid1(SALU_CYCLE_1)
	s_add_i32 s0, s0, s1
	s_mul_hi_u32 s0, s4, s0
	s_delay_alu instid0(SALU_CYCLE_1) | instskip(NEXT) | instid1(SALU_CYCLE_1)
	s_mul_i32 s1, s0, s20
	s_sub_i32 s1, s4, s1
	s_add_i32 s4, s0, 1
	s_sub_i32 s5, s1, s20
	s_cmp_ge_u32 s1, s20
	s_cselect_b32 s0, s4, s0
	s_cselect_b32 s1, s5, s1
	s_add_i32 s4, s0, 1
	s_cmp_ge_u32 s1, s20
	s_cselect_b32 s0, s4, s0
.LBB38_13:                              ;   in Loop: Header=BB38_9 Depth=1
	s_delay_alu instid0(SALU_CYCLE_1)
	s_cmp_lg_u32 s16, s0
	s_cbranch_scc0 .LBB38_17
; %bb.14:                               ;   in Loop: Header=BB38_9 Depth=1
	s_add_i32 s1, s14, s20
	s_mov_b32 s5, s12
	s_lshl_b32 s1, s1, 2
	s_mov_b32 s15, s16
	s_add_i32 s4, s1, s17
	s_mul_hi_u32 s1, s0, s8
	s_lshl_b64 s[4:5], s[4:5], 3
	s_delay_alu instid0(SALU_CYCLE_1) | instskip(SKIP_2) | instid1(SALU_CYCLE_1)
	s_add_u32 s4, s2, s4
	s_addc_u32 s5, s3, s5
	s_add_i32 s1, s1, s0
	s_lshr_b32 s1, s1, s9
	s_delay_alu instid0(SALU_CYCLE_1) | instskip(NEXT) | instid1(SALU_CYCLE_1)
	s_mul_i32 s13, s1, s10
	s_cmp_eq_u32 s13, s0
	s_cselect_b32 s13, -1, 0
	s_cmp_lt_u32 s1, s11
	s_cselect_b32 s1, -1, 0
	s_delay_alu instid0(SALU_CYCLE_1)
	s_or_b32 s1, s1, s13
	s_mov_b32 s13, -1
	s_and_b32 vcc_lo, exec_lo, s1
	s_mov_b32 s1, s14
	s_cbranch_vccnz .LBB38_16
; %bb.15:                               ;   in Loop: Header=BB38_9 Depth=1
	s_add_i32 s1, s14, -1
	s_mov_b32 s13, 0
	s_mov_b32 s15, s0
.LBB38_16:                              ;   in Loop: Header=BB38_9 Depth=1
	v_lshl_add_u32 v9, s14, 10, v0
	s_load_b64 s[4:5], s[4:5], 0x0
	s_delay_alu instid0(VALU_DEP_1) | instskip(NEXT) | instid1(VALU_DEP_1)
	v_ashrrev_i32_e32 v10, 31, v9
	v_lshlrev_b64 v[9:10], 2, v[9:10]
	s_delay_alu instid0(VALU_DEP_1) | instskip(NEXT) | instid1(VALU_DEP_2)
	v_add_co_u32 v9, vcc_lo, s18, v9
	v_add_co_ci_u32_e32 v10, vcc_lo, s19, v10, vcc_lo
	s_waitcnt lgkmcnt(0)
	v_max_f32_e64 v11, s4, s4
	global_load_b32 v10, v[9:10], off
	v_max_f32_e32 v9, v8, v8
	s_delay_alu instid0(VALU_DEP_1) | instskip(NEXT) | instid1(VALU_DEP_1)
	v_max_f32_e32 v9, v9, v11
	v_sub_f32_e32 v12, v8, v9
	s_delay_alu instid0(VALU_DEP_1) | instskip(NEXT) | instid1(VALU_DEP_1)
	v_dual_mul_f32 v14, 0x3fb8aa3b, v12 :: v_dual_sub_f32 v11, s4, v9
	v_rndne_f32_e32 v18, v14
	s_delay_alu instid0(VALU_DEP_2) | instskip(SKIP_2) | instid1(VALU_DEP_4)
	v_mul_f32_e32 v13, 0x3fb8aa3b, v11
	v_fma_f32 v17, 0x3fb8aa3b, v12, -v14
	v_cmp_ngt_f32_e32 vcc_lo, 0xc2ce8ed0, v11
	v_sub_f32_e32 v14, v14, v18
	s_delay_alu instid0(VALU_DEP_4) | instskip(SKIP_2) | instid1(VALU_DEP_3)
	v_fma_f32 v15, 0x3fb8aa3b, v11, -v13
	v_rndne_f32_e32 v16, v13
	v_fmac_f32_e32 v17, 0x32a5705f, v12
	v_fmac_f32_e32 v15, 0x32a5705f, v11
	s_delay_alu instid0(VALU_DEP_2) | instskip(NEXT) | instid1(VALU_DEP_1)
	v_dual_sub_f32 v13, v13, v16 :: v_dual_add_f32 v14, v14, v17
	v_add_f32_e32 v13, v13, v15
	s_delay_alu instid0(VALU_DEP_2) | instskip(SKIP_2) | instid1(VALU_DEP_3)
	v_exp_f32_e32 v14, v14
	v_cvt_i32_f32_e32 v15, v16
	v_cvt_i32_f32_e32 v16, v18
	v_exp_f32_e32 v13, v13
	s_waitcnt_depctr 0xfff
	v_ldexp_f32 v14, v14, v16
	v_ldexp_f32 v13, v13, v15
	s_delay_alu instid0(VALU_DEP_1) | instskip(SKIP_1) | instid1(VALU_DEP_4)
	v_cndmask_b32_e32 v13, 0, v13, vcc_lo
	v_cmp_ngt_f32_e32 vcc_lo, 0xc2ce8ed0, v12
	v_cndmask_b32_e32 v14, 0, v14, vcc_lo
	v_cmp_nlt_f32_e32 vcc_lo, 0x42b17218, v11
	s_delay_alu instid0(VALU_DEP_4) | instskip(SKIP_1) | instid1(VALU_DEP_4)
	v_cndmask_b32_e32 v13, 0x7f800000, v13, vcc_lo
	v_cmp_nlt_f32_e32 vcc_lo, 0x42b17218, v12
	v_cndmask_b32_e32 v14, 0x7f800000, v14, vcc_lo
	v_cmp_le_f32_e32 vcc_lo, 0xc1a00000, v11
	s_delay_alu instid0(VALU_DEP_4) | instskip(SKIP_1) | instid1(VALU_DEP_4)
	v_cndmask_b32_e32 v11, 0, v13, vcc_lo
	v_cmp_le_f32_e32 vcc_lo, 0xc1a00000, v12
	v_cndmask_b32_e32 v12, 0, v14, vcc_lo
	s_waitcnt vmcnt(0)
	s_delay_alu instid0(VALU_DEP_3) | instskip(NEXT) | instid1(VALU_DEP_1)
	v_mul_f32_e32 v10, v10, v11
	v_dual_mul_f32 v11, s5, v11 :: v_dual_fmac_f32 v10, v3, v12
	s_delay_alu instid0(VALU_DEP_1)
	v_fmac_f32_e32 v11, v7, v12
	s_cbranch_execz .LBB38_18
	s_branch .LBB38_19
.LBB38_17:                              ;   in Loop: Header=BB38_9 Depth=1
                                        ; implicit-def: $sgpr13
                                        ; implicit-def: $vgpr10
                                        ; implicit-def: $vgpr9
                                        ; implicit-def: $vgpr11
                                        ; implicit-def: $sgpr1
                                        ; implicit-def: $sgpr15
.LBB38_18:                              ;   in Loop: Header=BB38_9 Depth=1
	v_mov_b32_e32 v11, v7
	s_waitcnt vmcnt(0)
	v_dual_mov_b32 v9, v8 :: v_dual_mov_b32 v10, v3
	s_add_i32 s1, s14, -1
	s_mov_b32 s13, 0
	s_mov_b32 s15, s16
.LBB38_19:                              ;   in Loop: Header=BB38_9 Depth=1
	s_and_not1_b32 vcc_lo, exec_lo, s13
	s_cbranch_vccz .LBB38_23
; %bb.20:                               ;   in Loop: Header=BB38_9 Depth=1
	v_dual_mov_b32 v7, v11 :: v_dual_mov_b32 v8, v9
	s_waitcnt vmcnt(0)
	v_mov_b32_e32 v3, v10
	s_mov_b32 s16, s15
	s_mov_b32 s14, s1
	s_branch .LBB38_9
.LBB38_21:
                                        ; implicit-def: $sgpr16_sgpr17
	s_load_b128 s[8:11], s[0:1], 0x44
	s_branch .LBB38_2
.LBB38_22:
                                        ; implicit-def: $sgpr18_sgpr19
	s_branch .LBB38_5
.LBB38_23:
	v_div_scale_f32 v0, null, v11, v11, v10
	s_waitcnt vmcnt(0)
	s_delay_alu instid0(VALU_DEP_1) | instskip(SKIP_2) | instid1(VALU_DEP_1)
	v_rcp_f32_e32 v3, v0
	s_waitcnt_depctr 0xfff
	v_fma_f32 v4, -v0, v3, 1.0
	v_fmac_f32_e32 v3, v4, v3
	v_div_scale_f32 v4, vcc_lo, v10, v11, v10
	s_delay_alu instid0(VALU_DEP_1) | instskip(NEXT) | instid1(VALU_DEP_1)
	v_mul_f32_e32 v5, v4, v3
	v_fma_f32 v6, -v0, v5, v4
	s_delay_alu instid0(VALU_DEP_1) | instskip(NEXT) | instid1(VALU_DEP_1)
	v_fmac_f32_e32 v5, v6, v3
	v_fma_f32 v0, -v0, v5, v4
	s_delay_alu instid0(VALU_DEP_1) | instskip(NEXT) | instid1(VALU_DEP_1)
	v_div_fmas_f32 v0, v0, v3, v5
	v_div_fixup_f32 v0, v0, v11, v10
	global_store_b32 v[1:2], v0, off
.LBB38_24:
	s_nop 0
	s_sendmsg sendmsg(MSG_DEALLOC_VGPRS)
	s_endpgm
	.section	.rodata,"a",@progbits
	.p2align	6, 0x0
	.amdhsa_kernel _ZL33flash_attn_stream_k_fixup_generalILi256ELi2ELi2EEvPfPK15HIP_vector_typeIfLj2EEiiiiS1_IjLj3EES5_S5_S5_
		.amdhsa_group_segment_fixed_size 0
		.amdhsa_private_segment_fixed_size 0
		.amdhsa_kernarg_size 336
		.amdhsa_user_sgpr_count 13
		.amdhsa_user_sgpr_dispatch_ptr 0
		.amdhsa_user_sgpr_queue_ptr 0
		.amdhsa_user_sgpr_kernarg_segment_ptr 1
		.amdhsa_user_sgpr_dispatch_id 0
		.amdhsa_user_sgpr_private_segment_size 0
		.amdhsa_wavefront_size32 1
		.amdhsa_uses_dynamic_stack 0
		.amdhsa_enable_private_segment 0
		.amdhsa_system_sgpr_workgroup_id_x 1
		.amdhsa_system_sgpr_workgroup_id_y 1
		.amdhsa_system_sgpr_workgroup_id_z 1
		.amdhsa_system_sgpr_workgroup_info 0
		.amdhsa_system_vgpr_workitem_id 0
		.amdhsa_next_free_vgpr 19
		.amdhsa_next_free_sgpr 32
		.amdhsa_reserve_vcc 1
		.amdhsa_float_round_mode_32 0
		.amdhsa_float_round_mode_16_64 0
		.amdhsa_float_denorm_mode_32 3
		.amdhsa_float_denorm_mode_16_64 3
		.amdhsa_dx10_clamp 1
		.amdhsa_ieee_mode 1
		.amdhsa_fp16_overflow 0
		.amdhsa_workgroup_processor_mode 1
		.amdhsa_memory_ordered 1
		.amdhsa_forward_progress 0
		.amdhsa_shared_vgpr_count 0
		.amdhsa_exception_fp_ieee_invalid_op 0
		.amdhsa_exception_fp_denorm_src 0
		.amdhsa_exception_fp_ieee_div_zero 0
		.amdhsa_exception_fp_ieee_overflow 0
		.amdhsa_exception_fp_ieee_underflow 0
		.amdhsa_exception_fp_ieee_inexact 0
		.amdhsa_exception_int_div_zero 0
	.end_amdhsa_kernel
	.section	.text._ZL33flash_attn_stream_k_fixup_generalILi256ELi2ELi2EEvPfPK15HIP_vector_typeIfLj2EEiiiiS1_IjLj3EES5_S5_S5_,"axG",@progbits,_ZL33flash_attn_stream_k_fixup_generalILi256ELi2ELi2EEvPfPK15HIP_vector_typeIfLj2EEiiiiS1_IjLj3EES5_S5_S5_,comdat
.Lfunc_end38:
	.size	_ZL33flash_attn_stream_k_fixup_generalILi256ELi2ELi2EEvPfPK15HIP_vector_typeIfLj2EEiiiiS1_IjLj3EES5_S5_S5_, .Lfunc_end38-_ZL33flash_attn_stream_k_fixup_generalILi256ELi2ELi2EEvPfPK15HIP_vector_typeIfLj2EEiiiiS1_IjLj3EES5_S5_S5_
                                        ; -- End function
	.section	.AMDGPU.csdata,"",@progbits
; Kernel info:
; codeLenInByte = 3224
; NumSgprs: 34
; NumVgprs: 19
; ScratchSize: 0
; MemoryBound: 0
; FloatMode: 240
; IeeeMode: 1
; LDSByteSize: 0 bytes/workgroup (compile time only)
; SGPRBlocks: 4
; VGPRBlocks: 2
; NumSGPRsForWavesPerEU: 34
; NumVGPRsForWavesPerEU: 19
; Occupancy: 16
; WaveLimiterHint : 0
; COMPUTE_PGM_RSRC2:SCRATCH_EN: 0
; COMPUTE_PGM_RSRC2:USER_SGPR: 13
; COMPUTE_PGM_RSRC2:TRAP_HANDLER: 0
; COMPUTE_PGM_RSRC2:TGID_X_EN: 1
; COMPUTE_PGM_RSRC2:TGID_Y_EN: 1
; COMPUTE_PGM_RSRC2:TGID_Z_EN: 1
; COMPUTE_PGM_RSRC2:TIDIG_COMP_CNT: 0
	.section	.text._ZL15flash_attn_tileILi256ELi256ELi1ELi2ELb0EEvPKcS1_S1_S1_S1_PKiPfP15HIP_vector_typeIfLj2EEffffjfiS5_IjLj3EEiiiiiiiiiiiliiliiiiil,"axG",@progbits,_ZL15flash_attn_tileILi256ELi256ELi1ELi2ELb0EEvPKcS1_S1_S1_S1_PKiPfP15HIP_vector_typeIfLj2EEffffjfiS5_IjLj3EEiiiiiiiiiiiliiliiiiil,comdat
	.globl	_ZL15flash_attn_tileILi256ELi256ELi1ELi2ELb0EEvPKcS1_S1_S1_S1_PKiPfP15HIP_vector_typeIfLj2EEffffjfiS5_IjLj3EEiiiiiiiiiiiliiliiiiil ; -- Begin function _ZL15flash_attn_tileILi256ELi256ELi1ELi2ELb0EEvPKcS1_S1_S1_S1_PKiPfP15HIP_vector_typeIfLj2EEffffjfiS5_IjLj3EEiiiiiiiiiiiliiliiiiil
	.p2align	8
	.type	_ZL15flash_attn_tileILi256ELi256ELi1ELi2ELb0EEvPKcS1_S1_S1_S1_PKiPfP15HIP_vector_typeIfLj2EEffffjfiS5_IjLj3EEiiiiiiiiiiiliiliiiiil,@function
_ZL15flash_attn_tileILi256ELi256ELi1ELi2ELb0EEvPKcS1_S1_S1_S1_PKiPfP15HIP_vector_typeIfLj2EEffffjfiS5_IjLj3EEiiiiiiiiiiiliiliiiiil: ; @_ZL15flash_attn_tileILi256ELi256ELi1ELi2ELb0EEvPKcS1_S1_S1_S1_PKiPfP15HIP_vector_typeIfLj2EEffffjfiS5_IjLj3EEiiiiiiiiiiiliiliiiiil
; %bb.0:
	s_clause 0x1
	s_load_b128 s[4:7], s[0:1], 0x5c
	s_load_b64 s[34:35], s[0:1], 0x80
	s_mov_b64 s[36:37], 0
	s_waitcnt lgkmcnt(0)
	s_lshr_b32 s2, s7, 31
	s_delay_alu instid0(SALU_CYCLE_1) | instskip(NEXT) | instid1(SALU_CYCLE_1)
	s_add_i32 s2, s7, s2
	s_ashr_i32 s2, s2, 1
	s_delay_alu instid0(SALU_CYCLE_1) | instskip(SKIP_1) | instid1(VALU_DEP_1)
	v_cvt_f32_u32_e32 v1, s2
	s_sub_i32 s8, 0, s2
	v_rcp_iflag_f32_e32 v1, v1
	s_waitcnt_depctr 0xfff
	v_mul_f32_e32 v1, 0x4f7ffffe, v1
	s_delay_alu instid0(VALU_DEP_1) | instskip(NEXT) | instid1(VALU_DEP_1)
	v_cvt_u32_f32_e32 v1, v1
	v_readfirstlane_b32 s3, v1
	s_delay_alu instid0(VALU_DEP_1) | instskip(NEXT) | instid1(SALU_CYCLE_1)
	s_mul_i32 s8, s8, s3
	s_mul_hi_u32 s8, s3, s8
	s_delay_alu instid0(SALU_CYCLE_1) | instskip(NEXT) | instid1(SALU_CYCLE_1)
	s_add_i32 s3, s3, s8
	s_mul_hi_u32 s3, s15, s3
	s_delay_alu instid0(SALU_CYCLE_1) | instskip(SKIP_2) | instid1(SALU_CYCLE_1)
	s_mul_i32 s8, s3, s2
	s_add_i32 s9, s3, 1
	s_sub_i32 s8, s15, s8
	s_sub_i32 s10, s8, s2
	s_cmp_ge_u32 s8, s2
	s_cselect_b32 s3, s9, s3
	s_cselect_b32 s8, s10, s8
	s_add_i32 s9, s3, 1
	s_cmp_ge_u32 s8, s2
	s_cselect_b32 s12, s9, s3
	s_abs_i32 s2, s35
	s_abs_i32 s11, s7
	v_cvt_f32_u32_e32 v1, s2
	s_sub_i32 s8, 0, s2
	s_lshl_b32 s9, s15, 1
	s_mul_i32 s10, s12, s7
	s_delay_alu instid0(VALU_DEP_1) | instskip(SKIP_3) | instid1(VALU_DEP_1)
	v_rcp_iflag_f32_e32 v1, v1
	s_sub_i32 s15, s9, s10
	s_waitcnt_depctr 0xfff
	v_mul_f32_e32 v1, 0x4f7ffffe, v1
	v_cvt_u32_f32_e32 v1, v1
	s_delay_alu instid0(VALU_DEP_1) | instskip(NEXT) | instid1(VALU_DEP_1)
	v_readfirstlane_b32 s3, v1
	s_mul_i32 s8, s8, s3
	s_delay_alu instid0(SALU_CYCLE_1) | instskip(NEXT) | instid1(SALU_CYCLE_1)
	s_mul_hi_u32 s8, s3, s8
	s_add_i32 s3, s3, s8
	s_xor_b32 s8, s7, s35
	s_mul_hi_u32 s3, s11, s3
	s_ashr_i32 s8, s8, 31
	s_mul_i32 s9, s3, s2
	s_add_i32 s10, s3, 1
	s_sub_i32 s9, s11, s9
	s_delay_alu instid0(SALU_CYCLE_1)
	s_sub_i32 s11, s9, s2
	s_cmp_ge_u32 s9, s2
	s_cselect_b32 s3, s10, s3
	s_cselect_b32 s9, s11, s9
	s_add_i32 s10, s3, 1
	s_cmp_ge_u32 s9, s2
	s_cselect_b32 s2, s10, s3
	s_delay_alu instid0(SALU_CYCLE_1) | instskip(NEXT) | instid1(SALU_CYCLE_1)
	s_xor_b32 s2, s2, s8
	s_sub_i32 s35, s2, s8
	s_clause 0x1
	s_load_b512 s[16:31], s[0:1], 0x0
	s_load_b64 s[2:3], s[0:1], 0xb8
	s_abs_i32 s33, s35
	s_delay_alu instid0(SALU_CYCLE_1) | instskip(NEXT) | instid1(VALU_DEP_1)
	v_cvt_f32_u32_e32 v1, s33
	v_rcp_iflag_f32_e32 v1, v1
	s_waitcnt_depctr 0xfff
	v_mul_f32_e32 v1, 0x4f7ffffe, v1
	s_waitcnt lgkmcnt(0)
	s_cmp_eq_u64 s[22:23], 0
	s_delay_alu instid0(VALU_DEP_1) | instskip(NEXT) | instid1(VALU_DEP_1)
	v_cvt_u32_f32_e32 v1, v1
	v_readfirstlane_b32 s38, v1
	s_cbranch_scc1 .LBB39_2
; %bb.1:
	s_abs_i32 s2, s2
	s_abs_i32 s10, s12
	v_cvt_f32_u32_e32 v1, s2
	s_sub_i32 s9, 0, s2
	s_delay_alu instid0(VALU_DEP_1) | instskip(SKIP_2) | instid1(VALU_DEP_1)
	v_rcp_iflag_f32_e32 v1, v1
	s_waitcnt_depctr 0xfff
	v_mul_f32_e32 v1, 0x4f7ffffe, v1
	v_cvt_u32_f32_e32 v1, v1
	s_delay_alu instid0(VALU_DEP_1) | instskip(NEXT) | instid1(VALU_DEP_1)
	v_readfirstlane_b32 s8, v1
	s_mul_i32 s9, s9, s8
	s_delay_alu instid0(SALU_CYCLE_1) | instskip(NEXT) | instid1(SALU_CYCLE_1)
	s_mul_hi_u32 s9, s8, s9
	s_add_i32 s11, s8, s9
	s_load_b64 s[8:9], s[0:1], 0xc8
	s_mul_hi_u32 s11, s10, s11
	s_delay_alu instid0(SALU_CYCLE_1) | instskip(NEXT) | instid1(SALU_CYCLE_1)
	s_mul_i32 s11, s11, s2
	s_sub_i32 s10, s10, s11
	s_ashr_i32 s11, s12, 31
	s_sub_i32 s36, s10, s2
	s_cmp_ge_u32 s10, s2
	s_cselect_b32 s10, s36, s10
	s_delay_alu instid0(SALU_CYCLE_1) | instskip(SKIP_2) | instid1(SALU_CYCLE_1)
	s_sub_i32 s36, s10, s2
	s_cmp_ge_u32 s10, s2
	s_cselect_b32 s2, s36, s10
	s_xor_b32 s2, s2, s11
	s_delay_alu instid0(SALU_CYCLE_1)
	s_sub_i32 s2, s2, s11
	s_waitcnt lgkmcnt(0)
	s_mul_i32 s9, s2, s9
	s_mul_hi_u32 s10, s2, s8
	s_ashr_i32 s11, s2, 31
	s_add_i32 s9, s10, s9
	s_mul_i32 s11, s11, s8
	s_mul_i32 s2, s2, s8
	s_add_i32 s9, s9, s11
	s_add_u32 s36, s22, s2
	s_addc_u32 s37, s23, s9
.LBB39_2:
	v_bfe_u32 v3, v0, 10, 10
	s_load_b128 s[8:11], s[0:1], 0x70
	v_and_b32_e32 v0, 0x3ff, v0
	s_delay_alu instid0(VALU_DEP_2) | instskip(SKIP_1) | instid1(VALU_DEP_2)
	v_lshrrev_b32_e32 v1, 1, v3
	v_and_b32_e32 v29, 1, v3
	v_add_nc_u32_e32 v1, s13, v1
	s_delay_alu instid0(VALU_DEP_1) | instskip(SKIP_3) | instid1(VALU_DEP_1)
	v_mul_hi_u32 v2, s4, v1
	s_waitcnt lgkmcnt(0)
	s_mul_i32 s2, s12, s10
	s_mul_i32 s4, s15, s9
	v_add_nc_u32_e32 v2, v1, v2
	s_delay_alu instid0(VALU_DEP_1)
	v_lshrrev_b32_e32 v2, s5, v2
	s_ashr_i32 s5, s2, 31
	s_add_u32 s2, s16, s2
	s_addc_u32 s5, s17, s5
	s_ashr_i32 s10, s4, 31
	v_mul_lo_u32 v2, v2, s6
	s_add_u32 s2, s2, s4
	s_addc_u32 s4, s5, s10
	s_ashr_i32 s5, s8, 31
	s_delay_alu instid0(SALU_CYCLE_1) | instskip(SKIP_2) | instid1(VALU_DEP_2)
	v_alignbit_b32 v4, s5, s8, 2
	s_ashr_i32 s8, s9, 31
	s_lshr_b32 s5, s5, 2
	v_sub_nc_u32_e32 v5, v1, v2
	s_lshr_b32 s10, s8, 2
	s_cmp_eq_u64 s[26:27], 0
	v_mul_lo_u32 v9, s10, v29
	s_delay_alu instid0(VALU_DEP_2) | instskip(SKIP_1) | instid1(VALU_DEP_2)
	v_mad_u64_u32 v[6:7], null, v4, v5, 0
	v_alignbit_b32 v4, s8, s9, 2
	v_mov_b32_e32 v2, v7
	s_delay_alu instid0(VALU_DEP_1) | instskip(NEXT) | instid1(VALU_DEP_3)
	v_mad_u64_u32 v[7:8], null, s5, v5, v[2:3]
	v_mul_lo_u32 v8, v4, v29
	s_mov_b32 s5, 0
	s_delay_alu instid0(VALU_DEP_2) | instskip(NEXT) | instid1(VALU_DEP_2)
	v_lshlrev_b64 v[6:7], 2, v[6:7]
	v_lshlrev_b64 v[8:9], 2, v[8:9]
	s_delay_alu instid0(VALU_DEP_1) | instskip(NEXT) | instid1(VALU_DEP_2)
	v_add_co_u32 v2, vcc_lo, s2, v8
	v_add_co_ci_u32_e32 v4, vcc_lo, s4, v9, vcc_lo
	v_lshlrev_b32_e32 v8, 4, v0
	s_delay_alu instid0(VALU_DEP_3) | instskip(NEXT) | instid1(VALU_DEP_3)
	v_add_co_u32 v2, vcc_lo, v2, v6
	v_add_co_ci_u32_e32 v4, vcc_lo, v4, v7, vcc_lo
	s_load_b32 s2, s[0:1], 0x40
	s_delay_alu instid0(VALU_DEP_2) | instskip(NEXT) | instid1(VALU_DEP_2)
	v_add_co_u32 v10, vcc_lo, v2, v8
	v_add_co_ci_u32_e32 v11, vcc_lo, 0, v4, vcc_lo
	v_lshlrev_b32_e32 v4, 9, v3
	s_clause 0x1
	global_load_b128 v[6:9], v[10:11], off
	global_load_b128 v[10:13], v[10:11], off offset:512
	v_lshl_or_b32 v2, v0, 3, v4
	s_delay_alu instid0(VALU_DEP_1)
	v_add_nc_u32_e32 v2, 0x1000, v2
	s_waitcnt vmcnt(1) lgkmcnt(0)
	v_fma_mixlo_f16 v15, v8, s2, 0
	v_fma_mixlo_f16 v14, v6, s2, 0
	s_waitcnt vmcnt(0)
	v_fma_mixlo_f16 v17, v12, s2, 0
	v_fma_mixlo_f16 v16, v10, s2, 0
	v_fma_mixhi_f16 v15, v9, s2, 0
	v_fma_mixhi_f16 v14, v7, s2, 0
	s_delay_alu instid0(VALU_DEP_4) | instskip(NEXT) | instid1(VALU_DEP_4)
	v_fma_mixhi_f16 v17, v13, s2, 0
	v_fma_mixhi_f16 v16, v11, s2, 0
	ds_store_2addr_b64 v2, v[14:15], v[16:17] offset0:64 offset1:96
	s_waitcnt lgkmcnt(0)
	s_barrier
	buffer_gl0_inv
	s_cbranch_scc1 .LBB39_4
; %bb.3:
	s_load_b32 s2, s[0:1], 0xd0
	s_waitcnt lgkmcnt(0)
	s_mul_i32 s2, s2, s12
	s_delay_alu instid0(SALU_CYCLE_1) | instskip(NEXT) | instid1(SALU_CYCLE_1)
	s_add_i32 s4, s2, s13
	s_lshl_b64 s[4:5], s[4:5], 2
	s_delay_alu instid0(SALU_CYCLE_1)
	s_add_u32 s4, s26, s4
	s_addc_u32 s5, s27, s5
	s_load_b32 s34, s[4:5], 0x0
.LBB39_4:
	v_lshlrev_b32_e32 v28, 2, v0
	v_mbcnt_lo_u32_b32 v30, -1, 0
	s_lshl_b32 s5, s14, 5
	s_waitcnt lgkmcnt(0)
	s_cmp_lt_i32 s5, s34
	s_cbranch_scc1 .LBB39_6
; %bb.5:
	v_mbcnt_lo_u32_b32 v6, -1, 0
	v_mov_b32_e32 v31, 32
	s_mov_b32 s2, 0
	s_mov_b32 s4, 0xfeffffff
	s_delay_alu instid0(VALU_DEP_2)
	v_xor_b32_e32 v36, 16, v6
	v_xor_b32_e32 v35, 8, v6
	;; [unrolled: 1-line block ×5, first 2 shown]
	s_branch .LBB39_7
.LBB39_6:
	s_mov_b32 s2, -1
                                        ; implicit-def: $sgpr4
                                        ; implicit-def: $vgpr6
                                        ; implicit-def: $vgpr31
                                        ; implicit-def: $vgpr36
                                        ; implicit-def: $vgpr35
                                        ; implicit-def: $vgpr34
                                        ; implicit-def: $vgpr33
                                        ; implicit-def: $vgpr32
.LBB39_7:
	s_delay_alu instid0(SALU_CYCLE_1) | instskip(SKIP_2) | instid1(VALU_DEP_3)
	v_cndmask_b32_e64 v7, 0, 1, s2
	v_dual_mov_b32 v56, s2 :: v_dual_mov_b32 v41, s2
	v_dual_mov_b32 v2, s4 :: v_dual_mov_b32 v57, s2
	v_cmp_ne_u32_e32 vcc_lo, 1, v7
	v_dual_mov_b32 v55, s2 :: v_dual_mov_b32 v54, s2
	s_cbranch_vccnz .LBB39_11
; %bb.8:
	s_clause 0x1
	s_load_b128 s[8:11], s[0:1], 0x98
	s_load_b64 s[16:17], s[0:1], 0x8c
	s_sub_i32 s2, 0, s33
	s_abs_i32 s4, s15
	s_mul_i32 s2, s2, s38
	s_ashr_i32 s27, s35, 31
	s_mul_hi_u32 s2, s38, s2
	s_ashr_i32 s35, s12, 31
	s_add_i32 s38, s38, s2
	s_ashr_i32 s2, s3, 1
	s_mul_hi_u32 s3, s4, s38
	s_ashr_i32 s26, s15, 31
	s_load_b64 s[22:23], s[0:1], 0xa8
	s_mul_i32 s38, s3, s33
	v_lshrrev_b32_e32 v2, 3, v0
	v_dual_mov_b32 v31, 32 :: v_dual_and_b32 v22, 28, v28
	v_mov_b32_e32 v54, 0
	v_lshl_add_u32 v44, v3, 6, 0x1600
	s_delay_alu instid0(VALU_DEP_4)
	v_lshl_add_u32 v2, v3, 2, v2
	s_waitcnt lgkmcnt(0)
	s_mul_i32 s9, s12, s9
	s_ashr_i32 s13, s16, 2
	s_mul_hi_u32 s16, s12, s8
	s_mul_i32 s39, s35, s8
	s_add_i32 s9, s16, s9
	s_mul_i32 s8, s12, s8
	s_ashr_i32 s10, s10, 2
	s_add_i32 s9, s9, s39
	s_add_u32 s8, s18, s8
	s_addc_u32 s9, s19, s9
	s_sub_i32 s4, s4, s38
	s_xor_b32 s16, s26, s27
	s_add_i32 s18, s3, 1
	s_sub_i32 s19, s4, s33
	s_cmp_ge_u32 s4, s33
	s_mul_i32 s35, s35, s22
	s_cselect_b32 s3, s18, s3
	s_cselect_b32 s4, s19, s4
	s_add_i32 s18, s3, 1
	s_cmp_ge_u32 s4, s33
	s_mul_i32 s4, s12, s23
	s_cselect_b32 s3, s18, s3
	s_mul_hi_u32 s18, s12, s22
	s_xor_b32 s3, s3, s16
	v_mul_lo_u32 v6, s13, v2
	s_sub_i32 s3, s3, s16
	s_mul_i32 s19, s12, s22
	s_mul_i32 s16, s3, s17
	;; [unrolled: 1-line block ×3, first 2 shown]
	s_ashr_i32 s17, s16, 31
	s_add_u32 s16, s8, s16
	s_addc_u32 s17, s9, s17
	s_add_i32 s4, s18, s4
	v_mul_lo_u32 v12, s10, v3
	s_add_i32 s4, s4, s35
	s_add_u32 s8, s20, s19
	s_addc_u32 s4, s21, s4
	s_ashr_i32 s9, s3, 31
	s_add_u32 s11, s8, s3
	s_addc_u32 s18, s4, s9
	s_lshl_b32 s3, s13, 3
	s_delay_alu instid0(SALU_CYCLE_1)
	v_dual_mov_b32 v55, 0 :: v_dual_add_nc_u32 v8, s3, v6
	v_mov_b32_e32 v57, 0
	v_lshlrev_b32_e32 v7, 2, v22
	v_ashrrev_i32_e32 v13, 31, v12
	v_lshl_add_u32 v45, v28, 2, v4
	v_add_nc_u32_e32 v10, s3, v8
	v_ashrrev_i32_e32 v9, 31, v8
	v_mad_u32_u24 v37, 0x90, v2, v7
	v_ashrrev_i32_e32 v7, 31, v6
	v_lshlrev_b32_e32 v50, 3, v0
	v_add_nc_u32_e32 v14, s3, v10
	s_lshl_b32 s3, s10, 1
	v_ashrrev_i32_e32 v11, 31, v10
	v_add_nc_u32_e32 v16, s3, v12
	v_add_nc_u32_e32 v43, 0x1200, v4
	v_ashrrev_i32_e32 v15, 31, v14
	v_mad_u64_u32 v[3:4], null, v5, s2, v[0:1]
	s_delay_alu instid0(VALU_DEP_4)
	v_add_nc_u32_e32 v18, s3, v16
	v_ashrrev_i32_e32 v17, 31, v16
	v_lshlrev_b64 v[4:5], 2, v[6:7]
	v_lshlrev_b64 v[6:7], 2, v[8:9]
	;; [unrolled: 1-line block ×3, first 2 shown]
	v_add_nc_u32_e32 v20, s3, v18
	v_ashrrev_i32_e32 v19, 31, v18
	v_lshlrev_b64 v[10:11], 2, v[14:15]
	v_lshlrev_b64 v[12:13], 2, v[12:13]
	;; [unrolled: 1-line block ×3, first 2 shown]
	v_ashrrev_i32_e32 v21, 31, v20
	v_lshlrev_b64 v[16:17], 2, v[18:19]
	v_dual_mov_b32 v41, 0 :: v_dual_add_nc_u32 v38, 0x480, v37
	v_dual_mov_b32 v56, 0 :: v_dual_add_nc_u32 v39, 0x900, v37
	s_delay_alu instid0(VALU_DEP_4)
	v_lshlrev_b64 v[18:19], 2, v[20:21]
	v_add_nc_u32_e32 v40, 0xd80, v37
	v_mul_u32_u24_e32 v42, 0x90, v0
	v_lshl_add_u32 v46, v0, 1, v44
	v_add_nc_u32_e32 v47, 0x400, v45
	v_add_nc_u32_e32 v48, 0x800, v45
	v_add_nc_u32_e32 v49, 0xc00, v45
	v_dual_mov_b32 v2, 0xfeffffff :: v_dual_lshlrev_b32 v51, 2, v22
	v_xor_b32_e32 v36, 16, v30
	v_xor_b32_e32 v35, 8, v30
	;; [unrolled: 1-line block ×5, first 2 shown]
	v_lshlrev_b32_e32 v52, 2, v28
	v_add_nc_u32_e32 v53, 0x800, v50
	s_add_u32 s8, s0, 0xd0
	s_addc_u32 s9, s1, 0
.LBB39_9:                               ; =>This Inner Loop Header: Depth=1
	s_mul_hi_i32 s3, s5, s13
	s_mul_i32 s2, s5, s13
	s_delay_alu instid0(SALU_CYCLE_1) | instskip(NEXT) | instid1(SALU_CYCLE_1)
	s_lshl_b64 s[2:3], s[2:3], 2
	s_add_u32 s4, s16, s2
	s_addc_u32 s19, s17, s3
	v_add_co_u32 v20, vcc_lo, s4, v6
	v_add_co_u32 v21, s2, s4, v8
	v_add_co_u32 v23, s3, s4, v10
	;; [unrolled: 1-line block ×3, first 2 shown]
	s_delay_alu instid0(VALU_DEP_1)
	v_add_co_ci_u32_e64 v27, s4, s19, v5, s4
	v_add_co_ci_u32_e32 v58, vcc_lo, s19, v7, vcc_lo
	v_add_co_ci_u32_e64 v59, vcc_lo, s19, v9, s2
	v_add_co_ci_u32_e64 v60, vcc_lo, s19, v11, s3
	v_add_co_u32 v26, s4, v25, v51
	v_add_co_u32 v24, vcc_lo, v20, v51
	v_add_co_u32 v22, s2, v21, v51
	v_add_co_ci_u32_e64 v27, s4, 0, v27, s4
	v_add_co_u32 v20, s3, v23, v51
	v_add_co_ci_u32_e32 v25, vcc_lo, 0, v58, vcc_lo
	v_add_co_ci_u32_e64 v23, vcc_lo, 0, v59, s2
	v_add_co_ci_u32_e64 v21, vcc_lo, 0, v60, s3
	s_clause 0x3
	global_load_b128 v[59:62], v[26:27], off
	global_load_b128 v[63:66], v[24:25], off
	;; [unrolled: 1-line block ×4, first 2 shown]
	v_mov_b32_e32 v58, 0
	s_mul_hi_i32 s3, s5, s10
	s_mul_i32 s2, s5, s10
	s_waitcnt vmcnt(3)
	ds_store_b128 v37, v[59:62]
	s_waitcnt vmcnt(2)
	ds_store_b128 v38, v[63:66]
	;; [unrolled: 2-line block ×4, first 2 shown]
	s_waitcnt lgkmcnt(0)
	s_barrier
	buffer_gl0_inv
	ds_load_b128 v[59:62], v42
	ds_load_b128 v[63:66], v43
	s_waitcnt lgkmcnt(0)
	;;#ASMSTART
	v_dot2_f32_f16 v58, v59, v63, v58
	;;#ASMEND
	;;#ASMSTART
	v_dot2_f32_f16 v58, v60, v64, v58
	;;#ASMEND
	;;#ASMSTART
	v_dot2_f32_f16 v58, v61, v65, v58
	;;#ASMEND
	;;#ASMSTART
	v_dot2_f32_f16 v58, v62, v66, v58
	;;#ASMEND
	ds_load_b128 v[59:62], v42 offset:16
	ds_load_b128 v[63:66], v43 offset:16
	s_waitcnt lgkmcnt(0)
	;;#ASMSTART
	v_dot2_f32_f16 v58, v59, v63, v58
	;;#ASMEND
	;;#ASMSTART
	v_dot2_f32_f16 v58, v60, v64, v58
	;;#ASMEND
	;;#ASMSTART
	v_dot2_f32_f16 v58, v61, v65, v58
	;;#ASMEND
	;;#ASMSTART
	v_dot2_f32_f16 v58, v62, v66, v58
	;;#ASMEND
	ds_load_b128 v[59:62], v42 offset:32
	ds_load_b128 v[63:66], v43 offset:32
	;; [unrolled: 15-line block ×7, first 2 shown]
	s_waitcnt lgkmcnt(0)
	;;#ASMSTART
	v_dot2_f32_f16 v58, v59, v63, v58
	;;#ASMEND
	;;#ASMSTART
	v_dot2_f32_f16 v58, v60, v64, v58
	;;#ASMEND
	;; [unrolled: 3-line block ×4, first 2 shown]
	s_barrier
	buffer_gl0_inv
	s_clause 0x3
	global_load_b128 v[59:62], v[26:27], off offset:128
	global_load_b128 v[63:66], v[24:25], off offset:128
	;; [unrolled: 1-line block ×4, first 2 shown]
	s_lshl_b64 s[2:3], s[2:3], 2
	s_waitcnt vmcnt(3)
	ds_store_b128 v37, v[59:62]
	s_waitcnt vmcnt(2)
	ds_store_b128 v38, v[63:66]
	;; [unrolled: 2-line block ×4, first 2 shown]
	s_waitcnt lgkmcnt(0)
	s_barrier
	buffer_gl0_inv
	ds_load_b128 v[59:62], v42
	ds_load_b128 v[63:66], v43 offset:128
	s_waitcnt lgkmcnt(0)
	;;#ASMSTART
	v_dot2_f32_f16 v58, v59, v63, v58
	;;#ASMEND
	;;#ASMSTART
	v_dot2_f32_f16 v58, v60, v64, v58
	;;#ASMEND
	;;#ASMSTART
	v_dot2_f32_f16 v58, v61, v65, v58
	;;#ASMEND
	;;#ASMSTART
	v_dot2_f32_f16 v58, v62, v66, v58
	;;#ASMEND
	ds_load_b128 v[59:62], v42 offset:16
	ds_load_b128 v[63:66], v43 offset:144
	s_waitcnt lgkmcnt(0)
	;;#ASMSTART
	v_dot2_f32_f16 v58, v59, v63, v58
	;;#ASMEND
	;;#ASMSTART
	v_dot2_f32_f16 v58, v60, v64, v58
	;;#ASMEND
	;;#ASMSTART
	v_dot2_f32_f16 v58, v61, v65, v58
	;;#ASMEND
	;;#ASMSTART
	v_dot2_f32_f16 v58, v62, v66, v58
	;;#ASMEND
	ds_load_b128 v[59:62], v42 offset:32
	;; [unrolled: 15-line block ×7, first 2 shown]
	ds_load_b128 v[63:66], v43 offset:240
	s_waitcnt lgkmcnt(0)
	;;#ASMSTART
	v_dot2_f32_f16 v58, v59, v63, v58
	;;#ASMEND
	;;#ASMSTART
	v_dot2_f32_f16 v58, v60, v64, v58
	;;#ASMEND
	;; [unrolled: 3-line block ×4, first 2 shown]
	s_barrier
	buffer_gl0_inv
	s_clause 0x3
	global_load_b128 v[59:62], v[26:27], off offset:256
	global_load_b128 v[63:66], v[24:25], off offset:256
	;; [unrolled: 1-line block ×4, first 2 shown]
	s_add_u32 s4, s11, s2
	s_addc_u32 s19, s18, s3
	s_or_b32 s20, s5, 8
	s_waitcnt vmcnt(3)
	ds_store_b128 v37, v[59:62]
	s_waitcnt vmcnt(2)
	ds_store_b128 v38, v[63:66]
	;; [unrolled: 2-line block ×4, first 2 shown]
	v_add_nc_u32_e32 v67, s5, v3
	s_waitcnt lgkmcnt(0)
	s_barrier
	buffer_gl0_inv
	ds_load_b128 v[59:62], v42
	ds_load_b128 v[63:66], v43 offset:256
	s_waitcnt lgkmcnt(0)
	;;#ASMSTART
	v_dot2_f32_f16 v58, v59, v63, v58
	;;#ASMEND
	;;#ASMSTART
	v_dot2_f32_f16 v58, v60, v64, v58
	;;#ASMEND
	;;#ASMSTART
	v_dot2_f32_f16 v58, v61, v65, v58
	;;#ASMEND
	;;#ASMSTART
	v_dot2_f32_f16 v58, v62, v66, v58
	;;#ASMEND
	ds_load_b128 v[59:62], v42 offset:16
	ds_load_b128 v[63:66], v43 offset:272
	s_waitcnt lgkmcnt(0)
	;;#ASMSTART
	v_dot2_f32_f16 v58, v59, v63, v58
	;;#ASMEND
	;;#ASMSTART
	v_dot2_f32_f16 v58, v60, v64, v58
	;;#ASMEND
	;;#ASMSTART
	v_dot2_f32_f16 v58, v61, v65, v58
	;;#ASMEND
	;;#ASMSTART
	v_dot2_f32_f16 v58, v62, v66, v58
	;;#ASMEND
	ds_load_b128 v[59:62], v42 offset:32
	;; [unrolled: 15-line block ×7, first 2 shown]
	ds_load_b128 v[63:66], v43 offset:368
	s_waitcnt lgkmcnt(0)
	;;#ASMSTART
	v_dot2_f32_f16 v58, v59, v63, v58
	;;#ASMEND
	;;#ASMSTART
	v_dot2_f32_f16 v58, v60, v64, v58
	;;#ASMEND
	;; [unrolled: 3-line block ×4, first 2 shown]
	s_barrier
	buffer_gl0_inv
	s_clause 0x3
	global_load_b128 v[59:62], v[26:27], off offset:384
	global_load_b128 v[24:27], v[24:25], off offset:384
	;; [unrolled: 1-line block ×4, first 2 shown]
	v_ashrrev_i32_e32 v68, 31, v67
	s_mul_hi_i32 s21, s20, s10
	s_mul_i32 s20, s20, s10
	s_waitcnt vmcnt(3)
	ds_store_b128 v37, v[59:62]
	s_waitcnt vmcnt(2)
	ds_store_b128 v38, v[24:27]
	;; [unrolled: 2-line block ×4, first 2 shown]
	s_waitcnt lgkmcnt(0)
	s_barrier
	buffer_gl0_inv
	ds_load_b128 v[20:23], v42
	ds_load_b128 v[24:27], v43 offset:384
	s_waitcnt lgkmcnt(0)
	;;#ASMSTART
	v_dot2_f32_f16 v58, v20, v24, v58
	;;#ASMEND
	;;#ASMSTART
	v_dot2_f32_f16 v58, v21, v25, v58
	;;#ASMEND
	;;#ASMSTART
	v_dot2_f32_f16 v58, v22, v26, v58
	;;#ASMEND
	;;#ASMSTART
	v_dot2_f32_f16 v58, v23, v27, v58
	;;#ASMEND
	ds_load_b128 v[20:23], v42 offset:16
	ds_load_b128 v[24:27], v43 offset:400
	s_waitcnt lgkmcnt(0)
	;;#ASMSTART
	v_dot2_f32_f16 v58, v20, v24, v58
	;;#ASMEND
	;;#ASMSTART
	v_dot2_f32_f16 v58, v21, v25, v58
	;;#ASMEND
	;;#ASMSTART
	v_dot2_f32_f16 v58, v22, v26, v58
	;;#ASMEND
	;;#ASMSTART
	v_dot2_f32_f16 v58, v23, v27, v58
	;;#ASMEND
	ds_load_b128 v[20:23], v42 offset:32
	;; [unrolled: 15-line block ×7, first 2 shown]
	ds_load_b128 v[24:27], v43 offset:496
	v_lshlrev_b64 v[67:68], 1, v[67:68]
	s_waitcnt lgkmcnt(0)
	;;#ASMSTART
	v_dot2_f32_f16 v58, v20, v24, v58
	;;#ASMEND
	s_delay_alu instid0(VALU_DEP_1) | instskip(NEXT) | instid1(VALU_DEP_2)
	v_add_co_u32 v67, vcc_lo, s36, v67
	v_add_co_ci_u32_e32 v68, vcc_lo, s37, v68, vcc_lo
	;;#ASMSTART
	v_dot2_f32_f16 v58, v21, v25, v58
	;;#ASMEND
	;;#ASMSTART
	v_dot2_f32_f16 v58, v22, v26, v58
	;;#ASMEND
	;; [unrolled: 3-line block ×3, first 2 shown]
	flat_load_u16 v20, v[67:68]
	v_cmp_gt_i32_e32 vcc_lo, 32, v36
	v_mov_b32_e32 v21, v2
	s_waitcnt vmcnt(0) lgkmcnt(0)
	s_barrier
	buffer_gl0_inv
	v_cndmask_b32_e32 v2, v30, v36, vcc_lo
	v_cmp_gt_i32_e32 vcc_lo, 32, v35
	s_lshl_b64 s[20:21], s[20:21], 2
	s_delay_alu instid0(VALU_DEP_2)
	v_dual_max_f32 v71, v21, v21 :: v_dual_lshlrev_b32 v2, 2, v2
	v_cndmask_b32_e32 v22, v30, v35, vcc_lo
	v_cmp_gt_i32_e32 vcc_lo, 32, v34
	v_cndmask_b32_e32 v23, v30, v34, vcc_lo
	v_cmp_gt_i32_e32 vcc_lo, 32, v33
	v_cndmask_b32_e32 v24, v30, v33, vcc_lo
	v_cmp_gt_i32_e32 vcc_lo, 32, v32
	s_delay_alu instid0(VALU_DEP_2) | instskip(SKIP_4) | instid1(VALU_DEP_3)
	v_lshlrev_b32_e32 v74, 2, v24
	v_lshlrev_b32_e32 v73, 2, v23
	v_cndmask_b32_e32 v25, v30, v32, vcc_lo
	v_add_co_u32 v23, s2, s4, v16
	v_add_co_u32 v24, s3, s4, v18
	v_lshlrev_b32_e32 v75, 2, v25
	v_lshlrev_b32_e32 v72, 2, v22
	v_add_co_u32 v22, vcc_lo, s4, v14
	v_add_co_u32 v25, s4, s4, v12
	s_delay_alu instid0(VALU_DEP_1)
	v_add_co_ci_u32_e64 v27, s4, s19, v13, s4
	v_add_co_ci_u32_e32 v59, vcc_lo, s19, v15, vcc_lo
	v_add_co_ci_u32_e64 v60, vcc_lo, s19, v17, s2
	v_add_co_ci_u32_e64 v61, vcc_lo, s19, v19, s3
	v_add_co_u32 v26, vcc_lo, v22, v52
	v_add_co_u32 v22, s4, v25, v52
	v_add_co_u32 v63, s2, v23, v52
	v_add_co_ci_u32_e64 v23, s4, 0, v27, s4
	v_add_co_u32 v67, s3, v24, v52
	v_add_co_ci_u32_e32 v27, vcc_lo, 0, v59, vcc_lo
	v_add_co_ci_u32_e64 v64, vcc_lo, 0, v60, s2
	v_add_co_ci_u32_e64 v68, vcc_lo, 0, v61, s3
	s_clause 0x3
	global_load_b128 v[22:25], v[22:23], off
	global_load_b128 v[59:62], v[26:27], off
	;; [unrolled: 1-line block ×4, first 2 shown]
	s_add_u32 s19, s11, s20
	s_addc_u32 s20, s18, s21
	v_add_co_u32 v76, vcc_lo, s19, v14
	v_add_co_u32 v77, s2, s19, v16
	v_add_co_u32 v78, s3, s19, v18
	v_add_co_ci_u32_e32 v81, vcc_lo, s20, v15, vcc_lo
	v_add_co_ci_u32_e64 v82, vcc_lo, s20, v17, s2
	v_add_co_ci_u32_e64 v83, vcc_lo, s20, v19, s3
	v_add_co_u32 v26, vcc_lo, v76, v52
	v_add_co_u32 v98, s2, v77, v52
	v_add_co_u32 v102, s3, v78, v52
	v_add_co_ci_u32_e32 v27, vcc_lo, 0, v81, vcc_lo
	v_add_co_ci_u32_e64 v99, vcc_lo, 0, v82, s2
	v_add_co_ci_u32_e64 v103, vcc_lo, 0, v83, s3
	v_add_co_u32 v79, s4, s19, v12
	s_delay_alu instid0(VALU_DEP_1) | instskip(SKIP_1) | instid1(VALU_DEP_2)
	v_add_co_ci_u32_e64 v80, s4, s20, v13, s4
	s_or_b32 s2, s5, 16
	v_add_co_u32 v90, s4, v79, v52
	s_delay_alu instid0(VALU_DEP_1) | instskip(SKIP_2) | instid1(SALU_CYCLE_1)
	v_add_co_ci_u32_e64 v91, s4, 0, v80, s4
	s_mul_hi_i32 s3, s2, s10
	s_mul_i32 s2, s2, s10
	s_lshl_b64 s[2:3], s[2:3], 2
	s_delay_alu instid0(SALU_CYCLE_1) | instskip(SKIP_3) | instid1(VALU_DEP_1)
	s_add_u32 s4, s11, s2
	s_addc_u32 s19, s18, s3
	v_add_co_u32 v107, s3, s4, v18
	v_cvt_f32_f16_e32 v20, v20
	v_add_f32_e32 v20, v58, v20
	s_delay_alu instid0(VALU_DEP_1) | instskip(NEXT) | instid1(VALU_DEP_1)
	v_add_f32_e32 v58, 0x40051340, v20
	v_max_f32_e32 v58, v71, v58
	ds_bpermute_b32 v2, v2, v58
	s_waitcnt lgkmcnt(0)
	v_max_f32_e32 v2, v2, v2
	s_delay_alu instid0(VALU_DEP_1) | instskip(SKIP_3) | instid1(VALU_DEP_1)
	v_max_f32_e32 v2, v58, v2
	ds_bpermute_b32 v58, v72, v2
	s_waitcnt lgkmcnt(0)
	v_max_f32_e32 v58, v58, v58
	v_max_f32_e32 v2, v2, v58
	ds_bpermute_b32 v58, v73, v2
	s_waitcnt lgkmcnt(0)
	v_max_f32_e32 v58, v58, v58
	s_delay_alu instid0(VALU_DEP_1) | instskip(SKIP_3) | instid1(VALU_DEP_1)
	v_max_f32_e32 v2, v2, v58
	ds_bpermute_b32 v58, v74, v2
	s_waitcnt lgkmcnt(0)
	v_max_f32_e32 v58, v58, v58
	v_max_f32_e32 v2, v2, v58
	ds_bpermute_b32 v58, v75, v2
	s_waitcnt lgkmcnt(0)
	v_max_f32_e32 v58, v58, v58
	s_delay_alu instid0(VALU_DEP_1) | instskip(NEXT) | instid1(VALU_DEP_1)
	v_max_f32_e32 v2, v2, v58
	v_sub_f32_e32 v21, v21, v2
	v_sub_f32_e32 v20, v20, v2
	s_delay_alu instid0(VALU_DEP_1) | instskip(SKIP_1) | instid1(VALU_DEP_2)
	v_mul_f32_e32 v58, 0x3fb8aa3b, v20
	v_cmp_ngt_f32_e32 vcc_lo, 0xc2ce8ed0, v20
	v_fma_f32 v71, 0x3fb8aa3b, v20, -v58
	v_rndne_f32_e32 v72, v58
	s_delay_alu instid0(VALU_DEP_2) | instskip(NEXT) | instid1(VALU_DEP_2)
	v_fmac_f32_e32 v71, 0x32a5705f, v20
	v_sub_f32_e32 v58, v58, v72
	v_cvt_i32_f32_e32 v72, v72
	s_delay_alu instid0(VALU_DEP_2) | instskip(NEXT) | instid1(VALU_DEP_1)
	v_add_f32_e32 v58, v58, v71
	v_exp_f32_e32 v58, v58
	s_waitcnt_depctr 0xfff
	v_ldexp_f32 v58, v58, v72
	s_delay_alu instid0(VALU_DEP_1) | instskip(SKIP_1) | instid1(VALU_DEP_2)
	v_cndmask_b32_e32 v58, 0, v58, vcc_lo
	v_cmp_nlt_f32_e32 vcc_lo, 0x42b17218, v20
	v_cndmask_b32_e32 v20, 0x7f800000, v58, vcc_lo
	s_delay_alu instid0(VALU_DEP_1)
	v_cvt_f16_f32_e32 v58, v20
	ds_store_b16 v46, v58
	s_waitcnt vmcnt(3)
	ds_store_b128 v45, v[22:25]
	s_waitcnt vmcnt(2)
	ds_store_b128 v47, v[59:62]
	;; [unrolled: 2-line block ×4, first 2 shown]
	s_waitcnt lgkmcnt(0)
	s_barrier
	buffer_gl0_inv
	ds_load_2addr_b64 v[22:25], v50 offset1:32
	ds_load_b128 v[58:61], v44
	ds_load_2addr_b64 v[62:65], v50 offset0:64 offset1:96
	ds_load_2addr_b64 v[66:69], v50 offset0:128 offset1:160
	;; [unrolled: 1-line block ×3, first 2 shown]
	ds_load_2addr_b64 v[74:77], v53 offset1:32
	ds_load_2addr_b64 v[78:81], v53 offset0:64 offset1:96
	ds_load_2addr_b64 v[82:85], v53 offset0:128 offset1:160
	;; [unrolled: 1-line block ×3, first 2 shown]
	s_waitcnt lgkmcnt(0)
	s_barrier
	buffer_gl0_inv
	s_clause 0x3
	global_load_b128 v[90:93], v[90:91], off
	global_load_b128 v[94:97], v[26:27], off
	;; [unrolled: 1-line block ×4, first 2 shown]
	v_add_co_u32 v26, vcc_lo, s4, v14
	v_add_co_u32 v27, s2, s4, v16
	v_add_co_ci_u32_e32 v111, vcc_lo, s19, v15, vcc_lo
	v_add_co_ci_u32_e64 v112, vcc_lo, s19, v17, s2
	v_add_co_ci_u32_e64 v113, vcc_lo, s19, v19, s3
	v_add_co_u32 v26, vcc_lo, v26, v52
	v_add_co_u32 v106, s2, v27, v52
	v_add_co_u32 v110, s3, v107, v52
	v_add_co_ci_u32_e32 v27, vcc_lo, 0, v111, vcc_lo
	v_add_co_ci_u32_e64 v107, vcc_lo, 0, v112, s2
	v_mul_f32_e32 v112, 0x3fb8aa3b, v21
	v_add_co_ci_u32_e64 v111, vcc_lo, 0, v113, s3
	v_cmp_ngt_f32_e32 vcc_lo, 0xc2ce8ed0, v21
	v_pk_mul_f16 v22, v22, v58 op_sel_hi:[1,0]
	s_delay_alu instid0(VALU_DEP_4) | instskip(SKIP_3) | instid1(VALU_DEP_3)
	v_fma_f32 v113, 0x3fb8aa3b, v21, -v112
	v_rndne_f32_e32 v114, v112
	v_pk_mul_f16 v23, v23, v58 op_sel_hi:[1,0]
	v_add_co_u32 v108, s4, s4, v12
	v_dual_fmac_f32 v113, 0x32a5705f, v21 :: v_dual_sub_f32 v112, v112, v114
	v_cvt_i32_f32_e32 v114, v114
	v_add_co_ci_u32_e64 v109, s4, s19, v13, s4
	s_delay_alu instid0(VALU_DEP_4) | instskip(NEXT) | instid1(VALU_DEP_4)
	v_add_co_u32 v108, s4, v108, v52
	v_add_f32_e32 v112, v112, v113
	s_delay_alu instid0(VALU_DEP_3)
	v_add_co_ci_u32_e64 v109, s4, 0, v109, s4
	s_or_b32 s2, s5, 24
	s_waitcnt vmcnt(3)
	ds_store_b128 v45, v[90:93]
	s_waitcnt vmcnt(2)
	ds_store_b128 v47, v[94:97]
	;; [unrolled: 2-line block ×4, first 2 shown]
	v_exp_f32_e32 v112, v112
	s_waitcnt lgkmcnt(0)
	s_barrier
	buffer_gl0_inv
	s_mul_hi_i32 s3, s2, s10
	s_mul_i32 s2, s2, s10
	s_delay_alu instid0(SALU_CYCLE_1) | instskip(NEXT) | instid1(SALU_CYCLE_1)
	s_lshl_b64 s[2:3], s[2:3], 2
	s_add_u32 s4, s11, s2
	v_ldexp_f32 v112, v112, v114
	s_addc_u32 s19, s18, s3
	v_add_co_u32 v115, s3, s4, v18
	s_delay_alu instid0(VALU_DEP_2) | instskip(SKIP_1) | instid1(VALU_DEP_2)
	v_cndmask_b32_e32 v112, 0, v112, vcc_lo
	v_cmp_nlt_f32_e32 vcc_lo, 0x42b17218, v21
	v_cndmask_b32_e32 v120, 0x7f800000, v112, vcc_lo
	s_delay_alu instid0(VALU_DEP_1) | instskip(SKIP_1) | instid1(VALU_DEP_2)
	v_cvt_f16_f32_e32 v21, v120
	v_fma_f32 v41, v41, v120, v20
	v_pk_mul_f16 v55, v21, v55 op_sel_hi:[0,1]
	v_pk_mul_f16 v54, v21, v54 op_sel_hi:[0,1]
	v_pk_fma_f16 v22, v56, v21, v22 op_sel_hi:[1,0,1]
	v_pk_fma_f16 v21, v57, v21, v23 op_sel_hi:[1,0,1]
	s_delay_alu instid0(VALU_DEP_4) | instskip(NEXT) | instid1(VALU_DEP_4)
	v_pk_fma_f16 v24, v24, v58, v55 op_sel_hi:[1,0,1]
	v_pk_fma_f16 v25, v25, v58, v54 op_sel_hi:[1,0,1]
	s_delay_alu instid0(VALU_DEP_4) | instskip(NEXT) | instid1(VALU_DEP_4)
	v_pk_fma_f16 v22, v62, v58, v22 op_sel:[0,1,0]
	v_pk_fma_f16 v21, v63, v58, v21 op_sel:[0,1,0]
	s_delay_alu instid0(VALU_DEP_4) | instskip(NEXT) | instid1(VALU_DEP_4)
	v_pk_fma_f16 v23, v64, v58, v24 op_sel:[0,1,0]
	v_pk_fma_f16 v24, v65, v58, v25 op_sel:[0,1,0]
	s_delay_alu instid0(VALU_DEP_4) | instskip(NEXT) | instid1(VALU_DEP_4)
	v_pk_fma_f16 v22, v66, v59, v22 op_sel_hi:[1,0,1]
	v_pk_fma_f16 v21, v67, v59, v21 op_sel_hi:[1,0,1]
	s_delay_alu instid0(VALU_DEP_4) | instskip(NEXT) | instid1(VALU_DEP_4)
	v_pk_fma_f16 v23, v68, v59, v23 op_sel_hi:[1,0,1]
	v_pk_fma_f16 v24, v69, v59, v24 op_sel_hi:[1,0,1]
	s_delay_alu instid0(VALU_DEP_4) | instskip(NEXT) | instid1(VALU_DEP_4)
	v_pk_fma_f16 v22, v70, v59, v22 op_sel:[0,1,0]
	v_pk_fma_f16 v21, v71, v59, v21 op_sel:[0,1,0]
	s_delay_alu instid0(VALU_DEP_4) | instskip(NEXT) | instid1(VALU_DEP_4)
	v_pk_fma_f16 v23, v72, v59, v23 op_sel:[0,1,0]
	v_pk_fma_f16 v24, v73, v59, v24 op_sel:[0,1,0]
	s_delay_alu instid0(VALU_DEP_4) | instskip(NEXT) | instid1(VALU_DEP_4)
	v_pk_fma_f16 v22, v74, v60, v22 op_sel_hi:[1,0,1]
	v_pk_fma_f16 v21, v75, v60, v21 op_sel_hi:[1,0,1]
	s_delay_alu instid0(VALU_DEP_4) | instskip(NEXT) | instid1(VALU_DEP_4)
	v_pk_fma_f16 v23, v76, v60, v23 op_sel_hi:[1,0,1]
	v_pk_fma_f16 v24, v77, v60, v24 op_sel_hi:[1,0,1]
	s_delay_alu instid0(VALU_DEP_4) | instskip(NEXT) | instid1(VALU_DEP_3)
	v_pk_fma_f16 v59, v78, v60, v22 op_sel:[0,1,0]
	v_pk_fma_f16 v25, v80, v60, v23 op_sel:[0,1,0]
	s_delay_alu instid0(VALU_DEP_3)
	v_pk_fma_f16 v58, v81, v60, v24 op_sel:[0,1,0]
	v_pk_fma_f16 v60, v79, v60, v21 op_sel:[0,1,0]
	ds_load_2addr_b64 v[21:24], v50 offset1:32
	ds_load_b128 v[54:57], v44 offset:16
	ds_load_2addr_b64 v[62:65], v50 offset0:64 offset1:96
	ds_load_2addr_b64 v[66:69], v50 offset0:128 offset1:160
	;; [unrolled: 1-line block ×3, first 2 shown]
	ds_load_2addr_b64 v[74:77], v53 offset1:32
	ds_load_2addr_b64 v[78:81], v53 offset0:64 offset1:96
	ds_load_2addr_b64 v[90:93], v53 offset0:128 offset1:160
	;; [unrolled: 1-line block ×3, first 2 shown]
	s_waitcnt lgkmcnt(0)
	s_barrier
	buffer_gl0_inv
	s_clause 0x3
	global_load_b128 v[98:101], v[108:109], off
	global_load_b128 v[102:105], v[26:27], off
	;; [unrolled: 1-line block ×4, first 2 shown]
	v_pk_fma_f16 v25, v84, v61, v25 op_sel_hi:[1,0,1]
	v_pk_fma_f16 v58, v85, v61, v58 op_sel_hi:[1,0,1]
	v_pk_fma_f16 v59, v82, v61, v59 op_sel_hi:[1,0,1]
	v_pk_fma_f16 v60, v83, v61, v60 op_sel_hi:[1,0,1]
	v_add_co_u32 v26, vcc_lo, s4, v14
	v_pk_fma_f16 v88, v88, v61, v25 op_sel:[0,1,0]
	v_pk_fma_f16 v58, v89, v61, v58 op_sel:[0,1,0]
	;; [unrolled: 1-line block ×4, first 2 shown]
	v_add_co_u32 v27, s2, s4, v16
	v_pk_fma_f16 v23, v23, v54, v88 op_sel_hi:[1,0,1]
	s_delay_alu instid0(VALU_DEP_4) | instskip(NEXT) | instid1(VALU_DEP_4)
	v_pk_fma_f16 v21, v21, v54, v59 op_sel_hi:[1,0,1]
	v_pk_fma_f16 v22, v22, v54, v60 op_sel_hi:[1,0,1]
	;; [unrolled: 1-line block ×3, first 2 shown]
	v_add_co_u32 v82, s4, s4, v12
	s_delay_alu instid0(VALU_DEP_4) | instskip(NEXT) | instid1(VALU_DEP_4)
	v_pk_fma_f16 v21, v62, v54, v21 op_sel:[0,1,0]
	v_pk_fma_f16 v22, v63, v54, v22 op_sel:[0,1,0]
	;; [unrolled: 1-line block ×4, first 2 shown]
	v_add_co_ci_u32_e64 v83, s4, s19, v13, s4
	v_pk_fma_f16 v21, v66, v55, v21 op_sel_hi:[1,0,1]
	v_pk_fma_f16 v22, v67, v55, v22 op_sel_hi:[1,0,1]
	;; [unrolled: 1-line block ×4, first 2 shown]
	v_add_co_ci_u32_e32 v84, vcc_lo, s19, v15, vcc_lo
	v_pk_fma_f16 v21, v70, v55, v21 op_sel:[0,1,0]
	v_pk_fma_f16 v22, v71, v55, v22 op_sel:[0,1,0]
	;; [unrolled: 1-line block ×4, first 2 shown]
	v_add_co_ci_u32_e64 v85, vcc_lo, s19, v17, s2
	v_add_co_ci_u32_e64 v61, vcc_lo, s19, v19, s3
	v_add_co_u32 v118, s4, v82, v52
	v_add_co_u32 v25, vcc_lo, v26, v52
	v_add_co_u32 v114, s2, v27, v52
	v_add_co_ci_u32_e64 v119, s4, 0, v83, s4
	v_pk_fma_f16 v21, v74, v56, v21 op_sel_hi:[1,0,1]
	v_pk_fma_f16 v22, v75, v56, v22 op_sel_hi:[1,0,1]
	v_pk_fma_f16 v23, v76, v56, v23 op_sel_hi:[1,0,1]
	v_pk_fma_f16 v24, v77, v56, v24 op_sel_hi:[1,0,1]
	v_add_co_u32 v116, s3, v115, v52
	v_add_co_ci_u32_e32 v26, vcc_lo, 0, v84, vcc_lo
	v_add_co_ci_u32_e64 v115, vcc_lo, 0, v85, s2
	v_add_co_ci_u32_e64 v117, vcc_lo, 0, v61, s3
	v_pk_fma_f16 v27, v78, v56, v21 op_sel:[0,1,0]
	v_pk_fma_f16 v54, v79, v56, v22 op_sel:[0,1,0]
	v_pk_fma_f16 v55, v80, v56, v23 op_sel:[0,1,0]
	v_pk_fma_f16 v56, v81, v56, v24 op_sel:[0,1,0]
	s_waitcnt vmcnt(3)
	ds_store_b128 v45, v[98:101]
	s_waitcnt vmcnt(2)
	ds_store_b128 v47, v[102:105]
	;; [unrolled: 2-line block ×4, first 2 shown]
	s_waitcnt lgkmcnt(0)
	s_barrier
	buffer_gl0_inv
	ds_load_2addr_b64 v[21:24], v50 offset1:32
	ds_load_b128 v[58:61], v44 offset:32
	ds_load_2addr_b64 v[62:65], v50 offset0:64 offset1:96
	ds_load_2addr_b64 v[66:69], v50 offset0:128 offset1:160
	;; [unrolled: 1-line block ×3, first 2 shown]
	ds_load_2addr_b64 v[74:77], v53 offset1:32
	ds_load_2addr_b64 v[78:81], v53 offset0:64 offset1:96
	ds_load_2addr_b64 v[82:85], v53 offset0:128 offset1:160
	;; [unrolled: 1-line block ×3, first 2 shown]
	s_waitcnt lgkmcnt(0)
	s_barrier
	buffer_gl0_inv
	s_clause 0x3
	global_load_b128 v[98:101], v[118:119], off
	global_load_b128 v[102:105], v[25:26], off
	global_load_b128 v[106:109], v[114:115], off
	global_load_b128 v[110:113], v[116:117], off
	v_pk_fma_f16 v25, v90, v57, v27 op_sel_hi:[1,0,1]
	v_pk_fma_f16 v26, v91, v57, v54 op_sel_hi:[1,0,1]
	;; [unrolled: 1-line block ×4, first 2 shown]
	s_waitcnt vmcnt(3)
	ds_store_b128 v45, v[98:101]
	s_waitcnt vmcnt(2)
	ds_store_b128 v47, v[102:105]
	;; [unrolled: 2-line block ×4, first 2 shown]
	v_pk_fma_f16 v25, v94, v57, v25 op_sel:[0,1,0]
	v_pk_fma_f16 v26, v95, v57, v26 op_sel:[0,1,0]
	;; [unrolled: 1-line block ×4, first 2 shown]
	s_waitcnt lgkmcnt(0)
	v_pk_fma_f16 v21, v21, v58, v25 op_sel_hi:[1,0,1]
	v_pk_fma_f16 v22, v22, v58, v26 op_sel_hi:[1,0,1]
	;; [unrolled: 1-line block ×4, first 2 shown]
	s_barrier
	v_pk_fma_f16 v21, v62, v58, v21 op_sel:[0,1,0]
	v_pk_fma_f16 v22, v63, v58, v22 op_sel:[0,1,0]
	;; [unrolled: 1-line block ×4, first 2 shown]
	buffer_gl0_inv
	v_pk_fma_f16 v21, v66, v59, v21 op_sel_hi:[1,0,1]
	v_pk_fma_f16 v22, v67, v59, v22 op_sel_hi:[1,0,1]
	;; [unrolled: 1-line block ×4, first 2 shown]
	s_delay_alu instid0(VALU_DEP_4) | instskip(NEXT) | instid1(VALU_DEP_4)
	v_pk_fma_f16 v21, v70, v59, v21 op_sel:[0,1,0]
	v_pk_fma_f16 v22, v71, v59, v22 op_sel:[0,1,0]
	s_delay_alu instid0(VALU_DEP_4) | instskip(NEXT) | instid1(VALU_DEP_4)
	v_pk_fma_f16 v23, v72, v59, v23 op_sel:[0,1,0]
	v_pk_fma_f16 v24, v73, v59, v24 op_sel:[0,1,0]
	s_delay_alu instid0(VALU_DEP_4) | instskip(NEXT) | instid1(VALU_DEP_4)
	v_pk_fma_f16 v21, v74, v60, v21 op_sel_hi:[1,0,1]
	v_pk_fma_f16 v22, v75, v60, v22 op_sel_hi:[1,0,1]
	s_delay_alu instid0(VALU_DEP_4) | instskip(NEXT) | instid1(VALU_DEP_4)
	v_pk_fma_f16 v23, v76, v60, v23 op_sel_hi:[1,0,1]
	v_pk_fma_f16 v24, v77, v60, v24 op_sel_hi:[1,0,1]
	s_delay_alu instid0(VALU_DEP_4) | instskip(NEXT) | instid1(VALU_DEP_4)
	v_pk_fma_f16 v21, v78, v60, v21 op_sel:[0,1,0]
	v_pk_fma_f16 v22, v79, v60, v22 op_sel:[0,1,0]
	s_delay_alu instid0(VALU_DEP_4) | instskip(NEXT) | instid1(VALU_DEP_4)
	v_pk_fma_f16 v23, v80, v60, v23 op_sel:[0,1,0]
	v_pk_fma_f16 v24, v81, v60, v24 op_sel:[0,1,0]
	s_delay_alu instid0(VALU_DEP_4) | instskip(NEXT) | instid1(VALU_DEP_4)
	v_pk_fma_f16 v21, v82, v61, v21 op_sel_hi:[1,0,1]
	v_pk_fma_f16 v22, v83, v61, v22 op_sel_hi:[1,0,1]
	s_delay_alu instid0(VALU_DEP_4) | instskip(NEXT) | instid1(VALU_DEP_4)
	v_pk_fma_f16 v23, v84, v61, v23 op_sel_hi:[1,0,1]
	v_pk_fma_f16 v24, v85, v61, v24 op_sel_hi:[1,0,1]
	s_delay_alu instid0(VALU_DEP_4) | instskip(NEXT) | instid1(VALU_DEP_4)
	v_pk_fma_f16 v25, v86, v61, v21 op_sel:[0,1,0]
	v_pk_fma_f16 v26, v87, v61, v22 op_sel:[0,1,0]
	s_delay_alu instid0(VALU_DEP_4) | instskip(NEXT) | instid1(VALU_DEP_4)
	v_pk_fma_f16 v27, v88, v61, v23 op_sel:[0,1,0]
	v_pk_fma_f16 v54, v89, v61, v24 op_sel:[0,1,0]
	ds_load_2addr_b64 v[21:24], v50 offset1:32
	ds_load_b128 v[55:58], v44 offset:48
	ds_load_2addr_b64 v[59:62], v50 offset0:64 offset1:96
	ds_load_2addr_b64 v[63:66], v50 offset0:128 offset1:160
	;; [unrolled: 1-line block ×3, first 2 shown]
	ds_load_2addr_b64 v[71:74], v53 offset1:32
	ds_load_2addr_b64 v[75:78], v53 offset0:64 offset1:96
	ds_load_2addr_b64 v[79:82], v53 offset0:128 offset1:160
	;; [unrolled: 1-line block ×3, first 2 shown]
	s_waitcnt lgkmcnt(0)
	s_barrier
	buffer_gl0_inv
	s_load_b32 s2, s[8:9], 0x4
	v_pk_fma_f16 v21, v21, v55, v25 op_sel_hi:[1,0,1]
	v_pk_fma_f16 v22, v22, v55, v26 op_sel_hi:[1,0,1]
	;; [unrolled: 1-line block ×4, first 2 shown]
	s_delay_alu instid0(VALU_DEP_4) | instskip(NEXT) | instid1(VALU_DEP_4)
	v_pk_fma_f16 v21, v59, v55, v21 op_sel:[0,1,0]
	v_pk_fma_f16 v22, v60, v55, v22 op_sel:[0,1,0]
	s_delay_alu instid0(VALU_DEP_4) | instskip(NEXT) | instid1(VALU_DEP_4)
	v_pk_fma_f16 v23, v61, v55, v23 op_sel:[0,1,0]
	v_pk_fma_f16 v24, v62, v55, v24 op_sel:[0,1,0]
	s_delay_alu instid0(VALU_DEP_4) | instskip(NEXT) | instid1(VALU_DEP_4)
	v_pk_fma_f16 v21, v63, v56, v21 op_sel_hi:[1,0,1]
	v_pk_fma_f16 v22, v64, v56, v22 op_sel_hi:[1,0,1]
	s_delay_alu instid0(VALU_DEP_4) | instskip(NEXT) | instid1(VALU_DEP_4)
	v_pk_fma_f16 v23, v65, v56, v23 op_sel_hi:[1,0,1]
	v_pk_fma_f16 v24, v66, v56, v24 op_sel_hi:[1,0,1]
	s_waitcnt lgkmcnt(0)
	s_lshl_b32 s2, s2, 5
	v_pk_fma_f16 v21, v67, v56, v21 op_sel:[0,1,0]
	v_pk_fma_f16 v22, v68, v56, v22 op_sel:[0,1,0]
	;; [unrolled: 1-line block ×4, first 2 shown]
	s_add_i32 s5, s2, s5
	v_pk_fma_f16 v21, v71, v57, v21 op_sel_hi:[1,0,1]
	v_pk_fma_f16 v22, v72, v57, v22 op_sel_hi:[1,0,1]
	;; [unrolled: 1-line block ×4, first 2 shown]
	s_cmp_lt_i32 s5, s34
	v_pk_fma_f16 v20, v75, v57, v21 op_sel:[0,1,0]
	v_pk_fma_f16 v21, v76, v57, v22 op_sel:[0,1,0]
	;; [unrolled: 1-line block ×4, first 2 shown]
	s_delay_alu instid0(VALU_DEP_4) | instskip(NEXT) | instid1(VALU_DEP_4)
	v_pk_fma_f16 v20, v79, v58, v20 op_sel_hi:[1,0,1]
	v_pk_fma_f16 v21, v80, v58, v21 op_sel_hi:[1,0,1]
	s_delay_alu instid0(VALU_DEP_4) | instskip(NEXT) | instid1(VALU_DEP_4)
	v_pk_fma_f16 v22, v81, v58, v22 op_sel_hi:[1,0,1]
	v_pk_fma_f16 v23, v82, v58, v23 op_sel_hi:[1,0,1]
	s_delay_alu instid0(VALU_DEP_4) | instskip(NEXT) | instid1(VALU_DEP_4)
	v_pk_fma_f16 v56, v83, v58, v20 op_sel:[0,1,0]
	v_pk_fma_f16 v57, v84, v58, v21 op_sel:[0,1,0]
	s_delay_alu instid0(VALU_DEP_4) | instskip(NEXT) | instid1(VALU_DEP_4)
	v_pk_fma_f16 v55, v85, v58, v22 op_sel:[0,1,0]
	v_pk_fma_f16 v54, v86, v58, v23 op_sel:[0,1,0]
	s_cbranch_scc1 .LBB39_9
; %bb.10:
	v_mov_b32_e32 v6, v30
.LBB39_11:
	v_cmp_lt_i32_e32 vcc_lo, v36, v31
	s_cmp_eq_u64 s[24:25], 0
	s_cselect_b32 s2, -1, 0
	s_cmp_lg_u32 s14, 0
	v_cndmask_b32_e32 v3, v6, v36, vcc_lo
	v_cmp_lt_i32_e32 vcc_lo, v35, v31
	s_cselect_b32 s3, -1, 0
	s_delay_alu instid0(SALU_CYCLE_1) | instskip(NEXT) | instid1(VALU_DEP_2)
	s_or_b32 s2, s3, s2
	v_lshlrev_b32_e32 v3, 2, v3
	v_cndmask_b32_e32 v4, v6, v35, vcc_lo
	v_cmp_lt_i32_e32 vcc_lo, v34, v31
	ds_bpermute_b32 v3, v3, v41
	v_cndmask_b32_e32 v5, v6, v34, vcc_lo
	v_cmp_lt_i32_e32 vcc_lo, v33, v31
	s_delay_alu instid0(VALU_DEP_2)
	v_lshlrev_b32_e32 v5, 2, v5
	s_waitcnt lgkmcnt(0)
	v_dual_add_f32 v3, v41, v3 :: v_dual_lshlrev_b32 v4, 2, v4
	ds_bpermute_b32 v4, v4, v3
	s_waitcnt lgkmcnt(0)
	v_add_f32_e32 v3, v3, v4
	ds_bpermute_b32 v4, v5, v3
	v_cndmask_b32_e32 v5, v6, v33, vcc_lo
	v_cmp_lt_i32_e32 vcc_lo, v32, v31
	s_delay_alu instid0(VALU_DEP_2)
	v_lshlrev_b32_e32 v5, 2, v5
	s_waitcnt lgkmcnt(0)
	v_add_f32_e32 v3, v3, v4
	ds_bpermute_b32 v4, v5, v3
	v_cndmask_b32_e32 v5, v6, v32, vcc_lo
	s_and_b32 vcc_lo, exec_lo, s2
	s_delay_alu instid0(VALU_DEP_1)
	v_lshlrev_b32_e32 v5, 2, v5
	s_waitcnt lgkmcnt(0)
	v_dual_add_f32 v3, v3, v4 :: v_dual_add_nc_u32 v4, s15, v29
	ds_bpermute_b32 v5, v5, v3
	s_waitcnt lgkmcnt(0)
	v_add_f32_e32 v3, v3, v5
	s_cbranch_vccnz .LBB39_13
; %bb.12:
	v_ashrrev_i32_e32 v5, 31, v4
	s_delay_alu instid0(VALU_DEP_1) | instskip(NEXT) | instid1(VALU_DEP_1)
	v_lshlrev_b64 v[5:6], 2, v[4:5]
	v_add_co_u32 v5, vcc_lo, s24, v5
	s_delay_alu instid0(VALU_DEP_2) | instskip(SKIP_3) | instid1(VALU_DEP_1)
	v_add_co_ci_u32_e32 v6, vcc_lo, s25, v6, vcc_lo
	global_load_b32 v5, v[5:6], off
	s_waitcnt vmcnt(0)
	v_dual_max_f32 v6, v2, v2 :: v_dual_max_f32 v7, v5, v5
	v_max_f32_e32 v6, v6, v7
	s_delay_alu instid0(VALU_DEP_1) | instskip(NEXT) | instid1(VALU_DEP_1)
	v_sub_f32_e32 v2, v2, v6
	v_mul_f32_e32 v7, 0x3fb8aa3b, v2
	v_sub_f32_e32 v5, v5, v6
	s_delay_alu instid0(VALU_DEP_2) | instskip(NEXT) | instid1(VALU_DEP_2)
	v_rndne_f32_e32 v10, v7
	v_mul_f32_e32 v8, 0x3fb8aa3b, v5
	s_delay_alu instid0(VALU_DEP_1) | instskip(SKIP_1) | instid1(VALU_DEP_1)
	v_fma_f32 v11, 0x3fb8aa3b, v5, -v8
	v_rndne_f32_e32 v12, v8
	v_dual_sub_f32 v8, v8, v12 :: v_dual_fmac_f32 v11, 0x32a5705f, v5
	v_fma_f32 v9, 0x3fb8aa3b, v2, -v7
	v_sub_f32_e32 v7, v7, v10
	v_cmp_ngt_f32_e32 vcc_lo, 0xc2ce8ed0, v2
	s_delay_alu instid0(VALU_DEP_3) | instskip(NEXT) | instid1(VALU_DEP_1)
	v_dual_add_f32 v8, v8, v11 :: v_dual_fmac_f32 v9, 0x32a5705f, v2
	v_exp_f32_e32 v8, v8
	s_delay_alu instid0(VALU_DEP_1) | instskip(SKIP_2) | instid1(VALU_DEP_3)
	v_add_f32_e32 v7, v7, v9
	v_cvt_i32_f32_e32 v9, v10
	v_cvt_i32_f32_e32 v10, v12
	v_exp_f32_e32 v7, v7
	s_waitcnt_depctr 0xfff
	v_ldexp_f32 v8, v8, v10
	v_ldexp_f32 v7, v7, v9
	s_delay_alu instid0(VALU_DEP_1) | instskip(SKIP_1) | instid1(VALU_DEP_4)
	v_cndmask_b32_e32 v7, 0, v7, vcc_lo
	v_cmp_ngt_f32_e32 vcc_lo, 0xc2ce8ed0, v5
	v_cndmask_b32_e32 v8, 0, v8, vcc_lo
	v_cmp_nlt_f32_e32 vcc_lo, 0x42b17218, v2
	s_delay_alu instid0(VALU_DEP_4) | instskip(SKIP_1) | instid1(VALU_DEP_4)
	v_cndmask_b32_e32 v2, 0x7f800000, v7, vcc_lo
	v_cmp_nlt_f32_e32 vcc_lo, 0x42b17218, v5
	v_cndmask_b32_e32 v5, 0x7f800000, v8, vcc_lo
	s_delay_alu instid0(VALU_DEP_1) | instskip(NEXT) | instid1(VALU_DEP_1)
	v_fmac_f32_e32 v5, v3, v2
	v_mov_b32_e32 v3, v5
	v_cvt_f16_f32_e32 v7, v2
	v_mov_b32_e32 v2, v6
	s_delay_alu instid0(VALU_DEP_2)
	v_pk_mul_f16 v56, v7, v56 op_sel_hi:[0,1]
	v_pk_mul_f16 v57, v7, v57 op_sel_hi:[0,1]
	v_pk_mul_f16 v55, v7, v55 op_sel_hi:[0,1]
	v_pk_mul_f16 v54, v7, v54 op_sel_hi:[0,1]
.LBB39_13:
	s_delay_alu instid0(VALU_DEP_1) | instskip(SKIP_2) | instid1(VALU_DEP_2)
	v_div_scale_f32 v8, null, v3, v3, 1.0
	s_load_b32 s1, s[0:1], 0xd4
	v_mad_u64_u32 v[5:6], null, s12, s6, v[1:2]
	v_rcp_f32_e32 v9, v8
	v_div_scale_f32 v10, vcc_lo, 1.0, v3, 1.0
	v_cvt_f32_f16_e32 v15, v56
	v_cmp_eq_u32_e64 s0, 0, v0
	v_lshrrev_b32_e32 v11, 16, v56
	v_mad_u64_u32 v[6:7], null, v5, s7, v[4:5]
	v_cvt_f32_f16_e32 v7, v57
	v_lshrrev_b32_e32 v13, 16, v54
	s_delay_alu instid0(TRANS32_DEP_1)
	v_fma_f32 v1, -v8, v9, 1.0
	v_lshrrev_b32_e32 v14, 16, v55
	v_cvt_f32_f16_e32 v11, v11
	v_cvt_f32_f16_e32 v16, v54
	;; [unrolled: 1-line block ×3, first 2 shown]
	v_fmac_f32_e32 v9, v1, v9
	v_lshrrev_b32_e32 v1, 16, v57
	s_waitcnt lgkmcnt(0)
	v_mad_u64_u32 v[4:5], null, s1, v6, s[14:15]
	v_mov_b32_e32 v6, 0
	v_mul_f32_e32 v12, v10, v9
	s_cmp_lg_u32 s1, 1
	v_cvt_f32_f16_e32 v18, v1
	s_cselect_b32 s1, -1, 0
	s_delay_alu instid0(SALU_CYCLE_1) | instskip(SKIP_1) | instid1(VALU_DEP_1)
	s_and_b32 s0, s0, s1
	v_fma_f32 v5, -v8, v12, v10
	v_fmac_f32_e32 v12, v5, v9
	v_lshl_add_u32 v5, v4, 8, v28
	s_delay_alu instid0(VALU_DEP_2) | instskip(NEXT) | instid1(VALU_DEP_2)
	v_fma_f32 v8, -v8, v12, v10
	v_lshlrev_b64 v[0:1], 2, v[5:6]
	v_cvt_f32_f16_e32 v10, v14
	s_delay_alu instid0(VALU_DEP_3) | instskip(SKIP_1) | instid1(VALU_DEP_4)
	v_div_fmas_f32 v8, v8, v9, v12
	v_cvt_f32_f16_e32 v9, v13
	v_add_co_u32 v0, vcc_lo, s28, v0
	v_add_co_ci_u32_e32 v1, vcc_lo, s29, v1, vcc_lo
	s_delay_alu instid0(VALU_DEP_4) | instskip(NEXT) | instid1(VALU_DEP_1)
	v_div_fixup_f32 v8, v8, v3, 1.0
	v_cndmask_b32_e64 v19, v8, 1.0, s1
	s_delay_alu instid0(VALU_DEP_1) | instskip(NEXT) | instid1(VALU_DEP_1)
	v_dual_mul_f32 v8, v19, v18 :: v_dual_add_nc_u32 v5, 0x80, v5
	v_lshlrev_b64 v[5:6], 2, v[5:6]
	v_mul_f32_e32 v7, v19, v7
	v_mul_f32_e32 v12, v19, v9
	;; [unrolled: 1-line block ×4, first 2 shown]
	v_add_co_u32 v13, vcc_lo, s28, v5
	v_add_co_ci_u32_e32 v14, vcc_lo, s29, v6, vcc_lo
	v_mul_f32_e32 v6, v19, v11
	v_mul_f32_e32 v5, v19, v15
	;; [unrolled: 1-line block ×3, first 2 shown]
	s_clause 0x1
	global_store_b128 v[0:1], v[5:8], off
	global_store_b128 v[13:14], v[9:12], off
	s_and_saveexec_b32 s1, s0
	s_cbranch_execz .LBB39_15
; %bb.14:
	v_ashrrev_i32_e32 v5, 31, v4
	s_delay_alu instid0(VALU_DEP_1) | instskip(NEXT) | instid1(VALU_DEP_1)
	v_lshlrev_b64 v[0:1], 3, v[4:5]
	v_add_co_u32 v0, vcc_lo, s30, v0
	s_delay_alu instid0(VALU_DEP_2)
	v_add_co_ci_u32_e32 v1, vcc_lo, s31, v1, vcc_lo
	global_store_b64 v[0:1], v[2:3], off
.LBB39_15:
	s_nop 0
	s_sendmsg sendmsg(MSG_DEALLOC_VGPRS)
	s_endpgm
	.section	.rodata,"a",@progbits
	.p2align	6, 0x0
	.amdhsa_kernel _ZL15flash_attn_tileILi256ELi256ELi1ELi2ELb0EEvPKcS1_S1_S1_S1_PKiPfP15HIP_vector_typeIfLj2EEffffjfiS5_IjLj3EEiiiiiiiiiiiliiliiiiil
		.amdhsa_group_segment_fixed_size 5760
		.amdhsa_private_segment_fixed_size 0
		.amdhsa_kernarg_size 464
		.amdhsa_user_sgpr_count 13
		.amdhsa_user_sgpr_dispatch_ptr 0
		.amdhsa_user_sgpr_queue_ptr 0
		.amdhsa_user_sgpr_kernarg_segment_ptr 1
		.amdhsa_user_sgpr_dispatch_id 0
		.amdhsa_user_sgpr_private_segment_size 0
		.amdhsa_wavefront_size32 1
		.amdhsa_uses_dynamic_stack 0
		.amdhsa_enable_private_segment 0
		.amdhsa_system_sgpr_workgroup_id_x 1
		.amdhsa_system_sgpr_workgroup_id_y 1
		.amdhsa_system_sgpr_workgroup_id_z 1
		.amdhsa_system_sgpr_workgroup_info 0
		.amdhsa_system_vgpr_workitem_id 1
		.amdhsa_next_free_vgpr 121
		.amdhsa_next_free_sgpr 40
		.amdhsa_reserve_vcc 1
		.amdhsa_float_round_mode_32 0
		.amdhsa_float_round_mode_16_64 0
		.amdhsa_float_denorm_mode_32 3
		.amdhsa_float_denorm_mode_16_64 3
		.amdhsa_dx10_clamp 1
		.amdhsa_ieee_mode 1
		.amdhsa_fp16_overflow 0
		.amdhsa_workgroup_processor_mode 1
		.amdhsa_memory_ordered 1
		.amdhsa_forward_progress 0
		.amdhsa_shared_vgpr_count 0
		.amdhsa_exception_fp_ieee_invalid_op 0
		.amdhsa_exception_fp_denorm_src 0
		.amdhsa_exception_fp_ieee_div_zero 0
		.amdhsa_exception_fp_ieee_overflow 0
		.amdhsa_exception_fp_ieee_underflow 0
		.amdhsa_exception_fp_ieee_inexact 0
		.amdhsa_exception_int_div_zero 0
	.end_amdhsa_kernel
	.section	.text._ZL15flash_attn_tileILi256ELi256ELi1ELi2ELb0EEvPKcS1_S1_S1_S1_PKiPfP15HIP_vector_typeIfLj2EEffffjfiS5_IjLj3EEiiiiiiiiiiiliiliiiiil,"axG",@progbits,_ZL15flash_attn_tileILi256ELi256ELi1ELi2ELb0EEvPKcS1_S1_S1_S1_PKiPfP15HIP_vector_typeIfLj2EEffffjfiS5_IjLj3EEiiiiiiiiiiiliiliiiiil,comdat
.Lfunc_end39:
	.size	_ZL15flash_attn_tileILi256ELi256ELi1ELi2ELb0EEvPKcS1_S1_S1_S1_PKiPfP15HIP_vector_typeIfLj2EEffffjfiS5_IjLj3EEiiiiiiiiiiiliiliiiiil, .Lfunc_end39-_ZL15flash_attn_tileILi256ELi256ELi1ELi2ELb0EEvPKcS1_S1_S1_S1_PKiPfP15HIP_vector_typeIfLj2EEffffjfiS5_IjLj3EEiiiiiiiiiiiliiliiiiil
                                        ; -- End function
	.section	.AMDGPU.csdata,"",@progbits
; Kernel info:
; codeLenInByte = 9496
; NumSgprs: 42
; NumVgprs: 121
; ScratchSize: 0
; MemoryBound: 0
; FloatMode: 240
; IeeeMode: 1
; LDSByteSize: 5760 bytes/workgroup (compile time only)
; SGPRBlocks: 5
; VGPRBlocks: 15
; NumSGPRsForWavesPerEU: 42
; NumVGPRsForWavesPerEU: 121
; Occupancy: 10
; WaveLimiterHint : 1
; COMPUTE_PGM_RSRC2:SCRATCH_EN: 0
; COMPUTE_PGM_RSRC2:USER_SGPR: 13
; COMPUTE_PGM_RSRC2:TRAP_HANDLER: 0
; COMPUTE_PGM_RSRC2:TGID_X_EN: 1
; COMPUTE_PGM_RSRC2:TGID_Y_EN: 1
; COMPUTE_PGM_RSRC2:TGID_Z_EN: 1
; COMPUTE_PGM_RSRC2:TIDIG_COMP_CNT: 1
	.section	.text._ZL33flash_attn_stream_k_fixup_uniformILi256ELi1ELi2EEvPfPK15HIP_vector_typeIfLj2EEiiiiiiS1_IjLj3EES5_S5_,"axG",@progbits,_ZL33flash_attn_stream_k_fixup_uniformILi256ELi1ELi2EEvPfPK15HIP_vector_typeIfLj2EEiiiiiiS1_IjLj3EES5_S5_,comdat
	.globl	_ZL33flash_attn_stream_k_fixup_uniformILi256ELi1ELi2EEvPfPK15HIP_vector_typeIfLj2EEiiiiiiS1_IjLj3EES5_S5_ ; -- Begin function _ZL33flash_attn_stream_k_fixup_uniformILi256ELi1ELi2EEvPfPK15HIP_vector_typeIfLj2EEiiiiiiS1_IjLj3EES5_S5_
	.p2align	8
	.type	_ZL33flash_attn_stream_k_fixup_uniformILi256ELi1ELi2EEvPfPK15HIP_vector_typeIfLj2EEiiiiiiS1_IjLj3EES5_S5_,@function
_ZL33flash_attn_stream_k_fixup_uniformILi256ELi1ELi2EEvPfPK15HIP_vector_typeIfLj2EEiiiiiiS1_IjLj3EES5_S5_: ; @_ZL33flash_attn_stream_k_fixup_uniformILi256ELi1ELi2EEvPfPK15HIP_vector_typeIfLj2EEiiiiiiS1_IjLj3EES5_S5_
; %bb.0:
	s_clause 0x1
	s_load_b256 s[4:11], s[0:1], 0x1c
	s_load_b128 s[16:19], s[0:1], 0x3c
	s_waitcnt lgkmcnt(0)
	s_mul_hi_u32 s2, s7, s13
	s_delay_alu instid0(SALU_CYCLE_1) | instskip(NEXT) | instid1(SALU_CYCLE_1)
	s_add_i32 s2, s13, s2
	s_lshr_b32 s7, s2, s8
	s_delay_alu instid0(SALU_CYCLE_1) | instskip(SKIP_2) | instid1(SALU_CYCLE_1)
	s_mul_i32 s2, s7, s9
	s_load_b64 s[8:9], s[0:1], 0x10
	s_sub_i32 s2, s13, s2
	s_mul_hi_u32 s3, s2, s10
	s_delay_alu instid0(SALU_CYCLE_1) | instskip(NEXT) | instid1(SALU_CYCLE_1)
	s_add_i32 s3, s2, s3
	s_lshr_b32 s10, s3, s11
	s_delay_alu instid0(SALU_CYCLE_1) | instskip(NEXT) | instid1(SALU_CYCLE_1)
	s_mul_i32 s3, s10, s16
	s_sub_i32 s2, s2, s3
	s_delay_alu instid0(SALU_CYCLE_1) | instskip(NEXT) | instid1(SALU_CYCLE_1)
	s_mul_hi_u32 s3, s2, s17
	s_add_i32 s3, s2, s3
	s_delay_alu instid0(SALU_CYCLE_1) | instskip(NEXT) | instid1(SALU_CYCLE_1)
	s_lshr_b32 s3, s3, s18
	s_mul_i32 s11, s3, s19
	s_lshl_b32 s12, s3, 1
	s_sub_i32 s11, s2, s11
	s_delay_alu instid0(SALU_CYCLE_1) | instskip(SKIP_4) | instid1(SALU_CYCLE_1)
	s_add_i32 s11, s11, s14
	s_waitcnt lgkmcnt(0)
	s_cmp_lt_i32 s11, s8
	s_cselect_b32 s2, -1, 0
	s_add_i32 s12, s12, s15
	s_cmp_lt_i32 s12, s5
	s_cselect_b32 s3, -1, 0
	s_delay_alu instid0(SALU_CYCLE_1) | instskip(NEXT) | instid1(SALU_CYCLE_1)
	s_and_b32 s2, s2, s3
	s_and_not1_b32 vcc_lo, exec_lo, s2
	s_cbranch_vccnz .LBB40_6
; %bb.1:
	s_mul_i32 s7, s7, s8
	s_mul_i32 s10, s10, s5
	s_add_i32 s5, s11, s7
	s_load_b128 s[0:3], s[0:1], 0x0
	s_add_i32 s7, s12, s10
	s_mul_i32 s5, s5, s9
	s_delay_alu instid0(SALU_CYCLE_1) | instskip(SKIP_3) | instid1(VALU_DEP_1)
	s_add_i32 s7, s7, s5
	s_mul_i32 s5, s13, s6
	v_lshl_or_b32 v1, s7, 8, v0
	s_add_i32 s9, s5, s6
	v_ashrrev_i32_e32 v2, 31, v1
	s_delay_alu instid0(VALU_DEP_1) | instskip(SKIP_1) | instid1(VALU_DEP_1)
	v_lshlrev_b64 v[1:2], 2, v[1:2]
	s_waitcnt lgkmcnt(0)
	v_add_co_u32 v1, vcc_lo, s0, v1
	s_delay_alu instid0(VALU_DEP_2) | instskip(SKIP_1) | instid1(SALU_CYCLE_1)
	v_add_co_ci_u32_e32 v2, vcc_lo, s1, v2, vcc_lo
	s_add_i32 s0, s14, s9
	s_lshl_b32 s0, s0, 1
	global_load_b32 v5, v[1:2], off
	s_add_i32 s0, s0, s15
	s_delay_alu instid0(SALU_CYCLE_1) | instskip(NEXT) | instid1(SALU_CYCLE_1)
	s_add_i32 s0, s0, -2
	s_ashr_i32 s1, s0, 31
	s_delay_alu instid0(SALU_CYCLE_1) | instskip(NEXT) | instid1(SALU_CYCLE_1)
	s_lshl_b64 s[0:1], s[0:1], 3
	s_add_u32 s0, s2, s0
	s_addc_u32 s1, s3, s1
	s_add_i32 s7, s9, -2
	s_load_b32 s10, s[0:1], 0x4
	s_cmp_lt_i32 s7, s5
	s_cbranch_scc1 .LBB40_4
; %bb.2:
	s_lshl_b32 s16, s4, 3
	s_load_b32 s11, s[0:1], 0x0
	s_ashr_i32 s17, s16, 31
	s_delay_alu instid0(SALU_CYCLE_1) | instskip(NEXT) | instid1(SALU_CYCLE_1)
	s_lshl_b64 s[0:1], s[16:17], 2
	s_add_u32 s7, s2, s0
	s_addc_u32 s8, s3, s1
	s_add_i32 s13, s13, 1
	s_lshl_b32 s0, s15, 8
	s_lshl_b32 s1, s14, 9
	s_mul_i32 s6, s6, s13
	s_add_i32 s0, s0, s1
	s_lshl_b32 s1, s6, 9
	s_delay_alu instid0(SALU_CYCLE_1)
	s_add_i32 s0, s0, s1
	s_add_i32 s1, s14, s4
	v_or_b32_e32 v0, s0, v0
	s_add_i32 s1, s1, s9
	s_waitcnt lgkmcnt(0)
	v_mov_b32_e32 v6, s10
	s_lshl_b32 s0, s1, 1
	s_add_i32 s4, s9, -1
	v_dual_mov_b32 v0, s11 :: v_dual_add_nc_u32 v3, 0xfffffc00, v0
	s_add_i32 s0, s15, s0
	s_delay_alu instid0(SALU_CYCLE_1)
	s_add_i32 s0, s0, -4
.LBB40_3:                               ; =>This Inner Loop Header: Depth=1
	s_delay_alu instid0(VALU_DEP_1) | instskip(SKIP_1) | instid1(SALU_CYCLE_1)
	v_ashrrev_i32_e32 v4, 31, v3
	s_ashr_i32 s1, s0, 31
	s_lshl_b64 s[10:11], s[0:1], 3
	s_delay_alu instid0(SALU_CYCLE_1) | instskip(NEXT) | instid1(VALU_DEP_1)
	s_add_u32 s10, s2, s10
	v_lshlrev_b64 v[7:8], 2, v[3:4]
	s_addc_u32 s11, s3, s11
	s_add_i32 s4, s4, -1
	s_add_i32 s0, s0, -2
	s_cmp_le_i32 s4, s5
	s_load_b64 s[10:11], s[10:11], 0x0
	v_add_co_u32 v7, vcc_lo, s7, v7
	v_add_co_ci_u32_e32 v8, vcc_lo, s8, v8, vcc_lo
	global_load_b32 v4, v[7:8], off
	v_max_f32_e32 v7, v0, v0
	s_waitcnt lgkmcnt(0)
	v_max_f32_e64 v8, s10, s10
	s_delay_alu instid0(VALU_DEP_1) | instskip(NEXT) | instid1(VALU_DEP_1)
	v_max_f32_e32 v7, v7, v8
	v_sub_f32_e32 v8, s10, v7
	s_delay_alu instid0(VALU_DEP_1) | instskip(NEXT) | instid1(VALU_DEP_1)
	v_dual_sub_f32 v0, v0, v7 :: v_dual_mul_f32 v9, 0x3fb8aa3b, v8
	v_fma_f32 v10, 0x3fb8aa3b, v8, -v9
	v_rndne_f32_e32 v11, v9
	s_delay_alu instid0(VALU_DEP_3) | instskip(NEXT) | instid1(VALU_DEP_2)
	v_mul_f32_e32 v12, 0x3fb8aa3b, v0
	v_dual_fmac_f32 v10, 0x32a5705f, v8 :: v_dual_sub_f32 v9, v9, v11
	v_cvt_i32_f32_e32 v11, v11
	s_delay_alu instid0(VALU_DEP_3) | instskip(SKIP_1) | instid1(VALU_DEP_4)
	v_fma_f32 v13, 0x3fb8aa3b, v0, -v12
	v_rndne_f32_e32 v14, v12
	v_add_f32_e32 v9, v9, v10
	v_cmp_ngt_f32_e32 vcc_lo, 0xc2ce8ed0, v8
	s_delay_alu instid0(VALU_DEP_3) | instskip(NEXT) | instid1(VALU_DEP_3)
	v_sub_f32_e32 v10, v12, v14
	v_exp_f32_e32 v9, v9
	s_waitcnt_depctr 0xfff
	v_ldexp_f32 v9, v9, v11
	v_cvt_i32_f32_e32 v11, v14
	s_delay_alu instid0(VALU_DEP_2) | instskip(SKIP_1) | instid1(VALU_DEP_2)
	v_cndmask_b32_e32 v9, 0, v9, vcc_lo
	v_cmp_nlt_f32_e32 vcc_lo, 0x42b17218, v8
	v_cndmask_b32_e32 v9, 0x7f800000, v9, vcc_lo
	v_cmp_ngt_f32_e32 vcc_lo, 0xc2ce8ed0, v0
	v_fmac_f32_e32 v13, 0x32a5705f, v0
	s_delay_alu instid0(VALU_DEP_1) | instskip(NEXT) | instid1(VALU_DEP_1)
	v_add_f32_e32 v10, v10, v13
	v_exp_f32_e32 v10, v10
	s_waitcnt_depctr 0xfff
	v_ldexp_f32 v10, v10, v11
	s_delay_alu instid0(VALU_DEP_1)
	v_dual_mov_b32 v11, v6 :: v_dual_cndmask_b32 v10, 0, v10
	v_cmp_le_f32_e32 vcc_lo, 0xc1a00000, v8
	s_waitcnt vmcnt(1)
	v_dual_cndmask_b32 v8, 0, v9 :: v_dual_mov_b32 v9, v5
	v_cmp_nlt_f32_e32 vcc_lo, 0x42b17218, v0
	v_cndmask_b32_e32 v5, 0x7f800000, v10, vcc_lo
	s_delay_alu instid0(VALU_DEP_3) | instskip(SKIP_2) | instid1(VALU_DEP_3)
	v_mul_f32_e32 v10, s11, v8
	v_cmp_le_f32_e32 vcc_lo, 0xc1a00000, v0
	v_mov_b32_e32 v0, v7
	v_mov_b32_e32 v6, v10
	s_waitcnt vmcnt(0)
	v_dual_cndmask_b32 v12, 0, v5 :: v_dual_mul_f32 v5, v4, v8
	s_delay_alu instid0(VALU_DEP_1) | instskip(NEXT) | instid1(VALU_DEP_2)
	v_dual_fmac_f32 v6, v11, v12 :: v_dual_add_nc_u32 v3, 0xfffffe00, v3
	v_fmac_f32_e32 v5, v9, v12
	s_cbranch_scc0 .LBB40_3
	s_branch .LBB40_5
.LBB40_4:
	s_waitcnt lgkmcnt(0)
	v_mov_b32_e32 v6, s10
.LBB40_5:
	s_waitcnt vmcnt(0)
	s_delay_alu instid0(VALU_DEP_1) | instskip(NEXT) | instid1(VALU_DEP_1)
	v_div_scale_f32 v0, null, v6, v6, v5
	v_rcp_f32_e32 v3, v0
	s_waitcnt_depctr 0xfff
	v_fma_f32 v4, -v0, v3, 1.0
	s_delay_alu instid0(VALU_DEP_1) | instskip(SKIP_1) | instid1(VALU_DEP_1)
	v_fmac_f32_e32 v3, v4, v3
	v_div_scale_f32 v4, vcc_lo, v5, v6, v5
	v_mul_f32_e32 v7, v4, v3
	s_delay_alu instid0(VALU_DEP_1) | instskip(NEXT) | instid1(VALU_DEP_1)
	v_fma_f32 v8, -v0, v7, v4
	v_fmac_f32_e32 v7, v8, v3
	s_delay_alu instid0(VALU_DEP_1) | instskip(NEXT) | instid1(VALU_DEP_1)
	v_fma_f32 v0, -v0, v7, v4
	v_div_fmas_f32 v0, v0, v3, v7
	s_delay_alu instid0(VALU_DEP_1)
	v_div_fixup_f32 v0, v0, v6, v5
	global_store_b32 v[1:2], v0, off
.LBB40_6:
	s_nop 0
	s_sendmsg sendmsg(MSG_DEALLOC_VGPRS)
	s_endpgm
	.section	.rodata,"a",@progbits
	.p2align	6, 0x0
	.amdhsa_kernel _ZL33flash_attn_stream_k_fixup_uniformILi256ELi1ELi2EEvPfPK15HIP_vector_typeIfLj2EEiiiiiiS1_IjLj3EES5_S5_
		.amdhsa_group_segment_fixed_size 0
		.amdhsa_private_segment_fixed_size 0
		.amdhsa_kernarg_size 76
		.amdhsa_user_sgpr_count 13
		.amdhsa_user_sgpr_dispatch_ptr 0
		.amdhsa_user_sgpr_queue_ptr 0
		.amdhsa_user_sgpr_kernarg_segment_ptr 1
		.amdhsa_user_sgpr_dispatch_id 0
		.amdhsa_user_sgpr_private_segment_size 0
		.amdhsa_wavefront_size32 1
		.amdhsa_uses_dynamic_stack 0
		.amdhsa_enable_private_segment 0
		.amdhsa_system_sgpr_workgroup_id_x 1
		.amdhsa_system_sgpr_workgroup_id_y 1
		.amdhsa_system_sgpr_workgroup_id_z 1
		.amdhsa_system_sgpr_workgroup_info 0
		.amdhsa_system_vgpr_workitem_id 0
		.amdhsa_next_free_vgpr 15
		.amdhsa_next_free_sgpr 20
		.amdhsa_reserve_vcc 1
		.amdhsa_float_round_mode_32 0
		.amdhsa_float_round_mode_16_64 0
		.amdhsa_float_denorm_mode_32 3
		.amdhsa_float_denorm_mode_16_64 3
		.amdhsa_dx10_clamp 1
		.amdhsa_ieee_mode 1
		.amdhsa_fp16_overflow 0
		.amdhsa_workgroup_processor_mode 1
		.amdhsa_memory_ordered 1
		.amdhsa_forward_progress 0
		.amdhsa_shared_vgpr_count 0
		.amdhsa_exception_fp_ieee_invalid_op 0
		.amdhsa_exception_fp_denorm_src 0
		.amdhsa_exception_fp_ieee_div_zero 0
		.amdhsa_exception_fp_ieee_overflow 0
		.amdhsa_exception_fp_ieee_underflow 0
		.amdhsa_exception_fp_ieee_inexact 0
		.amdhsa_exception_int_div_zero 0
	.end_amdhsa_kernel
	.section	.text._ZL33flash_attn_stream_k_fixup_uniformILi256ELi1ELi2EEvPfPK15HIP_vector_typeIfLj2EEiiiiiiS1_IjLj3EES5_S5_,"axG",@progbits,_ZL33flash_attn_stream_k_fixup_uniformILi256ELi1ELi2EEvPfPK15HIP_vector_typeIfLj2EEiiiiiiS1_IjLj3EES5_S5_,comdat
.Lfunc_end40:
	.size	_ZL33flash_attn_stream_k_fixup_uniformILi256ELi1ELi2EEvPfPK15HIP_vector_typeIfLj2EEiiiiiiS1_IjLj3EES5_S5_, .Lfunc_end40-_ZL33flash_attn_stream_k_fixup_uniformILi256ELi1ELi2EEvPfPK15HIP_vector_typeIfLj2EEiiiiiiS1_IjLj3EES5_S5_
                                        ; -- End function
	.section	.AMDGPU.csdata,"",@progbits
; Kernel info:
; codeLenInByte = 968
; NumSgprs: 22
; NumVgprs: 15
; ScratchSize: 0
; MemoryBound: 0
; FloatMode: 240
; IeeeMode: 1
; LDSByteSize: 0 bytes/workgroup (compile time only)
; SGPRBlocks: 2
; VGPRBlocks: 1
; NumSGPRsForWavesPerEU: 22
; NumVGPRsForWavesPerEU: 15
; Occupancy: 16
; WaveLimiterHint : 0
; COMPUTE_PGM_RSRC2:SCRATCH_EN: 0
; COMPUTE_PGM_RSRC2:USER_SGPR: 13
; COMPUTE_PGM_RSRC2:TRAP_HANDLER: 0
; COMPUTE_PGM_RSRC2:TGID_X_EN: 1
; COMPUTE_PGM_RSRC2:TGID_Y_EN: 1
; COMPUTE_PGM_RSRC2:TGID_Z_EN: 1
; COMPUTE_PGM_RSRC2:TIDIG_COMP_CNT: 0
	.section	.text._ZL33flash_attn_stream_k_fixup_generalILi256ELi1ELi2EEvPfPK15HIP_vector_typeIfLj2EEiiiiS1_IjLj3EES5_S5_S5_,"axG",@progbits,_ZL33flash_attn_stream_k_fixup_generalILi256ELi1ELi2EEvPfPK15HIP_vector_typeIfLj2EEiiiiS1_IjLj3EES5_S5_S5_,comdat
	.globl	_ZL33flash_attn_stream_k_fixup_generalILi256ELi1ELi2EEvPfPK15HIP_vector_typeIfLj2EEiiiiS1_IjLj3EES5_S5_S5_ ; -- Begin function _ZL33flash_attn_stream_k_fixup_generalILi256ELi1ELi2EEvPfPK15HIP_vector_typeIfLj2EEiiiiS1_IjLj3EES5_S5_S5_
	.p2align	8
	.type	_ZL33flash_attn_stream_k_fixup_generalILi256ELi1ELi2EEvPfPK15HIP_vector_typeIfLj2EEiiiiS1_IjLj3EES5_S5_S5_,@function
_ZL33flash_attn_stream_k_fixup_generalILi256ELi1ELi2EEvPfPK15HIP_vector_typeIfLj2EEiiiiS1_IjLj3EES5_S5_S5_: ; @_ZL33flash_attn_stream_k_fixup_generalILi256ELi1ELi2EEvPfPK15HIP_vector_typeIfLj2EEiiiiS1_IjLj3EES5_S5_S5_
; %bb.0:
	s_clause 0x1
	s_load_b128 s[4:7], s[0:1], 0x10
	s_load_b32 s20, s[0:1], 0x50
	s_mov_b32 s2, 0
	s_waitcnt lgkmcnt(0)
	s_mul_hi_i32 s3, s7, s13
	s_mul_i32 s12, s7, s13
	s_cmp_lg_u64 s[2:3], 0
	s_cbranch_scc0 .LBB41_21
; %bb.1:
	v_cvt_f32_ubyte0_e32 v1, 0
	v_cvt_f32_u32_e32 v2, s20
	s_sub_u32 s10, 0, s20
	s_subb_u32 s11, 0, 0
	s_delay_alu instid0(VALU_DEP_1) | instskip(NEXT) | instid1(VALU_DEP_1)
	v_fmamk_f32 v1, v1, 0x4f800000, v2
	v_rcp_f32_e32 v1, v1
	s_waitcnt_depctr 0xfff
	v_mul_f32_e32 v1, 0x5f7ffffc, v1
	s_delay_alu instid0(VALU_DEP_1) | instskip(NEXT) | instid1(VALU_DEP_1)
	v_mul_f32_e32 v2, 0x2f800000, v1
	v_trunc_f32_e32 v2, v2
	s_delay_alu instid0(VALU_DEP_1) | instskip(SKIP_1) | instid1(VALU_DEP_2)
	v_fmamk_f32 v1, v2, 0xcf800000, v1
	v_cvt_u32_f32_e32 v2, v2
	v_cvt_u32_f32_e32 v1, v1
	s_delay_alu instid0(VALU_DEP_2) | instskip(NEXT) | instid1(VALU_DEP_2)
	v_readfirstlane_b32 s8, v2
	v_readfirstlane_b32 s9, v1
	s_delay_alu instid0(VALU_DEP_2) | instskip(NEXT) | instid1(VALU_DEP_1)
	s_mul_i32 s16, s10, s8
	s_mul_hi_u32 s18, s10, s9
	s_mul_i32 s17, s11, s9
	s_add_i32 s16, s18, s16
	s_mul_i32 s19, s10, s9
	s_add_i32 s16, s16, s17
	s_mul_hi_u32 s18, s9, s19
	s_mul_hi_u32 s21, s8, s19
	s_mul_i32 s17, s8, s19
	s_mul_hi_u32 s19, s9, s16
	s_mul_i32 s9, s9, s16
	s_mul_hi_u32 s22, s8, s16
	s_add_u32 s9, s18, s9
	s_addc_u32 s18, 0, s19
	s_add_u32 s9, s9, s17
	s_mul_i32 s16, s8, s16
	s_addc_u32 s9, s18, s21
	s_addc_u32 s17, s22, 0
	s_add_u32 s9, s9, s16
	s_addc_u32 s16, 0, s17
	v_add_co_u32 v1, s9, v1, s9
	s_delay_alu instid0(VALU_DEP_1) | instskip(SKIP_1) | instid1(VALU_DEP_1)
	s_cmp_lg_u32 s9, 0
	s_addc_u32 s8, s8, s16
	v_readfirstlane_b32 s9, v1
	s_mul_i32 s16, s10, s8
	s_delay_alu instid0(VALU_DEP_1)
	s_mul_hi_u32 s17, s10, s9
	s_mul_i32 s11, s11, s9
	s_add_i32 s16, s17, s16
	s_mul_i32 s10, s10, s9
	s_add_i32 s16, s16, s11
	s_mul_hi_u32 s17, s8, s10
	s_mul_i32 s18, s8, s10
	s_mul_hi_u32 s10, s9, s10
	s_mul_hi_u32 s19, s9, s16
	s_mul_i32 s9, s9, s16
	s_mul_hi_u32 s11, s8, s16
	s_add_u32 s9, s10, s9
	s_addc_u32 s10, 0, s19
	s_add_u32 s9, s9, s18
	s_mul_i32 s16, s8, s16
	s_addc_u32 s9, s10, s17
	s_addc_u32 s10, s11, 0
	s_add_u32 s9, s9, s16
	s_addc_u32 s10, 0, s10
	v_add_co_u32 v1, s9, v1, s9
	s_delay_alu instid0(VALU_DEP_1) | instskip(SKIP_2) | instid1(SALU_CYCLE_1)
	s_cmp_lg_u32 s9, 0
	s_addc_u32 s16, s8, s10
	s_ashr_i32 s8, s3, 31
	s_add_u32 s10, s12, s8
	s_addc_u32 s11, s3, s8
	v_readfirstlane_b32 s3, v1
	s_mov_b32 s9, s8
	s_delay_alu instid0(SALU_CYCLE_1) | instskip(NEXT) | instid1(SALU_CYCLE_1)
	s_xor_b64 s[10:11], s[10:11], s[8:9]
	s_mul_i32 s18, s10, s16
	s_delay_alu instid0(VALU_DEP_1)
	s_mul_hi_u32 s19, s10, s3
	s_mul_hi_u32 s17, s10, s16
	;; [unrolled: 1-line block ×3, first 2 shown]
	s_mul_i32 s3, s11, s3
	s_add_u32 s18, s19, s18
	s_addc_u32 s17, 0, s17
	s_mul_hi_u32 s21, s11, s16
	s_add_u32 s3, s18, s3
	s_mul_i32 s16, s11, s16
	s_addc_u32 s3, s17, s22
	s_addc_u32 s17, s21, 0
	s_add_u32 s3, s3, s16
	s_addc_u32 s16, 0, s17
	s_mul_i32 s18, s20, s3
	s_add_u32 s17, s3, 1
	v_sub_co_u32 v1, s10, s10, s18
	s_mul_hi_u32 s18, s20, s3
	s_addc_u32 s19, s16, 0
	s_mul_i32 s21, s20, s16
	s_delay_alu instid0(VALU_DEP_1)
	v_sub_co_u32 v2, s22, v1, s20
	s_add_u32 s23, s3, 2
	s_addc_u32 s24, s16, 0
	s_add_i32 s18, s18, s21
	s_cmp_lg_u32 s10, 0
	v_readfirstlane_b32 s10, v2
	s_subb_u32 s11, s11, s18
	s_cmp_lg_u32 s22, 0
	s_subb_u32 s18, s11, 0
	s_delay_alu instid0(VALU_DEP_1) | instskip(SKIP_4) | instid1(SALU_CYCLE_1)
	s_cmp_ge_u32 s10, s20
	s_cselect_b32 s10, -1, 0
	s_cmp_eq_u32 s18, 0
	v_readfirstlane_b32 s18, v1
	s_cselect_b32 s10, s10, -1
	s_cmp_lg_u32 s10, 0
	s_cselect_b32 s10, s23, s17
	s_cselect_b32 s17, s24, s19
	s_cmp_ge_u32 s18, s20
	s_cselect_b32 s18, -1, 0
	s_cmp_eq_u32 s11, 0
	s_cselect_b32 s11, s18, -1
	s_delay_alu instid0(SALU_CYCLE_1) | instskip(SKIP_2) | instid1(SALU_CYCLE_1)
	s_cmp_lg_u32 s11, 0
	s_cselect_b32 s11, s17, s16
	s_cselect_b32 s10, s10, s3
	s_xor_b64 s[10:11], s[10:11], s[8:9]
	s_delay_alu instid0(SALU_CYCLE_1)
	s_sub_u32 s16, s10, s8
	s_load_b128 s[8:11], s[0:1], 0x44
	s_and_not1_b32 vcc_lo, exec_lo, s2
	s_cbranch_vccnz .LBB41_3
.LBB41_2:
	v_cvt_f32_u32_e32 v1, s20
	s_sub_i32 s3, 0, s20
	s_delay_alu instid0(VALU_DEP_1) | instskip(SKIP_2) | instid1(VALU_DEP_1)
	v_rcp_iflag_f32_e32 v1, v1
	s_waitcnt_depctr 0xfff
	v_mul_f32_e32 v1, 0x4f7ffffe, v1
	v_cvt_u32_f32_e32 v1, v1
	s_delay_alu instid0(VALU_DEP_1) | instskip(NEXT) | instid1(VALU_DEP_1)
	v_readfirstlane_b32 s2, v1
	s_mul_i32 s3, s3, s2
	s_delay_alu instid0(SALU_CYCLE_1) | instskip(NEXT) | instid1(SALU_CYCLE_1)
	s_mul_hi_u32 s3, s2, s3
	s_add_i32 s2, s2, s3
	s_delay_alu instid0(SALU_CYCLE_1) | instskip(NEXT) | instid1(SALU_CYCLE_1)
	s_mul_hi_u32 s2, s12, s2
	s_mul_i32 s3, s2, s20
	s_waitcnt lgkmcnt(0)
	s_add_i32 s11, s2, 1
	s_sub_i32 s3, s12, s3
	s_delay_alu instid0(SALU_CYCLE_1)
	s_sub_i32 s12, s3, s20
	s_cmp_ge_u32 s3, s20
	s_cselect_b32 s2, s11, s2
	s_cselect_b32 s3, s12, s3
	s_add_i32 s11, s2, 1
	s_cmp_ge_u32 s3, s20
	s_cselect_b32 s16, s11, s2
.LBB41_3:
	s_waitcnt lgkmcnt(0)
	s_add_i32 s11, s13, 1
	s_mov_b32 s2, 0
	s_mul_hi_i32 s3, s7, s11
	s_mul_i32 s11, s7, s11
	s_cmp_lg_u64 s[2:3], 0
	s_cbranch_scc0 .LBB41_22
; %bb.4:
	v_cvt_f32_ubyte0_e32 v1, 0
	v_cvt_f32_u32_e32 v2, s20
	s_sub_u32 s18, 0, s20
	s_subb_u32 s19, 0, 0
	s_delay_alu instid0(VALU_DEP_1) | instskip(NEXT) | instid1(VALU_DEP_1)
	v_fmamk_f32 v1, v1, 0x4f800000, v2
	v_rcp_f32_e32 v1, v1
	s_waitcnt_depctr 0xfff
	v_mul_f32_e32 v1, 0x5f7ffffc, v1
	s_delay_alu instid0(VALU_DEP_1) | instskip(NEXT) | instid1(VALU_DEP_1)
	v_mul_f32_e32 v2, 0x2f800000, v1
	v_trunc_f32_e32 v2, v2
	s_delay_alu instid0(VALU_DEP_1) | instskip(SKIP_1) | instid1(VALU_DEP_2)
	v_fmamk_f32 v1, v2, 0xcf800000, v1
	v_cvt_u32_f32_e32 v2, v2
	v_cvt_u32_f32_e32 v1, v1
	s_delay_alu instid0(VALU_DEP_2) | instskip(NEXT) | instid1(VALU_DEP_2)
	v_readfirstlane_b32 s12, v2
	v_readfirstlane_b32 s17, v1
	s_delay_alu instid0(VALU_DEP_2) | instskip(NEXT) | instid1(VALU_DEP_1)
	s_mul_i32 s21, s18, s12
	s_mul_hi_u32 s23, s18, s17
	s_mul_i32 s22, s19, s17
	s_add_i32 s21, s23, s21
	s_mul_i32 s24, s18, s17
	s_add_i32 s21, s21, s22
	s_mul_hi_u32 s23, s17, s24
	s_mul_hi_u32 s25, s12, s24
	s_mul_i32 s22, s12, s24
	s_mul_hi_u32 s24, s17, s21
	s_mul_i32 s17, s17, s21
	s_mul_hi_u32 s26, s12, s21
	s_add_u32 s17, s23, s17
	s_addc_u32 s23, 0, s24
	s_add_u32 s17, s17, s22
	s_mul_i32 s21, s12, s21
	s_addc_u32 s17, s23, s25
	s_addc_u32 s22, s26, 0
	s_add_u32 s17, s17, s21
	s_addc_u32 s21, 0, s22
	v_add_co_u32 v1, s17, v1, s17
	s_delay_alu instid0(VALU_DEP_1) | instskip(SKIP_1) | instid1(VALU_DEP_1)
	s_cmp_lg_u32 s17, 0
	s_addc_u32 s12, s12, s21
	v_readfirstlane_b32 s17, v1
	s_mul_i32 s21, s18, s12
	s_delay_alu instid0(VALU_DEP_1)
	s_mul_hi_u32 s22, s18, s17
	s_mul_i32 s19, s19, s17
	s_add_i32 s21, s22, s21
	s_mul_i32 s18, s18, s17
	s_add_i32 s21, s21, s19
	s_mul_hi_u32 s22, s12, s18
	s_mul_i32 s23, s12, s18
	s_mul_hi_u32 s18, s17, s18
	s_mul_hi_u32 s24, s17, s21
	s_mul_i32 s17, s17, s21
	s_mul_hi_u32 s19, s12, s21
	s_add_u32 s17, s18, s17
	s_addc_u32 s18, 0, s24
	s_add_u32 s17, s17, s23
	s_mul_i32 s21, s12, s21
	s_addc_u32 s17, s18, s22
	s_addc_u32 s18, s19, 0
	s_add_u32 s17, s17, s21
	s_addc_u32 s18, 0, s18
	v_add_co_u32 v1, s17, v1, s17
	s_delay_alu instid0(VALU_DEP_1) | instskip(SKIP_2) | instid1(SALU_CYCLE_1)
	s_cmp_lg_u32 s17, 0
	s_addc_u32 s12, s12, s18
	s_ashr_i32 s18, s3, 31
	s_add_u32 s22, s11, s18
	s_addc_u32 s23, s3, s18
	v_readfirstlane_b32 s3, v1
	s_mov_b32 s19, s18
	s_delay_alu instid0(SALU_CYCLE_1) | instskip(NEXT) | instid1(SALU_CYCLE_1)
	s_xor_b64 s[22:23], s[22:23], s[18:19]
	s_mul_i32 s21, s22, s12
	s_delay_alu instid0(VALU_DEP_1)
	s_mul_hi_u32 s24, s22, s3
	s_mul_hi_u32 s17, s22, s12
	;; [unrolled: 1-line block ×3, first 2 shown]
	s_mul_i32 s3, s23, s3
	s_add_u32 s21, s24, s21
	s_addc_u32 s17, 0, s17
	s_mul_hi_u32 s25, s23, s12
	s_add_u32 s3, s21, s3
	s_mul_i32 s12, s23, s12
	s_addc_u32 s3, s17, s26
	s_addc_u32 s17, s25, 0
	s_add_u32 s3, s3, s12
	s_addc_u32 s12, 0, s17
	s_mul_i32 s21, s20, s3
	s_add_u32 s17, s3, 1
	v_sub_co_u32 v1, s21, s22, s21
	s_mul_hi_u32 s22, s20, s3
	s_addc_u32 s24, s12, 0
	s_mul_i32 s25, s20, s12
	s_delay_alu instid0(VALU_DEP_1)
	v_sub_co_u32 v2, s26, v1, s20
	s_add_u32 s27, s3, 2
	s_addc_u32 s28, s12, 0
	s_add_i32 s22, s22, s25
	s_cmp_lg_u32 s21, 0
	v_readfirstlane_b32 s21, v2
	s_subb_u32 s22, s23, s22
	s_cmp_lg_u32 s26, 0
	s_subb_u32 s23, s22, 0
	s_delay_alu instid0(VALU_DEP_1) | instskip(SKIP_4) | instid1(SALU_CYCLE_1)
	s_cmp_ge_u32 s21, s20
	s_cselect_b32 s21, -1, 0
	s_cmp_eq_u32 s23, 0
	v_readfirstlane_b32 s23, v1
	s_cselect_b32 s21, s21, -1
	s_cmp_lg_u32 s21, 0
	s_cselect_b32 s17, s27, s17
	s_cselect_b32 s21, s28, s24
	s_cmp_ge_u32 s23, s20
	s_cselect_b32 s23, -1, 0
	s_cmp_eq_u32 s22, 0
	s_cselect_b32 s22, s23, -1
	s_delay_alu instid0(SALU_CYCLE_1) | instskip(SKIP_2) | instid1(SALU_CYCLE_1)
	s_cmp_lg_u32 s22, 0
	s_cselect_b32 s23, s21, s12
	s_cselect_b32 s22, s17, s3
	s_xor_b64 s[22:23], s[22:23], s[18:19]
	s_delay_alu instid0(SALU_CYCLE_1)
	s_sub_u32 s18, s22, s18
	s_and_not1_b32 vcc_lo, exec_lo, s2
	s_cbranch_vccnz .LBB41_6
.LBB41_5:
	v_cvt_f32_u32_e32 v1, s20
	s_sub_i32 s3, 0, s20
	s_delay_alu instid0(VALU_DEP_1) | instskip(SKIP_2) | instid1(VALU_DEP_1)
	v_rcp_iflag_f32_e32 v1, v1
	s_waitcnt_depctr 0xfff
	v_mul_f32_e32 v1, 0x4f7ffffe, v1
	v_cvt_u32_f32_e32 v1, v1
	s_delay_alu instid0(VALU_DEP_1) | instskip(NEXT) | instid1(VALU_DEP_1)
	v_readfirstlane_b32 s2, v1
	s_mul_i32 s3, s3, s2
	s_delay_alu instid0(SALU_CYCLE_1) | instskip(NEXT) | instid1(SALU_CYCLE_1)
	s_mul_hi_u32 s3, s2, s3
	s_add_i32 s2, s2, s3
	s_delay_alu instid0(SALU_CYCLE_1) | instskip(NEXT) | instid1(SALU_CYCLE_1)
	s_mul_hi_u32 s2, s11, s2
	s_mul_i32 s3, s2, s20
	s_delay_alu instid0(SALU_CYCLE_1)
	s_sub_i32 s3, s11, s3
	s_add_i32 s11, s2, 1
	s_sub_i32 s12, s3, s20
	s_cmp_ge_u32 s3, s20
	s_cselect_b32 s2, s11, s2
	s_cselect_b32 s3, s12, s3
	s_add_i32 s11, s2, 1
	s_cmp_ge_u32 s3, s20
	s_cselect_b32 s18, s11, s2
.LBB41_6:
	s_delay_alu instid0(SALU_CYCLE_1) | instskip(SKIP_3) | instid1(SALU_CYCLE_1)
	s_cmp_eq_u32 s16, s18
	s_mul_hi_u32 s2, s16, s8
	s_cselect_b32 s3, -1, 0
	s_add_i32 s2, s2, s16
	s_lshr_b32 s11, s2, s9
	s_delay_alu instid0(SALU_CYCLE_1) | instskip(NEXT) | instid1(SALU_CYCLE_1)
	s_mul_i32 s2, s11, s10
	s_cmp_eq_u32 s2, s16
	s_mul_hi_u32 s2, s18, s8
	s_cselect_b32 s12, -1, 0
	s_add_i32 s2, s2, s18
	s_delay_alu instid0(SALU_CYCLE_1) | instskip(NEXT) | instid1(SALU_CYCLE_1)
	s_lshr_b32 s2, s2, s9
	s_cmp_eq_u32 s11, s2
	s_mul_i32 s2, s2, s10
	s_cselect_b32 s17, -1, 0
	s_cmp_lg_u32 s2, s18
	s_cselect_b32 s2, -1, 0
	s_or_b32 s3, s3, s12
	s_and_b32 s2, s17, s2
	s_delay_alu instid0(SALU_CYCLE_1) | instskip(NEXT) | instid1(SALU_CYCLE_1)
	s_or_b32 s2, s3, s2
	s_and_b32 vcc_lo, exec_lo, s2
	s_cbranch_vccnz .LBB41_24
; %bb.7:
	s_load_b256 s[24:31], s[0:1], 0x20
	s_waitcnt lgkmcnt(0)
	s_mul_hi_u32 s2, s16, s24
	s_delay_alu instid0(SALU_CYCLE_1) | instskip(NEXT) | instid1(SALU_CYCLE_1)
	s_add_i32 s2, s2, s16
	s_lshr_b32 s17, s2, s25
	s_load_b32 s2, s[0:1], 0x40
	s_mul_i32 s3, s17, s26
	s_delay_alu instid0(SALU_CYCLE_1) | instskip(NEXT) | instid1(SALU_CYCLE_1)
	s_sub_i32 s3, s16, s3
	s_mul_hi_u32 s12, s3, s27
	s_delay_alu instid0(SALU_CYCLE_1) | instskip(NEXT) | instid1(SALU_CYCLE_1)
	s_add_i32 s12, s3, s12
	s_lshr_b32 s18, s12, s28
	s_delay_alu instid0(SALU_CYCLE_1) | instskip(NEXT) | instid1(SALU_CYCLE_1)
	s_mul_i32 s12, s18, s29
	s_sub_i32 s3, s3, s12
	s_delay_alu instid0(SALU_CYCLE_1) | instskip(NEXT) | instid1(SALU_CYCLE_1)
	s_mul_hi_u32 s12, s3, s30
	s_add_i32 s12, s3, s12
	s_delay_alu instid0(SALU_CYCLE_1)
	s_lshr_b32 s12, s12, s31
	s_waitcnt lgkmcnt(0)
	s_mul_i32 s2, s12, s2
	s_lshl_b32 s21, s12, 1
	s_sub_i32 s2, s3, s2
	s_mov_b32 s12, 0
	s_mul_hi_u32 s3, s2, s8
	s_delay_alu instid0(SALU_CYCLE_1) | instskip(NEXT) | instid1(SALU_CYCLE_1)
	s_add_i32 s2, s2, s3
	s_lshr_b32 s19, s2, s9
	s_delay_alu instid0(SALU_CYCLE_1) | instskip(NEXT) | instid1(SALU_CYCLE_1)
	s_add_i32 s19, s19, s14
	s_cmp_lt_i32 s19, s4
	s_cselect_b32 s2, -1, 0
	s_add_i32 s21, s21, s15
	s_delay_alu instid0(SALU_CYCLE_1) | instskip(SKIP_1) | instid1(SALU_CYCLE_1)
	s_cmp_lt_i32 s21, s6
	s_cselect_b32 s3, -1, 0
	s_and_b32 s2, s2, s3
	s_delay_alu instid0(SALU_CYCLE_1)
	s_and_not1_b32 vcc_lo, exec_lo, s2
	s_cbranch_vccnz .LBB41_24
; %bb.8:
	s_load_b128 s[0:3], s[0:1], 0x0
	s_lshl_b32 s22, s20, 3
	s_mov_b32 s23, s12
	s_mul_i32 s4, s17, s4
	s_lshl_b64 s[22:23], s[22:23], 2
	s_mul_i32 s18, s18, s6
	v_cvt_f32_ubyte0_e32 v4, 0
	v_cvt_f32_u32_e32 v5, s20
	s_waitcnt lgkmcnt(0)
	s_add_u32 s6, s2, s22
	s_addc_u32 s17, s3, s23
	s_add_i32 s4, s19, s4
	s_add_i32 s18, s21, s18
	s_mul_i32 s4, s4, s5
	s_delay_alu instid0(SALU_CYCLE_1) | instskip(NEXT) | instid1(SALU_CYCLE_1)
	s_add_i32 s18, s18, s4
	v_lshl_or_b32 v1, s18, 8, v0
	v_lshl_or_b32 v0, s15, 8, v0
	s_delay_alu instid0(VALU_DEP_2) | instskip(NEXT) | instid1(VALU_DEP_1)
	v_ashrrev_i32_e32 v2, 31, v1
	v_lshlrev_b64 v[1:2], 2, v[1:2]
	s_delay_alu instid0(VALU_DEP_1) | instskip(NEXT) | instid1(VALU_DEP_2)
	v_add_co_u32 v1, vcc_lo, s0, v1
	v_add_co_ci_u32_e32 v2, vcc_lo, s1, v2, vcc_lo
	s_add_i32 s0, s14, s13
	s_delay_alu instid0(SALU_CYCLE_1) | instskip(SKIP_2) | instid1(SALU_CYCLE_1)
	s_lshl_b32 s0, s0, 1
	global_load_b32 v3, v[1:2], off
	s_add_i32 s0, s0, s15
	s_ashr_i32 s1, s0, 31
	s_delay_alu instid0(SALU_CYCLE_1) | instskip(NEXT) | instid1(SALU_CYCLE_1)
	s_lshl_b64 s[0:1], s[0:1], 3
	s_add_u32 s0, s2, s0
	s_addc_u32 s1, s3, s1
	s_add_i32 s19, s13, -1
	s_load_b64 s[0:1], s[0:1], 0x0
	v_fmac_f32_e32 v5, 0x4f800000, v4
	s_sub_i32 s18, 0, s20
	s_waitcnt lgkmcnt(0)
	v_mov_b32_e32 v8, s0
	s_delay_alu instid0(VALU_DEP_2) | instskip(SKIP_2) | instid1(VALU_DEP_2)
	v_rcp_f32_e32 v4, v5
	v_cvt_f32_u32_e32 v5, s20
	v_mov_b32_e32 v7, s1
	v_rcp_iflag_f32_e32 v5, v5
	s_waitcnt_depctr 0xfff
	v_mul_f32_e32 v4, 0x5f7ffffc, v4
	s_delay_alu instid0(VALU_DEP_1) | instskip(SKIP_1) | instid1(VALU_DEP_2)
	v_mul_f32_e32 v6, 0x2f800000, v4
	v_mul_f32_e32 v9, 0x4f7ffffe, v5
	v_trunc_f32_e32 v6, v6
	s_delay_alu instid0(VALU_DEP_1) | instskip(SKIP_1) | instid1(VALU_DEP_4)
	v_fmac_f32_e32 v4, 0xcf800000, v6
	v_cvt_u32_f32_e32 v5, v6
	v_cvt_u32_f32_e32 v6, v9
	s_delay_alu instid0(VALU_DEP_3)
	v_cvt_u32_f32_e32 v4, v4
.LBB41_9:                               ; =>This Inner Loop Header: Depth=1
	s_mul_hi_i32 s13, s19, s7
	s_mul_i32 s4, s19, s7
	s_cmp_lg_u64 s[12:13], 0
	s_mov_b32 s5, -1
                                        ; implicit-def: $sgpr0_sgpr1
	s_cbranch_scc0 .LBB41_11
; %bb.10:                               ;   in Loop: Header=BB41_9 Depth=1
	v_readfirstlane_b32 s0, v4
	v_readfirstlane_b32 s1, v5
	s_sub_u32 s5, 0, s20
	s_subb_u32 s21, 0, 0
	s_delay_alu instid0(VALU_DEP_2) | instskip(NEXT) | instid1(VALU_DEP_1)
	s_mul_hi_u32 s22, s5, s0
	s_mul_i32 s23, s5, s1
	s_mul_i32 s24, s21, s0
	s_add_i32 s22, s22, s23
	s_mul_i32 s23, s5, s0
	s_add_i32 s22, s22, s24
	s_mul_hi_u32 s24, s0, s23
	s_mul_i32 s25, s0, s22
	s_mul_hi_u32 s0, s0, s22
	s_add_u32 s24, s24, s25
	s_mul_i32 s26, s1, s23
	s_addc_u32 s0, 0, s0
	s_mul_hi_u32 s23, s1, s23
	s_mul_hi_u32 s25, s1, s22
	s_add_u32 s24, s24, s26
	s_addc_u32 s0, s0, s23
	s_mul_i32 s22, s1, s22
	s_addc_u32 s23, s25, 0
	s_add_u32 s0, s0, s22
	s_addc_u32 s22, 0, s23
	v_add_co_u32 v9, s0, v4, s0
	s_delay_alu instid0(VALU_DEP_1) | instskip(SKIP_1) | instid1(VALU_DEP_1)
	s_cmp_lg_u32 s0, 0
	s_addc_u32 s1, s1, s22
	v_readfirstlane_b32 s0, v9
	s_mul_i32 s22, s5, s1
	s_delay_alu instid0(VALU_DEP_1)
	s_mul_hi_u32 s23, s5, s0
	s_mul_i32 s21, s21, s0
	s_add_i32 s22, s23, s22
	s_mul_i32 s5, s5, s0
	s_add_i32 s22, s22, s21
	s_mul_hi_u32 s21, s1, s5
	s_mul_i32 s24, s1, s5
	s_mul_i32 s25, s0, s22
	s_mul_hi_u32 s5, s0, s5
	s_mul_hi_u32 s0, s0, s22
	s_add_u32 s5, s5, s25
	s_addc_u32 s0, 0, s0
	s_mul_hi_u32 s23, s1, s22
	s_add_u32 s5, s5, s24
	s_addc_u32 s0, s0, s21
	s_mul_i32 s5, s1, s22
	s_addc_u32 s21, s23, 0
	s_add_u32 s0, s0, s5
	s_addc_u32 s5, 0, s21
	v_add_co_u32 v9, s0, v9, s0
	s_delay_alu instid0(VALU_DEP_1) | instskip(SKIP_2) | instid1(SALU_CYCLE_1)
	s_cmp_lg_u32 s0, 0
	s_addc_u32 s5, s1, s5
	s_ashr_i32 s0, s13, 31
	s_add_u32 s22, s4, s0
	s_addc_u32 s23, s13, s0
	v_readfirstlane_b32 s13, v9
	s_mov_b32 s1, s0
	s_delay_alu instid0(SALU_CYCLE_1) | instskip(NEXT) | instid1(SALU_CYCLE_1)
	s_xor_b64 s[22:23], s[22:23], s[0:1]
	s_mul_i32 s21, s22, s5
	s_delay_alu instid0(VALU_DEP_1)
	s_mul_hi_u32 s24, s22, s13
	s_mul_hi_u32 s25, s22, s5
	s_add_u32 s21, s24, s21
	s_mul_i32 s26, s23, s13
	s_addc_u32 s24, 0, s25
	s_mul_hi_u32 s13, s23, s13
	s_mul_hi_u32 s25, s23, s5
	s_add_u32 s21, s21, s26
	s_addc_u32 s13, s24, s13
	s_mul_i32 s5, s23, s5
	s_addc_u32 s21, s25, 0
	s_add_u32 s5, s13, s5
	s_addc_u32 s13, 0, s21
	s_mul_i32 s24, s20, s5
	s_add_u32 s21, s5, 1
	v_sub_co_u32 v9, s22, s22, s24
	s_addc_u32 s24, s13, 0
	s_mul_i32 s26, s20, s13
	s_mul_hi_u32 s28, s20, s5
	s_delay_alu instid0(VALU_DEP_1)
	v_sub_co_u32 v10, s27, v9, s20
	s_add_u32 s25, s5, 2
	s_addc_u32 s29, s13, 0
	s_add_i32 s28, s28, s26
	s_cmp_lg_u32 s22, 0
	v_readfirstlane_b32 s22, v10
	s_subb_u32 s23, s23, s28
	s_cmp_lg_u32 s27, 0
	s_subb_u32 s26, s23, 0
	s_delay_alu instid0(VALU_DEP_1) | instskip(SKIP_4) | instid1(SALU_CYCLE_1)
	s_cmp_ge_u32 s22, s20
	s_cselect_b32 s22, -1, 0
	s_cmp_eq_u32 s26, 0
	v_readfirstlane_b32 s26, v9
	s_cselect_b32 s22, s22, -1
	s_cmp_lg_u32 s22, 0
	s_cselect_b32 s21, s25, s21
	s_cselect_b32 s22, s29, s24
	s_cmp_ge_u32 s26, s20
	s_cselect_b32 s24, -1, 0
	s_cmp_eq_u32 s23, 0
	s_cselect_b32 s23, s24, -1
	s_delay_alu instid0(SALU_CYCLE_1) | instskip(SKIP_4) | instid1(SALU_CYCLE_1)
	s_cmp_lg_u32 s23, 0
	s_cselect_b32 s23, s22, s13
	s_cselect_b32 s22, s21, s5
	s_mov_b32 s5, 0
	s_xor_b64 s[22:23], s[22:23], s[0:1]
	s_sub_u32 s0, s22, s0
.LBB41_11:                              ;   in Loop: Header=BB41_9 Depth=1
	s_and_not1_b32 vcc_lo, exec_lo, s5
	s_cbranch_vccnz .LBB41_13
; %bb.12:                               ;   in Loop: Header=BB41_9 Depth=1
	v_readfirstlane_b32 s0, v6
	s_delay_alu instid0(VALU_DEP_1) | instskip(NEXT) | instid1(SALU_CYCLE_1)
	s_mul_i32 s1, s18, s0
	s_mul_hi_u32 s1, s0, s1
	s_delay_alu instid0(SALU_CYCLE_1) | instskip(NEXT) | instid1(SALU_CYCLE_1)
	s_add_i32 s0, s0, s1
	s_mul_hi_u32 s0, s4, s0
	s_delay_alu instid0(SALU_CYCLE_1) | instskip(NEXT) | instid1(SALU_CYCLE_1)
	s_mul_i32 s1, s0, s20
	s_sub_i32 s1, s4, s1
	s_add_i32 s4, s0, 1
	s_sub_i32 s5, s1, s20
	s_cmp_ge_u32 s1, s20
	s_cselect_b32 s0, s4, s0
	s_cselect_b32 s1, s5, s1
	s_add_i32 s4, s0, 1
	s_cmp_ge_u32 s1, s20
	s_cselect_b32 s0, s4, s0
.LBB41_13:                              ;   in Loop: Header=BB41_9 Depth=1
	s_delay_alu instid0(SALU_CYCLE_1)
	s_cmp_lg_u32 s16, s0
	s_cbranch_scc0 .LBB41_17
; %bb.14:                               ;   in Loop: Header=BB41_9 Depth=1
	s_add_i32 s22, s19, s14
	s_mov_b32 s5, s12
	s_add_i32 s1, s22, s20
	s_mov_b32 s21, s16
	s_lshl_b32 s1, s1, 1
	s_delay_alu instid0(SALU_CYCLE_1) | instskip(SKIP_2) | instid1(SALU_CYCLE_1)
	s_add_i32 s4, s1, s15
	s_mul_hi_u32 s1, s0, s8
	s_lshl_b64 s[4:5], s[4:5], 3
	s_add_u32 s4, s2, s4
	s_addc_u32 s5, s3, s5
	s_add_i32 s1, s1, s0
	s_delay_alu instid0(SALU_CYCLE_1) | instskip(NEXT) | instid1(SALU_CYCLE_1)
	s_lshr_b32 s1, s1, s9
	s_mul_i32 s13, s1, s10
	s_delay_alu instid0(SALU_CYCLE_1) | instskip(SKIP_3) | instid1(SALU_CYCLE_1)
	s_cmp_eq_u32 s13, s0
	s_cselect_b32 s13, -1, 0
	s_cmp_lt_u32 s1, s11
	s_cselect_b32 s1, -1, 0
	s_or_b32 s1, s1, s13
	s_mov_b32 s13, -1
	s_and_b32 vcc_lo, exec_lo, s1
	s_mov_b32 s1, s19
	s_cbranch_vccnz .LBB41_16
; %bb.15:                               ;   in Loop: Header=BB41_9 Depth=1
	s_add_i32 s1, s19, -1
	s_mov_b32 s13, 0
	s_mov_b32 s21, s0
.LBB41_16:                              ;   in Loop: Header=BB41_9 Depth=1
	v_lshl_add_u32 v9, s22, 9, v0
	s_load_b64 s[4:5], s[4:5], 0x0
	s_delay_alu instid0(VALU_DEP_1) | instskip(NEXT) | instid1(VALU_DEP_1)
	v_ashrrev_i32_e32 v10, 31, v9
	v_lshlrev_b64 v[9:10], 2, v[9:10]
	s_delay_alu instid0(VALU_DEP_1) | instskip(NEXT) | instid1(VALU_DEP_2)
	v_add_co_u32 v9, vcc_lo, s6, v9
	v_add_co_ci_u32_e32 v10, vcc_lo, s17, v10, vcc_lo
	s_waitcnt lgkmcnt(0)
	v_max_f32_e64 v11, s4, s4
	global_load_b32 v10, v[9:10], off
	v_max_f32_e32 v9, v8, v8
	s_delay_alu instid0(VALU_DEP_1) | instskip(NEXT) | instid1(VALU_DEP_1)
	v_max_f32_e32 v9, v9, v11
	v_sub_f32_e32 v12, v8, v9
	s_delay_alu instid0(VALU_DEP_1) | instskip(NEXT) | instid1(VALU_DEP_1)
	v_dual_mul_f32 v14, 0x3fb8aa3b, v12 :: v_dual_sub_f32 v11, s4, v9
	v_rndne_f32_e32 v18, v14
	s_delay_alu instid0(VALU_DEP_2) | instskip(SKIP_2) | instid1(VALU_DEP_4)
	v_mul_f32_e32 v13, 0x3fb8aa3b, v11
	v_fma_f32 v17, 0x3fb8aa3b, v12, -v14
	v_cmp_ngt_f32_e32 vcc_lo, 0xc2ce8ed0, v11
	v_sub_f32_e32 v14, v14, v18
	s_delay_alu instid0(VALU_DEP_4) | instskip(SKIP_2) | instid1(VALU_DEP_3)
	v_fma_f32 v15, 0x3fb8aa3b, v11, -v13
	v_rndne_f32_e32 v16, v13
	v_fmac_f32_e32 v17, 0x32a5705f, v12
	v_fmac_f32_e32 v15, 0x32a5705f, v11
	s_delay_alu instid0(VALU_DEP_2) | instskip(NEXT) | instid1(VALU_DEP_1)
	v_dual_sub_f32 v13, v13, v16 :: v_dual_add_f32 v14, v14, v17
	v_add_f32_e32 v13, v13, v15
	s_delay_alu instid0(VALU_DEP_2) | instskip(SKIP_2) | instid1(VALU_DEP_3)
	v_exp_f32_e32 v14, v14
	v_cvt_i32_f32_e32 v15, v16
	v_cvt_i32_f32_e32 v16, v18
	v_exp_f32_e32 v13, v13
	s_waitcnt_depctr 0xfff
	v_ldexp_f32 v14, v14, v16
	v_ldexp_f32 v13, v13, v15
	s_delay_alu instid0(VALU_DEP_1) | instskip(SKIP_1) | instid1(VALU_DEP_4)
	v_cndmask_b32_e32 v13, 0, v13, vcc_lo
	v_cmp_ngt_f32_e32 vcc_lo, 0xc2ce8ed0, v12
	v_cndmask_b32_e32 v14, 0, v14, vcc_lo
	v_cmp_nlt_f32_e32 vcc_lo, 0x42b17218, v11
	s_delay_alu instid0(VALU_DEP_4) | instskip(SKIP_1) | instid1(VALU_DEP_4)
	v_cndmask_b32_e32 v13, 0x7f800000, v13, vcc_lo
	v_cmp_nlt_f32_e32 vcc_lo, 0x42b17218, v12
	v_cndmask_b32_e32 v14, 0x7f800000, v14, vcc_lo
	v_cmp_le_f32_e32 vcc_lo, 0xc1a00000, v11
	s_delay_alu instid0(VALU_DEP_4) | instskip(SKIP_1) | instid1(VALU_DEP_4)
	v_cndmask_b32_e32 v11, 0, v13, vcc_lo
	v_cmp_le_f32_e32 vcc_lo, 0xc1a00000, v12
	v_cndmask_b32_e32 v12, 0, v14, vcc_lo
	s_waitcnt vmcnt(0)
	s_delay_alu instid0(VALU_DEP_3) | instskip(NEXT) | instid1(VALU_DEP_1)
	v_mul_f32_e32 v10, v10, v11
	v_dual_mul_f32 v11, s5, v11 :: v_dual_fmac_f32 v10, v3, v12
	s_delay_alu instid0(VALU_DEP_1)
	v_fmac_f32_e32 v11, v7, v12
	s_cbranch_execz .LBB41_18
	s_branch .LBB41_19
.LBB41_17:                              ;   in Loop: Header=BB41_9 Depth=1
                                        ; implicit-def: $sgpr13
                                        ; implicit-def: $vgpr10
                                        ; implicit-def: $vgpr9
                                        ; implicit-def: $vgpr11
                                        ; implicit-def: $sgpr1
                                        ; implicit-def: $sgpr21
.LBB41_18:                              ;   in Loop: Header=BB41_9 Depth=1
	v_mov_b32_e32 v11, v7
	s_waitcnt vmcnt(0)
	v_dual_mov_b32 v9, v8 :: v_dual_mov_b32 v10, v3
	s_add_i32 s1, s19, -1
	s_mov_b32 s13, 0
	s_mov_b32 s21, s16
.LBB41_19:                              ;   in Loop: Header=BB41_9 Depth=1
	s_and_not1_b32 vcc_lo, exec_lo, s13
	s_cbranch_vccz .LBB41_23
; %bb.20:                               ;   in Loop: Header=BB41_9 Depth=1
	v_dual_mov_b32 v7, v11 :: v_dual_mov_b32 v8, v9
	s_waitcnt vmcnt(0)
	v_mov_b32_e32 v3, v10
	s_mov_b32 s16, s21
	s_mov_b32 s19, s1
	s_branch .LBB41_9
.LBB41_21:
                                        ; implicit-def: $sgpr16_sgpr17
	s_load_b128 s[8:11], s[0:1], 0x44
	s_branch .LBB41_2
.LBB41_22:
                                        ; implicit-def: $sgpr18_sgpr19
	s_branch .LBB41_5
.LBB41_23:
	v_div_scale_f32 v0, null, v11, v11, v10
	s_waitcnt vmcnt(0)
	s_delay_alu instid0(VALU_DEP_1) | instskip(SKIP_2) | instid1(VALU_DEP_1)
	v_rcp_f32_e32 v3, v0
	s_waitcnt_depctr 0xfff
	v_fma_f32 v4, -v0, v3, 1.0
	v_fmac_f32_e32 v3, v4, v3
	v_div_scale_f32 v4, vcc_lo, v10, v11, v10
	s_delay_alu instid0(VALU_DEP_1) | instskip(NEXT) | instid1(VALU_DEP_1)
	v_mul_f32_e32 v5, v4, v3
	v_fma_f32 v6, -v0, v5, v4
	s_delay_alu instid0(VALU_DEP_1) | instskip(NEXT) | instid1(VALU_DEP_1)
	v_fmac_f32_e32 v5, v6, v3
	v_fma_f32 v0, -v0, v5, v4
	s_delay_alu instid0(VALU_DEP_1) | instskip(NEXT) | instid1(VALU_DEP_1)
	v_div_fmas_f32 v0, v0, v3, v5
	v_div_fixup_f32 v0, v0, v11, v10
	global_store_b32 v[1:2], v0, off
.LBB41_24:
	s_nop 0
	s_sendmsg sendmsg(MSG_DEALLOC_VGPRS)
	s_endpgm
	.section	.rodata,"a",@progbits
	.p2align	6, 0x0
	.amdhsa_kernel _ZL33flash_attn_stream_k_fixup_generalILi256ELi1ELi2EEvPfPK15HIP_vector_typeIfLj2EEiiiiS1_IjLj3EES5_S5_S5_
		.amdhsa_group_segment_fixed_size 0
		.amdhsa_private_segment_fixed_size 0
		.amdhsa_kernarg_size 336
		.amdhsa_user_sgpr_count 13
		.amdhsa_user_sgpr_dispatch_ptr 0
		.amdhsa_user_sgpr_queue_ptr 0
		.amdhsa_user_sgpr_kernarg_segment_ptr 1
		.amdhsa_user_sgpr_dispatch_id 0
		.amdhsa_user_sgpr_private_segment_size 0
		.amdhsa_wavefront_size32 1
		.amdhsa_uses_dynamic_stack 0
		.amdhsa_enable_private_segment 0
		.amdhsa_system_sgpr_workgroup_id_x 1
		.amdhsa_system_sgpr_workgroup_id_y 1
		.amdhsa_system_sgpr_workgroup_id_z 1
		.amdhsa_system_sgpr_workgroup_info 0
		.amdhsa_system_vgpr_workitem_id 0
		.amdhsa_next_free_vgpr 19
		.amdhsa_next_free_sgpr 32
		.amdhsa_reserve_vcc 1
		.amdhsa_float_round_mode_32 0
		.amdhsa_float_round_mode_16_64 0
		.amdhsa_float_denorm_mode_32 3
		.amdhsa_float_denorm_mode_16_64 3
		.amdhsa_dx10_clamp 1
		.amdhsa_ieee_mode 1
		.amdhsa_fp16_overflow 0
		.amdhsa_workgroup_processor_mode 1
		.amdhsa_memory_ordered 1
		.amdhsa_forward_progress 0
		.amdhsa_shared_vgpr_count 0
		.amdhsa_exception_fp_ieee_invalid_op 0
		.amdhsa_exception_fp_denorm_src 0
		.amdhsa_exception_fp_ieee_div_zero 0
		.amdhsa_exception_fp_ieee_overflow 0
		.amdhsa_exception_fp_ieee_underflow 0
		.amdhsa_exception_fp_ieee_inexact 0
		.amdhsa_exception_int_div_zero 0
	.end_amdhsa_kernel
	.section	.text._ZL33flash_attn_stream_k_fixup_generalILi256ELi1ELi2EEvPfPK15HIP_vector_typeIfLj2EEiiiiS1_IjLj3EES5_S5_S5_,"axG",@progbits,_ZL33flash_attn_stream_k_fixup_generalILi256ELi1ELi2EEvPfPK15HIP_vector_typeIfLj2EEiiiiS1_IjLj3EES5_S5_S5_,comdat
.Lfunc_end41:
	.size	_ZL33flash_attn_stream_k_fixup_generalILi256ELi1ELi2EEvPfPK15HIP_vector_typeIfLj2EEiiiiS1_IjLj3EES5_S5_S5_, .Lfunc_end41-_ZL33flash_attn_stream_k_fixup_generalILi256ELi1ELi2EEvPfPK15HIP_vector_typeIfLj2EEiiiiS1_IjLj3EES5_S5_S5_
                                        ; -- End function
	.section	.AMDGPU.csdata,"",@progbits
; Kernel info:
; codeLenInByte = 3200
; NumSgprs: 34
; NumVgprs: 19
; ScratchSize: 0
; MemoryBound: 0
; FloatMode: 240
; IeeeMode: 1
; LDSByteSize: 0 bytes/workgroup (compile time only)
; SGPRBlocks: 4
; VGPRBlocks: 2
; NumSGPRsForWavesPerEU: 34
; NumVGPRsForWavesPerEU: 19
; Occupancy: 16
; WaveLimiterHint : 0
; COMPUTE_PGM_RSRC2:SCRATCH_EN: 0
; COMPUTE_PGM_RSRC2:USER_SGPR: 13
; COMPUTE_PGM_RSRC2:TRAP_HANDLER: 0
; COMPUTE_PGM_RSRC2:TGID_X_EN: 1
; COMPUTE_PGM_RSRC2:TGID_Y_EN: 1
; COMPUTE_PGM_RSRC2:TGID_Z_EN: 1
; COMPUTE_PGM_RSRC2:TIDIG_COMP_CNT: 0
	.section	.text._ZL15flash_attn_tileILi256ELi256ELi32ELi1ELb0EEvPKcS1_S1_S1_S1_PKiPfP15HIP_vector_typeIfLj2EEffffjfiS5_IjLj3EEiiiiiiiiiiiliiliiiiil,"axG",@progbits,_ZL15flash_attn_tileILi256ELi256ELi32ELi1ELb0EEvPKcS1_S1_S1_S1_PKiPfP15HIP_vector_typeIfLj2EEffffjfiS5_IjLj3EEiiiiiiiiiiiliiliiiiil,comdat
	.globl	_ZL15flash_attn_tileILi256ELi256ELi32ELi1ELb0EEvPKcS1_S1_S1_S1_PKiPfP15HIP_vector_typeIfLj2EEffffjfiS5_IjLj3EEiiiiiiiiiiiliiliiiiil ; -- Begin function _ZL15flash_attn_tileILi256ELi256ELi32ELi1ELb0EEvPKcS1_S1_S1_S1_PKiPfP15HIP_vector_typeIfLj2EEffffjfiS5_IjLj3EEiiiiiiiiiiiliiliiiiil
	.p2align	8
	.type	_ZL15flash_attn_tileILi256ELi256ELi32ELi1ELb0EEvPKcS1_S1_S1_S1_PKiPfP15HIP_vector_typeIfLj2EEffffjfiS5_IjLj3EEiiiiiiiiiiiliiliiiiil,@function
_ZL15flash_attn_tileILi256ELi256ELi32ELi1ELb0EEvPKcS1_S1_S1_S1_PKiPfP15HIP_vector_typeIfLj2EEffffjfiS5_IjLj3EEiiiiiiiiiiiliiliiiiil: ; @_ZL15flash_attn_tileILi256ELi256ELi32ELi1ELb0EEvPKcS1_S1_S1_S1_PKiPfP15HIP_vector_typeIfLj2EEffffjfiS5_IjLj3EEiiiiiiiiiiiliiliiiiil
; %bb.0:
	s_clause 0x3
	s_load_b128 s[36:39], s[2:3], 0x5c
	s_load_b64 s[42:43], s[2:3], 0x80
	s_load_b512 s[16:31], s[2:3], 0x0
	s_load_b64 s[44:45], s[2:3], 0xb8
	s_mov_b64 s[40:41], 0
	s_waitcnt lgkmcnt(0)
	v_cvt_f32_u32_e32 v1, s39
	s_sub_i32 s5, 0, s39
	s_delay_alu instid0(VALU_DEP_1) | instskip(SKIP_2) | instid1(VALU_DEP_1)
	v_rcp_iflag_f32_e32 v1, v1
	s_waitcnt_depctr 0xfff
	v_mul_f32_e32 v1, 0x4f7ffffe, v1
	v_cvt_u32_f32_e32 v1, v1
	s_delay_alu instid0(VALU_DEP_1) | instskip(NEXT) | instid1(VALU_DEP_1)
	v_readfirstlane_b32 s4, v1
	s_mul_i32 s5, s5, s4
	s_delay_alu instid0(SALU_CYCLE_1) | instskip(NEXT) | instid1(SALU_CYCLE_1)
	s_mul_hi_u32 s5, s4, s5
	s_add_i32 s4, s4, s5
	s_delay_alu instid0(SALU_CYCLE_1) | instskip(NEXT) | instid1(SALU_CYCLE_1)
	s_mul_hi_u32 s4, s15, s4
	s_mul_i32 s5, s4, s39
	s_add_i32 s6, s4, 1
	s_sub_i32 s5, s15, s5
	s_delay_alu instid0(SALU_CYCLE_1)
	s_sub_i32 s7, s5, s39
	s_cmp_ge_u32 s5, s39
	s_cselect_b32 s4, s6, s4
	s_cselect_b32 s5, s7, s5
	s_add_i32 s6, s4, 1
	s_cmp_ge_u32 s5, s39
	s_cselect_b32 s33, s6, s4
	s_abs_i32 s4, s43
	s_abs_i32 s8, s39
	v_cvt_f32_u32_e32 v1, s4
	s_sub_i32 s6, 0, s4
	s_mul_i32 s7, s33, s39
	s_delay_alu instid0(SALU_CYCLE_1) | instskip(NEXT) | instid1(VALU_DEP_1)
	s_sub_i32 s34, s15, s7
	v_rcp_iflag_f32_e32 v1, v1
	s_waitcnt_depctr 0xfff
	v_mul_f32_e32 v1, 0x4f7ffffe, v1
	s_delay_alu instid0(VALU_DEP_1) | instskip(NEXT) | instid1(VALU_DEP_1)
	v_cvt_u32_f32_e32 v1, v1
	v_readfirstlane_b32 s5, v1
	s_delay_alu instid0(VALU_DEP_1) | instskip(NEXT) | instid1(SALU_CYCLE_1)
	s_mul_i32 s6, s6, s5
	s_mul_hi_u32 s6, s5, s6
	s_delay_alu instid0(SALU_CYCLE_1) | instskip(SKIP_4) | instid1(SALU_CYCLE_1)
	s_add_i32 s5, s5, s6
	s_xor_b32 s6, s39, s43
	s_mul_hi_u32 s5, s8, s5
	s_ashr_i32 s6, s6, 31
	s_mul_i32 s7, s5, s4
	s_sub_i32 s7, s8, s7
	s_add_i32 s8, s5, 1
	s_sub_i32 s9, s7, s4
	s_cmp_ge_u32 s7, s4
	s_cselect_b32 s5, s8, s5
	s_cselect_b32 s7, s9, s7
	s_add_i32 s8, s5, 1
	s_cmp_ge_u32 s7, s4
	s_cselect_b32 s4, s8, s5
	s_abs_i32 s15, s34
	s_xor_b32 s4, s4, s6
	s_delay_alu instid0(SALU_CYCLE_1) | instskip(NEXT) | instid1(SALU_CYCLE_1)
	s_sub_i32 s43, s4, s6
	s_abs_i32 s12, s43
	s_delay_alu instid0(SALU_CYCLE_1) | instskip(SKIP_1) | instid1(VALU_DEP_1)
	v_cvt_f32_u32_e32 v1, s12
	s_sub_i32 s5, 0, s12
	v_rcp_iflag_f32_e32 v1, v1
	s_waitcnt_depctr 0xfff
	v_mul_f32_e32 v1, 0x4f7ffffe, v1
	s_delay_alu instid0(VALU_DEP_1) | instskip(NEXT) | instid1(VALU_DEP_1)
	v_cvt_u32_f32_e32 v1, v1
	v_readfirstlane_b32 s4, v1
	s_delay_alu instid0(VALU_DEP_1) | instskip(NEXT) | instid1(SALU_CYCLE_1)
	s_mul_i32 s5, s5, s4
	s_mul_hi_u32 s5, s4, s5
	s_delay_alu instid0(SALU_CYCLE_1)
	s_add_i32 s4, s4, s5
	s_cmp_eq_u64 s[22:23], 0
	s_cbranch_scc1 .LBB42_2
; %bb.1:
	s_abs_i32 s5, s44
	s_abs_i32 s8, s33
	v_cvt_f32_u32_e32 v1, s5
	s_sub_i32 s7, 0, s5
	s_delay_alu instid0(VALU_DEP_1) | instskip(SKIP_2) | instid1(VALU_DEP_1)
	v_rcp_iflag_f32_e32 v1, v1
	s_waitcnt_depctr 0xfff
	v_mul_f32_e32 v1, 0x4f7ffffe, v1
	v_cvt_u32_f32_e32 v1, v1
	s_delay_alu instid0(VALU_DEP_1) | instskip(NEXT) | instid1(VALU_DEP_1)
	v_readfirstlane_b32 s6, v1
	s_mul_i32 s7, s7, s6
	s_delay_alu instid0(SALU_CYCLE_1) | instskip(NEXT) | instid1(SALU_CYCLE_1)
	s_mul_hi_u32 s7, s6, s7
	s_add_i32 s9, s6, s7
	s_load_b64 s[6:7], s[2:3], 0xc8
	s_mul_hi_u32 s9, s8, s9
	s_delay_alu instid0(SALU_CYCLE_1) | instskip(NEXT) | instid1(SALU_CYCLE_1)
	s_mul_i32 s9, s9, s5
	s_sub_i32 s8, s8, s9
	s_ashr_i32 s9, s33, 31
	s_sub_i32 s10, s8, s5
	s_cmp_ge_u32 s8, s5
	s_cselect_b32 s8, s10, s8
	s_delay_alu instid0(SALU_CYCLE_1) | instskip(SKIP_2) | instid1(SALU_CYCLE_1)
	s_sub_i32 s10, s8, s5
	s_cmp_ge_u32 s8, s5
	s_cselect_b32 s5, s10, s8
	s_xor_b32 s5, s5, s9
	s_delay_alu instid0(SALU_CYCLE_1)
	s_sub_i32 s5, s5, s9
	s_waitcnt lgkmcnt(0)
	s_mul_i32 s7, s5, s7
	s_mul_hi_u32 s8, s5, s6
	s_ashr_i32 s9, s5, 31
	s_add_i32 s7, s8, s7
	s_mul_i32 s9, s9, s6
	s_mul_i32 s5, s5, s6
	s_add_i32 s7, s7, s9
	s_add_u32 s40, s22, s5
	s_addc_u32 s41, s23, s7
.LBB42_2:
	s_clause 0x1
	s_load_b128 s[8:11], s[2:3], 0x40
	s_load_b32 s5, s[2:3], 0x50
	v_mov_b32_e32 v48, 1.0
	s_waitcnt lgkmcnt(0)
	v_cmp_le_f32_e64 s6, s9, 0
	s_mul_hi_u32 s9, s15, s4
	s_delay_alu instid0(VALU_DEP_1)
	s_and_b32 vcc_lo, exec_lo, s6
	s_cbranch_vccnz .LBB42_4
; %bb.3:
	s_sub_i32 s4, s34, s5
	s_add_i32 s6, s34, 1
	s_lshl_b32 s4, s4, 1
	v_mov_b32_e32 v1, s10
	s_or_b32 s4, s4, 1
	s_cmp_lt_u32 s34, s5
	s_cselect_b32 vcc_lo, -1, 0
	s_delay_alu instid0(VALU_DEP_1)
	v_cndmask_b32_e32 v3, s11, v1, vcc_lo
	s_and_b32 s5, vcc_lo, exec_lo
	s_cselect_b32 s4, s6, s4
	s_mov_b32 s5, 0x3e76c4e1
	v_cvt_f32_i32_e32 v1, s4
	v_cmp_neq_f32_e32 vcc_lo, 1.0, v3
	s_delay_alu instid0(VALU_DEP_2) | instskip(NEXT) | instid1(VALU_DEP_1)
	v_cndmask_b32_e32 v4, 1.0, v1, vcc_lo
	v_cmp_eq_f32_e32 vcc_lo, 0, v4
	v_cndmask_b32_e64 v5, |v3|, 1.0, vcc_lo
	s_delay_alu instid0(VALU_DEP_1) | instskip(NEXT) | instid1(VALU_DEP_1)
	v_frexp_mant_f32_e32 v1, v5
	v_cmp_gt_f32_e64 s4, 0x3f2aaaab, v1
	s_delay_alu instid0(VALU_DEP_1) | instskip(NEXT) | instid1(VALU_DEP_1)
	v_cndmask_b32_e64 v2, 1.0, 2.0, s4
	v_mul_f32_e32 v1, v1, v2
	s_delay_alu instid0(VALU_DEP_1) | instskip(SKIP_1) | instid1(VALU_DEP_2)
	v_add_f32_e32 v2, 1.0, v1
	v_add_f32_e32 v7, -1.0, v1
	v_rcp_f32_e32 v6, v2
	s_waitcnt_depctr 0xfff
	v_mul_f32_e32 v8, v7, v6
	s_delay_alu instid0(VALU_DEP_1) | instskip(NEXT) | instid1(VALU_DEP_1)
	v_dual_add_f32 v9, -1.0, v2 :: v_dual_mul_f32 v10, v2, v8
	v_sub_f32_e32 v1, v1, v9
	v_cndmask_b32_e64 v3, v3, 1.0, vcc_lo
	s_delay_alu instid0(VALU_DEP_3) | instskip(NEXT) | instid1(VALU_DEP_2)
	v_fma_f32 v2, v8, v2, -v10
	v_cmp_eq_f32_e64 s6, 0, v3
	s_delay_alu instid0(VALU_DEP_2) | instskip(NEXT) | instid1(VALU_DEP_1)
	v_fmac_f32_e32 v2, v8, v1
	v_add_f32_e32 v1, v10, v2
	s_delay_alu instid0(VALU_DEP_1) | instskip(NEXT) | instid1(VALU_DEP_1)
	v_dual_sub_f32 v10, v1, v10 :: v_dual_sub_f32 v9, v7, v1
	v_dual_sub_f32 v2, v10, v2 :: v_dual_sub_f32 v7, v7, v9
	s_delay_alu instid0(VALU_DEP_1) | instskip(NEXT) | instid1(VALU_DEP_1)
	v_sub_f32_e32 v1, v7, v1
	v_add_f32_e32 v1, v2, v1
	s_delay_alu instid0(VALU_DEP_1) | instskip(NEXT) | instid1(VALU_DEP_1)
	v_add_f32_e32 v1, v9, v1
	v_mul_f32_e32 v1, v6, v1
	s_delay_alu instid0(VALU_DEP_1) | instskip(NEXT) | instid1(VALU_DEP_1)
	v_add_f32_e32 v6, v8, v1
	v_sub_f32_e32 v2, v6, v8
	v_mul_f32_e32 v7, v6, v6
	s_delay_alu instid0(VALU_DEP_2) | instskip(NEXT) | instid1(VALU_DEP_2)
	v_sub_f32_e32 v8, v1, v2
	v_fma_f32 v9, v6, v6, -v7
	s_delay_alu instid0(VALU_DEP_2) | instskip(NEXT) | instid1(VALU_DEP_1)
	v_add_f32_e32 v1, v8, v8
	v_fmac_f32_e32 v9, v6, v1
	v_cvt_f64_f32_e32 v[1:2], v5
	s_delay_alu instid0(VALU_DEP_2) | instskip(NEXT) | instid1(VALU_DEP_1)
	v_add_f32_e32 v10, v7, v9
	v_fmaak_f32 v11, s5, v10, 0x3e91f4c4
	v_sub_f32_e32 v7, v10, v7
	v_mul_f32_e32 v14, v6, v10
	s_delay_alu instid0(VALU_DEP_3) | instskip(NEXT) | instid1(VALU_DEP_3)
	v_fmaak_f32 v11, v10, v11, 0x3ecccdef
	v_sub_f32_e32 v7, v9, v7
	s_delay_alu instid0(VALU_DEP_2) | instskip(NEXT) | instid1(VALU_DEP_1)
	v_mul_f32_e32 v12, v10, v11
	v_fma_f32 v9, v10, v11, -v12
	s_delay_alu instid0(VALU_DEP_1) | instskip(NEXT) | instid1(VALU_DEP_1)
	v_fmac_f32_e32 v9, v7, v11
	v_add_f32_e32 v11, v12, v9
	v_frexp_exp_i32_f64_e32 v1, v[1:2]
	s_delay_alu instid0(VALU_DEP_2) | instskip(NEXT) | instid1(VALU_DEP_1)
	v_sub_f32_e32 v12, v11, v12
	v_sub_f32_e32 v2, v9, v12
	v_fma_f32 v12, v10, v6, -v14
	s_delay_alu instid0(VALU_DEP_2) | instskip(NEXT) | instid1(VALU_DEP_2)
	v_add_f32_e32 v2, 0x31739010, v2
	v_dual_add_f32 v13, 0x3f2aaaaa, v11 :: v_dual_fmac_f32 v12, v10, v8
	v_ldexp_f32 v8, v8, 1
	s_delay_alu instid0(VALU_DEP_2) | instskip(NEXT) | instid1(VALU_DEP_1)
	v_dual_add_f32 v9, 0xbf2aaaaa, v13 :: v_dual_fmac_f32 v12, v7, v6
	v_sub_f32_e32 v9, v11, v9
	s_delay_alu instid0(VALU_DEP_1) | instskip(NEXT) | instid1(VALU_DEP_3)
	v_add_f32_e32 v2, v2, v9
	v_add_f32_e32 v9, v14, v12
	s_delay_alu instid0(VALU_DEP_2) | instskip(NEXT) | instid1(VALU_DEP_1)
	v_add_f32_e32 v7, v13, v2
	v_sub_f32_e32 v10, v13, v7
	s_delay_alu instid0(VALU_DEP_3) | instskip(SKIP_2) | instid1(VALU_DEP_4)
	v_mul_f32_e32 v11, v9, v7
	v_sub_f32_e32 v13, v9, v14
	v_subrev_co_ci_u32_e64 v1, s4, 0, v1, s4
	v_add_f32_e32 v2, v2, v10
	s_delay_alu instid0(VALU_DEP_4) | instskip(NEXT) | instid1(VALU_DEP_4)
	v_fma_f32 v10, v9, v7, -v11
	v_sub_f32_e32 v12, v12, v13
	s_delay_alu instid0(VALU_DEP_4) | instskip(NEXT) | instid1(VALU_DEP_3)
	v_cvt_f32_i32_e32 v1, v1
	v_fmac_f32_e32 v10, v9, v2
	v_ldexp_f32 v2, v6, 1
	s_delay_alu instid0(VALU_DEP_2) | instskip(NEXT) | instid1(VALU_DEP_1)
	v_fmac_f32_e32 v10, v12, v7
	v_add_f32_e32 v6, v11, v10
	s_delay_alu instid0(VALU_DEP_1) | instskip(NEXT) | instid1(VALU_DEP_1)
	v_add_f32_e32 v7, v2, v6
	v_dual_sub_f32 v2, v7, v2 :: v_dual_sub_f32 v9, v6, v11
	s_delay_alu instid0(VALU_DEP_1) | instskip(NEXT) | instid1(VALU_DEP_2)
	v_sub_f32_e32 v2, v6, v2
	v_sub_f32_e32 v9, v10, v9
	s_delay_alu instid0(VALU_DEP_1) | instskip(NEXT) | instid1(VALU_DEP_1)
	v_add_f32_e32 v6, v8, v9
	v_dual_mul_f32 v11, 0x3f317218, v1 :: v_dual_add_f32 v2, v6, v2
	s_delay_alu instid0(VALU_DEP_1) | instskip(NEXT) | instid1(VALU_DEP_2)
	v_fma_f32 v10, 0x3f317218, v1, -v11
	v_add_f32_e32 v8, v7, v2
	s_delay_alu instid0(VALU_DEP_1) | instskip(NEXT) | instid1(VALU_DEP_1)
	v_sub_f32_e32 v7, v8, v7
	v_dual_fmamk_f32 v1, v1, 0xb102e308, v10 :: v_dual_sub_f32 v2, v2, v7
	s_delay_alu instid0(VALU_DEP_1) | instskip(NEXT) | instid1(VALU_DEP_1)
	v_add_f32_e32 v6, v11, v1
	v_add_f32_e32 v9, v6, v8
	s_delay_alu instid0(VALU_DEP_1) | instskip(NEXT) | instid1(VALU_DEP_1)
	v_dual_sub_f32 v11, v6, v11 :: v_dual_sub_f32 v10, v9, v6
	v_sub_f32_e32 v12, v9, v10
	s_delay_alu instid0(VALU_DEP_2) | instskip(NEXT) | instid1(VALU_DEP_2)
	v_sub_f32_e32 v1, v1, v11
	v_dual_sub_f32 v7, v8, v10 :: v_dual_sub_f32 v6, v6, v12
	s_delay_alu instid0(VALU_DEP_2) | instskip(NEXT) | instid1(VALU_DEP_2)
	v_add_f32_e32 v8, v1, v2
	v_add_f32_e32 v6, v7, v6
	s_delay_alu instid0(VALU_DEP_1) | instskip(NEXT) | instid1(VALU_DEP_1)
	v_add_f32_e32 v6, v8, v6
	v_dual_sub_f32 v7, v8, v1 :: v_dual_add_f32 v10, v9, v6
	s_delay_alu instid0(VALU_DEP_1) | instskip(SKIP_1) | instid1(VALU_DEP_3)
	v_sub_f32_e32 v8, v8, v7
	v_sub_f32_e32 v2, v2, v7
	;; [unrolled: 1-line block ×3, first 2 shown]
	s_delay_alu instid0(VALU_DEP_3) | instskip(NEXT) | instid1(VALU_DEP_1)
	v_sub_f32_e32 v1, v1, v8
	v_add_f32_e32 v1, v2, v1
	s_delay_alu instid0(VALU_DEP_3) | instskip(NEXT) | instid1(VALU_DEP_1)
	v_sub_f32_e32 v2, v6, v7
	v_add_f32_e32 v1, v1, v2
	s_delay_alu instid0(VALU_DEP_1) | instskip(NEXT) | instid1(VALU_DEP_1)
	v_add_f32_e32 v2, v10, v1
	v_mul_f32_e32 v7, v4, v2
	v_sub_f32_e32 v6, v2, v10
	s_delay_alu instid0(VALU_DEP_2) | instskip(NEXT) | instid1(VALU_DEP_2)
	v_fma_f32 v2, v4, v2, -v7
	v_sub_f32_e32 v1, v1, v6
	v_cmp_class_f32_e64 s4, v7, 0x204
	s_delay_alu instid0(VALU_DEP_2) | instskip(NEXT) | instid1(VALU_DEP_1)
	v_fmac_f32_e32 v2, v4, v1
	v_add_f32_e32 v1, v7, v2
	s_delay_alu instid0(VALU_DEP_1) | instskip(NEXT) | instid1(VALU_DEP_1)
	v_cndmask_b32_e64 v6, v1, v7, s4
	v_cmp_eq_f32_e64 s4, 0x42b17218, v6
	s_delay_alu instid0(VALU_DEP_1) | instskip(SKIP_1) | instid1(VALU_DEP_2)
	v_cndmask_b32_e64 v8, 0, 0x37000000, s4
	v_cmp_neq_f32_e64 s4, 0x7f800000, |v6|
	v_sub_f32_e32 v9, v6, v8
	v_trunc_f32_e32 v6, v4
	s_delay_alu instid0(VALU_DEP_2) | instskip(NEXT) | instid1(VALU_DEP_1)
	v_mul_f32_e32 v10, 0x3fb8aa3b, v9
	v_fma_f32 v11, 0x3fb8aa3b, v9, -v10
	v_rndne_f32_e32 v12, v10
	s_delay_alu instid0(VALU_DEP_1) | instskip(NEXT) | instid1(VALU_DEP_1)
	v_dual_fmamk_f32 v11, v9, 0x32a5705f, v11 :: v_dual_sub_f32 v10, v10, v12
	v_add_f32_e32 v10, v10, v11
	v_sub_f32_e32 v1, v1, v7
	v_cvt_i32_f32_e32 v7, v12
	s_delay_alu instid0(VALU_DEP_3) | instskip(NEXT) | instid1(VALU_DEP_2)
	v_exp_f32_e32 v10, v10
	v_sub_f32_e32 v1, v2, v1
	s_delay_alu instid0(VALU_DEP_1)
	v_cndmask_b32_e64 v1, 0, v1, s4
	v_cmp_ngt_f32_e64 s4, 0xc2ce8ed0, v9
	s_waitcnt_depctr 0xfff
	v_ldexp_f32 v2, v10, v7
	v_mul_f32_e32 v7, 0.5, v4
	v_add_f32_e32 v1, v8, v1
	s_delay_alu instid0(VALU_DEP_3) | instskip(NEXT) | instid1(VALU_DEP_3)
	v_cndmask_b32_e64 v2, 0, v2, s4
	v_trunc_f32_e32 v10, v7
	v_cmp_nlt_f32_e64 s4, 0x42b17218, v9
	s_delay_alu instid0(VALU_DEP_2) | instskip(NEXT) | instid1(VALU_DEP_2)
	v_cmp_neq_f32_e64 s5, v10, v7
	v_cndmask_b32_e64 v2, 0x7f800000, v2, s4
	v_cmp_eq_f32_e64 s4, v6, v4
	s_delay_alu instid0(VALU_DEP_2) | instskip(NEXT) | instid1(VALU_DEP_2)
	v_fma_f32 v1, v2, v1, v2
	s_and_b32 vcc_lo, s4, s5
	v_cmp_class_f32_e64 s5, v2, 0x204
	v_cndmask_b32_e32 v6, 1.0, v3, vcc_lo
	s_delay_alu instid0(VALU_DEP_2) | instskip(SKIP_1) | instid1(VALU_DEP_2)
	v_cndmask_b32_e64 v1, v1, v2, s5
	v_cmp_gt_f32_e64 s5, 0, v4
	v_bfi_b32 v1, 0x7fffffff, v1, v6
	s_delay_alu instid0(VALU_DEP_2)
	s_xor_b32 s5, s5, s6
	v_cndmask_b32_e32 v6, 0, v3, vcc_lo
	v_cndmask_b32_e64 v2, 0x7f800000, 0, s5
	v_cmp_eq_f32_e32 vcc_lo, 0x7f800000, v5
	v_cndmask_b32_e64 v4, 0x7fc00000, v1, s4
	v_cmp_gt_f32_e64 s4, 0, v3
	s_delay_alu instid0(VALU_DEP_4) | instskip(SKIP_1) | instid1(VALU_DEP_2)
	v_bfi_b32 v2, 0x7fffffff, v2, v6
	s_or_b32 vcc_lo, vcc_lo, s6
	v_cndmask_b32_e64 v1, v1, v4, s4
	s_delay_alu instid0(VALU_DEP_1) | instskip(SKIP_1) | instid1(VALU_DEP_2)
	v_cndmask_b32_e32 v1, v1, v2, vcc_lo
	v_cmp_o_f32_e32 vcc_lo, v3, v3
	v_cndmask_b32_e32 v48, 0x7fc00000, v1, vcc_lo
.LBB42_4:
	v_bfe_u32 v43, v0, 10, 10
	s_lshl_b32 s11, s13, 5
	s_load_b128 s[4:7], s[2:3], 0x70
	s_ashr_i32 s35, s34, 31
	s_ashr_i32 s22, s43, 31
	v_lshlrev_b32_e32 v37, 2, v43
	v_and_b32_e32 v40, 0x3ff, v0
	v_lshlrev_b32_e32 v41, 9, v43
	s_delay_alu instid0(VALU_DEP_3) | instskip(SKIP_2) | instid1(VALU_DEP_3)
	v_or_b32_e32 v31, 3, v37
	v_or_b32_e32 v34, 2, v37
	;; [unrolled: 1-line block ×3, first 2 shown]
	v_add_nc_u32_e32 v32, s11, v31
	s_delay_alu instid0(VALU_DEP_3) | instskip(NEXT) | instid1(VALU_DEP_3)
	v_lshlrev_b32_e32 v42, 7, v34
	v_add_nc_u32_e32 v38, s11, v36
	v_lshlrev_b32_e32 v33, 7, v36
	v_lshlrev_b32_e32 v49, 7, v31
	v_mul_hi_u32 v4, v32, s36
	s_waitcnt lgkmcnt(0)
	s_mul_i32 s6, s33, s6
	s_mul_i32 s5, s34, s5
	s_ashr_i32 s7, s6, 31
	s_add_u32 s6, s16, s6
	s_addc_u32 s7, s17, s7
	s_ashr_i32 s10, s5, 31
	v_add_nc_u32_e32 v4, v32, v4
	s_add_u32 s5, s6, s5
	s_addc_u32 s6, s7, s10
	s_ashr_i32 s7, s4, 31
	v_mul_hi_u32 v2, v38, s36
	v_lshrrev_b32_e32 v4, s37, v4
	v_alignbit_b32 v7, s7, s4, 2
	s_lshr_b32 s4, s7, 2
	s_cmp_eq_u64 s[26:27], 0
	s_delay_alu instid0(VALU_DEP_2) | instskip(NEXT) | instid1(VALU_DEP_4)
	v_mul_lo_u32 v4, v4, s38
	v_add_nc_u32_e32 v2, v38, v2
	s_delay_alu instid0(VALU_DEP_1) | instskip(NEXT) | instid1(VALU_DEP_3)
	v_lshrrev_b32_e32 v2, s37, v2
	v_sub_nc_u32_e32 v12, v32, v4
	s_delay_alu instid0(VALU_DEP_2) | instskip(NEXT) | instid1(VALU_DEP_2)
	v_mul_lo_u32 v5, v2, s38
	v_mad_u64_u32 v[17:18], null, v7, v12, 0
	v_add_nc_u32_e32 v35, s11, v34
	s_delay_alu instid0(VALU_DEP_3) | instskip(NEXT) | instid1(VALU_DEP_2)
	v_sub_nc_u32_e32 v10, v38, v5
	v_mul_hi_u32 v3, v35, s36
	s_delay_alu instid0(VALU_DEP_1) | instskip(NEXT) | instid1(VALU_DEP_1)
	v_add_nc_u32_e32 v3, v35, v3
	v_lshrrev_b32_e32 v3, s37, v3
	s_delay_alu instid0(VALU_DEP_1) | instskip(NEXT) | instid1(VALU_DEP_1)
	v_mul_lo_u32 v3, v3, s38
	v_sub_nc_u32_e32 v11, v35, v3
	v_mad_u64_u32 v[3:4], null, v7, v10, 0
	s_delay_alu instid0(VALU_DEP_2) | instskip(SKIP_1) | instid1(VALU_DEP_1)
	v_mad_u64_u32 v[5:6], null, v7, v11, 0
	v_add_nc_u32_e32 v39, s11, v37
	v_mul_hi_u32 v1, v39, s36
	s_delay_alu instid0(VALU_DEP_1) | instskip(NEXT) | instid1(VALU_DEP_1)
	v_add_nc_u32_e32 v1, v39, v1
	v_lshrrev_b32_e32 v1, s37, v1
	s_delay_alu instid0(VALU_DEP_1) | instskip(NEXT) | instid1(VALU_DEP_1)
	v_mul_lo_u32 v1, v1, s38
	v_sub_nc_u32_e32 v66, v39, v1
	s_delay_alu instid0(VALU_DEP_1) | instskip(NEXT) | instid1(VALU_DEP_1)
	v_mad_u64_u32 v[1:2], null, v7, v66, 0
	v_mad_u64_u32 v[7:8], null, s4, v66, v[2:3]
	v_mov_b32_e32 v2, v4
	v_mov_b32_e32 v4, v6
	v_dual_mov_b32 v6, v18 :: v_dual_lshlrev_b32 v13, 4, v40
	s_delay_alu instid0(VALU_DEP_3) | instskip(SKIP_1) | instid1(VALU_DEP_4)
	v_mad_u64_u32 v[8:9], null, s4, v10, v[2:3]
	v_mov_b32_e32 v2, v7
	v_mad_u64_u32 v[9:10], null, s4, v11, v[4:5]
	s_delay_alu instid0(VALU_DEP_4) | instskip(NEXT) | instid1(VALU_DEP_3)
	v_add_co_u32 v23, s5, s5, v13
	v_lshlrev_b64 v[1:2], 2, v[1:2]
	v_mov_b32_e32 v4, v8
	v_mad_u64_u32 v[7:8], null, s4, v12, v[6:7]
	v_mov_b32_e32 v6, v9
	v_add_co_ci_u32_e64 v24, null, s6, 0, s5
	s_delay_alu instid0(VALU_DEP_4)
	v_lshlrev_b64 v[3:4], 2, v[3:4]
	v_add_co_u32 v8, vcc_lo, v23, v1
	v_mov_b32_e32 v18, v7
	v_lshlrev_b64 v[19:20], 2, v[5:6]
	v_add_co_ci_u32_e32 v9, vcc_lo, v24, v2, vcc_lo
	v_add_co_u32 v13, vcc_lo, v23, v3
	s_delay_alu instid0(VALU_DEP_4) | instskip(SKIP_3) | instid1(VALU_DEP_4)
	v_lshlrev_b64 v[17:18], 2, v[17:18]
	v_add_co_ci_u32_e32 v14, vcc_lo, v24, v4, vcc_lo
	v_add_co_u32 v21, vcc_lo, v23, v19
	v_add_co_ci_u32_e32 v22, vcc_lo, v24, v20, vcc_lo
	v_add_co_u32 v29, vcc_lo, v23, v17
	s_clause 0x3
	global_load_b128 v[1:4], v[8:9], off
	global_load_b128 v[5:8], v[8:9], off offset:512
	global_load_b128 v[9:12], v[13:14], off
	global_load_b128 v[13:16], v[13:14], off offset:512
	v_add_co_ci_u32_e32 v30, vcc_lo, v24, v18, vcc_lo
	s_clause 0x3
	global_load_b128 v[17:20], v[21:22], off
	global_load_b128 v[21:24], v[21:22], off offset:512
	global_load_b128 v[25:28], v[29:30], off
	global_load_b128 v[44:47], v[29:30], off offset:512
	v_lshlrev_b32_e32 v29, 1, v40
	s_mov_b32 s5, 0
	s_delay_alu instid0(VALU_DEP_1)
	v_or_b32_e32 v30, v41, v29
	v_add_lshl_u32 v50, v33, v29, 2
	v_add_lshl_u32 v42, v42, v29, 2
	;; [unrolled: 1-line block ×3, first 2 shown]
	v_lshlrev_b32_e32 v33, 2, v40
	v_lshlrev_b32_e32 v30, 2, v30
	v_add_nc_u32_e32 v56, 0x4000, v50
	v_add_nc_u32_e32 v42, 0x4000, v42
	;; [unrolled: 1-line block ×3, first 2 shown]
	s_delay_alu instid0(VALU_DEP_4)
	v_add_nc_u32_e32 v55, 0x4000, v30
	s_waitcnt vmcnt(7)
	v_fma_mixlo_f16 v30, v3, s8, 0
	v_fma_mixlo_f16 v29, v1, s8, 0
	s_waitcnt vmcnt(6)
	v_fma_mixlo_f16 v50, v7, s8, 0
	v_fma_mixlo_f16 v49, v5, s8, 0
	s_waitcnt vmcnt(5)
	v_fma_mixlo_f16 v1, v9, s8, 0
	v_fma_mixhi_f16 v30, v4, s8, 0
	v_fma_mixhi_f16 v29, v2, s8, 0
	v_fma_mixlo_f16 v2, v11, s8, 0
	s_waitcnt vmcnt(4)
	v_fma_mixlo_f16 v3, v13, s8, 0
	v_fma_mixlo_f16 v4, v15, s8, 0
	v_fma_mixhi_f16 v50, v8, s8, 0
	v_fma_mixhi_f16 v49, v6, s8, 0
	s_waitcnt vmcnt(3)
	v_fma_mixlo_f16 v5, v17, s8, 0
	v_fma_mixlo_f16 v6, v19, s8, 0
	s_waitcnt vmcnt(2)
	v_fma_mixlo_f16 v7, v21, s8, 0
	v_fma_mixlo_f16 v8, v23, s8, 0
	;; [unrolled: 3-line block ×4, first 2 shown]
	v_fma_mixhi_f16 v2, v12, s8, 0
	v_fma_mixhi_f16 v1, v10, s8, 0
	;; [unrolled: 1-line block ×12, first 2 shown]
	ds_store_2addr_b64 v55, v[29:30], v[49:50] offset0:128 offset1:160
	ds_store_2addr_b64 v56, v[1:2], v[3:4] offset0:128 offset1:160
	;; [unrolled: 1-line block ×4, first 2 shown]
	s_waitcnt lgkmcnt(0)
	s_barrier
	buffer_gl0_inv
	s_cbranch_scc1 .LBB42_6
; %bb.5:
	s_load_b32 s4, s[2:3], 0xd0
	s_waitcnt lgkmcnt(0)
	s_mul_i32 s4, s4, s33
	s_delay_alu instid0(SALU_CYCLE_1) | instskip(NEXT) | instid1(SALU_CYCLE_1)
	s_add_i32 s4, s4, s13
	s_lshl_b64 s[4:5], s[4:5], 2
	s_delay_alu instid0(SALU_CYCLE_1)
	s_add_u32 s4, s26, s4
	s_addc_u32 s5, s27, s5
	s_load_b32 s42, s[4:5], 0x0
.LBB42_6:
	s_clause 0x2
	s_load_b64 s[26:27], s[2:3], 0x8c
	s_load_b128 s[4:7], s[2:3], 0x98
	s_load_b64 s[48:49], s[2:3], 0xa8
	s_ashr_i32 s8, s33, 31
	s_ashr_i32 s10, s45, 1
	s_mul_i32 s16, s9, s12
	v_dual_mov_b32 v72, 0 :: v_dual_mov_b32 v57, 0
	v_lshrrev_b32_e32 v74, 4, v40
	v_and_b32_e32 v73, 60, v33
	v_mul_u32_u24_e32 v68, 0x110, v40
	v_or_b32_e32 v67, 1, v39
	v_or_b32_e32 v62, 2, v39
	;; [unrolled: 1-line block ×3, first 2 shown]
	v_add_nc_u32_e32 v47, 0x8400, v41
	v_lshlrev_b32_e32 v44, 3, v40
	v_lshlrev_b32_e32 v45, 2, v33
	v_mbcnt_lo_u32_b32 v42, -1, 0
	s_mov_b32 s44, 0xfeffffff
	s_waitcnt lgkmcnt(0)
	s_ashr_i32 s17, s26, 2
	s_ashr_i32 s13, s6, 2
	s_mul_i32 s5, s33, s5
	s_mul_hi_u32 s6, s33, s4
	s_mul_i32 s23, s8, s4
	s_add_i32 s5, s6, s5
	s_mul_i32 s4, s33, s4
	s_add_i32 s5, s5, s23
	s_add_u32 s4, s18, s4
	s_addc_u32 s5, s19, s5
	s_sub_i32 s15, s15, s16
	s_xor_b32 s6, s35, s22
	s_add_i32 s16, s9, 1
	s_sub_i32 s18, s15, s12
	s_cmp_ge_u32 s15, s12
	v_mul_lo_u32 v13, s13, v43
	s_cselect_b32 s9, s16, s9
	s_cselect_b32 s15, s18, s15
	s_add_i32 s16, s9, 1
	s_cmp_ge_u32 s15, s12
	s_mul_i32 s12, s33, s49
	s_cselect_b32 s9, s16, s9
	s_mul_hi_u32 s15, s33, s48
	s_xor_b32 s9, s9, s6
	s_mul_i32 s8, s8, s48
	s_sub_i32 s9, s9, s6
	s_mul_i32 s16, s33, s48
	s_mul_i32 s6, s9, s27
	;; [unrolled: 1-line block ×3, first 2 shown]
	s_ashr_i32 s18, s6, 31
	s_add_u32 s6, s4, s6
	s_addc_u32 s18, s5, s18
	s_add_i32 s4, s15, s12
	v_ashrrev_i32_e32 v14, 31, v13
	s_add_i32 s4, s4, s8
	s_add_u32 s5, s20, s16
	s_addc_u32 s4, s21, s4
	s_ashr_i32 s7, s9, 31
	s_add_u32 s15, s5, s9
	s_addc_u32 s16, s4, s7
	s_lshl_b32 s12, s14, 6
	s_sub_i32 s7, s42, 64
	s_delay_alu instid0(SALU_CYCLE_1)
	s_cmp_ge_i32 s12, s7
	s_cbranch_scc1 .LBB42_27
; %bb.7:
	v_mul_hi_u32 v4, s36, v67
	v_lshl_add_u32 v2, v43, 1, v74
	v_dual_mov_b32 v50, 0 :: v_dual_lshlrev_b32 v3, 2, v73
	v_mul_hi_u32 v6, s36, v60
	v_mov_b32_e32 v49, 0
	s_delay_alu instid0(VALU_DEP_4) | instskip(NEXT) | instid1(VALU_DEP_4)
	v_mul_lo_u32 v1, s17, v2
	v_mad_u32_u24 v76, 0x110, v2, v3
	v_add_nc_u32_e32 v2, v67, v4
	v_mul_hi_u32 v5, s36, v62
	s_lshl_b32 s4, s17, 4
	v_dual_mov_b32 v51, 0 :: v_dual_add_nc_u32 v6, v60, v6
	s_delay_alu instid0(VALU_DEP_3) | instskip(SKIP_2) | instid1(VALU_DEP_4)
	v_lshrrev_b32_e32 v7, s37, v2
	v_dual_mov_b32 v52, 0 :: v_dual_add_nc_u32 v3, s4, v1
	s_cmp_lg_u64 s[40:41], 0
	v_dual_mov_b32 v91, 0xfeffffff :: v_dual_add_nc_u32 v4, v62, v5
	v_lshrrev_b32_e32 v6, s37, v6
	v_mul_lo_u32 v9, v7, s38
	v_dual_mov_b32 v46, 0 :: v_dual_add_nc_u32 v5, s4, v3
	s_delay_alu instid0(VALU_DEP_4) | instskip(NEXT) | instid1(VALU_DEP_4)
	v_lshrrev_b32_e32 v8, s37, v4
	v_mul_lo_u32 v11, v6, s38
	s_cselect_b32 s8, -1, 0
	s_delay_alu instid0(VALU_DEP_3)
	v_dual_mov_b32 v58, 0 :: v_dual_add_nc_u32 v7, s4, v5
	s_lshl_b32 s4, s13, 3
	v_sub_nc_u32_e32 v12, v67, v9
	v_dual_mov_b32 v64, 0 :: v_dual_add_nc_u32 v9, s4, v13
	v_mul_lo_u32 v10, v8, s38
	v_sub_nc_u32_e32 v15, v60, v11
	s_delay_alu instid0(VALU_DEP_3)
	v_dual_mov_b32 v92, 0xfeffffff :: v_dual_add_nc_u32 v11, s4, v9
	v_ashrrev_i32_e32 v2, 31, v1
	v_ashrrev_i32_e32 v4, 31, v3
	;; [unrolled: 1-line block ×4, first 2 shown]
	v_sub_nc_u32_e32 v10, v62, v10
	v_dual_mov_b32 v90, 0xfeffffff :: v_dual_add_nc_u32 v29, s4, v11
	v_mul_lo_u32 v81, v12, s10
	v_lshl_add_u32 v16, v43, 9, v45
	s_delay_alu instid0(VALU_DEP_4)
	v_mul_lo_u32 v82, v10, s10
	v_ashrrev_i32_e32 v10, 31, v9
	v_ashrrev_i32_e32 v12, 31, v11
	;; [unrolled: 1-line block ×3, first 2 shown]
	v_mul_lo_u32 v80, v66, s10
	v_mul_lo_u32 v83, v15, s10
	v_add_nc_u32_e32 v85, 0x1000, v16
	v_dual_mov_b32 v61, 0 :: v_dual_add_nc_u32 v86, 0x2000, v16
	v_add_nc_u32_e32 v87, 0x3000, v16
	v_lshlrev_b64 v[15:16], 2, v[1:2]
	v_lshlrev_b64 v[17:18], 2, v[3:4]
	;; [unrolled: 1-line block ×6, first 2 shown]
	v_mov_b32_e32 v10, 0
	v_lshlrev_b64 v[27:28], 2, v[11:12]
	v_lshlrev_b64 v[29:30], 2, v[29:30]
	v_lshl_add_u32 v75, v43, 11, 0x4400
	v_dual_mov_b32 v54, 0 :: v_dual_add_nc_u32 v77, 0x1100, v76
	v_dual_mov_b32 v55, 0 :: v_dual_add_nc_u32 v78, 0x2200, v76
	;; [unrolled: 1-line block ×4, first 2 shown]
	s_add_u32 s4, s2, 0xd0
	v_dual_mov_b32 v53, 0 :: v_dual_lshlrev_b32 v88, 2, v73
	v_mbcnt_lo_u32_b32 v89, -1, 0
	v_mov_b32_e32 v63, 0
	v_mov_b32_e32 v65, 0
	;; [unrolled: 1-line block ×3, first 2 shown]
	v_dual_mov_b32 v93, 0xfeffffff :: v_dual_mov_b32 v12, 0
	v_mov_b32_e32 v11, 0
	v_mov_b32_e32 v9, 0
	s_addc_u32 s5, s3, 0
	s_add_u32 s9, s40, 64
	s_addc_u32 s19, s41, 0
.LBB42_8:                               ; =>This Inner Loop Header: Depth=1
	s_mul_hi_i32 s21, s12, s17
	s_mul_i32 s20, s12, s17
	s_delay_alu instid0(SALU_CYCLE_1) | instskip(NEXT) | instid1(SALU_CYCLE_1)
	s_lshl_b64 s[20:21], s[20:21], 2
	s_add_u32 s20, s6, s20
	s_addc_u32 s21, s18, s21
	v_add_co_u32 v1, vcc_lo, s20, v15
	v_add_co_ci_u32_e32 v2, vcc_lo, s21, v16, vcc_lo
	v_add_co_u32 v3, vcc_lo, s20, v17
	v_add_co_ci_u32_e32 v4, vcc_lo, s21, v18, vcc_lo
	s_delay_alu instid0(VALU_DEP_4) | instskip(NEXT) | instid1(VALU_DEP_4)
	v_add_co_u32 v1, vcc_lo, v1, v88
	v_add_co_ci_u32_e32 v2, vcc_lo, 0, v2, vcc_lo
	s_delay_alu instid0(VALU_DEP_4) | instskip(NEXT) | instid1(VALU_DEP_4)
	v_add_co_u32 v3, vcc_lo, v3, v88
	v_add_co_ci_u32_e32 v4, vcc_lo, 0, v4, vcc_lo
	v_add_co_u32 v5, vcc_lo, s20, v19
	v_add_co_ci_u32_e32 v6, vcc_lo, s21, v20, vcc_lo
	;; [unrolled: 2-line block ×3, first 2 shown]
	s_delay_alu instid0(VALU_DEP_4) | instskip(NEXT) | instid1(VALU_DEP_4)
	v_add_co_u32 v5, vcc_lo, v5, v88
	v_add_co_ci_u32_e32 v6, vcc_lo, 0, v6, vcc_lo
	s_delay_alu instid0(VALU_DEP_4) | instskip(NEXT) | instid1(VALU_DEP_4)
	v_add_co_u32 v7, vcc_lo, v7, v88
	v_add_co_ci_u32_e32 v8, vcc_lo, 0, v8, vcc_lo
	s_clause 0x3
	global_load_b128 v[69:72], v[1:2], off
	global_load_b128 v[94:97], v[3:4], off
	global_load_b128 v[98:101], v[5:6], off
	global_load_b128 v[102:105], v[7:8], off
	s_and_not1_b32 vcc_lo, exec_lo, s8
	s_waitcnt vmcnt(3)
	ds_store_b128 v76, v[69:72]
	s_waitcnt vmcnt(2)
	ds_store_b128 v77, v[94:97]
	;; [unrolled: 2-line block ×4, first 2 shown]
	s_waitcnt lgkmcnt(0)
	s_barrier
	buffer_gl0_inv
	ds_load_b128 v[98:101], v68
	ds_load_b128 v[102:105], v75
	ds_load_b128 v[106:109], v75 offset:512
	ds_load_b128 v[110:113], v75 offset:1024
	v_dual_mov_b32 v96, 0 :: v_dual_mov_b32 v71, 0
	ds_load_b128 v[114:117], v75 offset:1536
	ds_load_b128 v[118:121], v68 offset:8704
	v_dual_mov_b32 v94, 0 :: v_dual_mov_b32 v69, 0
	s_waitcnt lgkmcnt(4)
	;;#ASMSTART
	v_dot2_f32_f16 v96, v98, v102, v96
	;;#ASMEND
	;;#ASMSTART
	v_dot2_f32_f16 v96, v99, v103, v96
	;;#ASMEND
	;;#ASMSTART
	v_dot2_f32_f16 v96, v100, v104, v96
	;;#ASMEND
	;;#ASMSTART
	v_dot2_f32_f16 v96, v101, v105, v96
	;;#ASMEND
	s_waitcnt lgkmcnt(3)
	;;#ASMSTART
	v_dot2_f32_f16 v94, v98, v106, v94
	;;#ASMEND
	;;#ASMSTART
	v_dot2_f32_f16 v94, v99, v107, v94
	;;#ASMEND
	;;#ASMSTART
	v_dot2_f32_f16 v94, v100, v108, v94
	;;#ASMEND
	;;#ASMSTART
	v_dot2_f32_f16 v94, v101, v109, v94
	;;#ASMEND
	;; [unrolled: 13-line block ×3, first 2 shown]
	s_waitcnt lgkmcnt(1)
	;;#ASMSTART
	v_dot2_f32_f16 v69, v98, v114, v69
	;;#ASMEND
	;;#ASMSTART
	v_dot2_f32_f16 v69, v99, v115, v69
	;;#ASMEND
	v_dual_mov_b32 v97, 0 :: v_dual_mov_b32 v72, 0
	;;#ASMSTART
	v_dot2_f32_f16 v69, v100, v116, v69
	;;#ASMEND
	;;#ASMSTART
	v_dot2_f32_f16 v69, v101, v117, v69
	;;#ASMEND
	s_waitcnt lgkmcnt(0)
	;;#ASMSTART
	v_dot2_f32_f16 v97, v118, v102, v97
	;;#ASMEND
	;;#ASMSTART
	v_dot2_f32_f16 v97, v119, v103, v97
	;;#ASMEND
	v_dual_mov_b32 v95, 0 :: v_dual_mov_b32 v70, 0
	;;#ASMSTART
	v_dot2_f32_f16 v97, v120, v104, v97
	;;#ASMEND
	;;#ASMSTART
	v_dot2_f32_f16 v97, v121, v105, v97
	;;#ASMEND
	;;#ASMSTART
	v_dot2_f32_f16 v95, v118, v106, v95
	;;#ASMEND
	;;#ASMSTART
	v_dot2_f32_f16 v95, v119, v107, v95
	;;#ASMEND
	;;#ASMSTART
	v_dot2_f32_f16 v95, v120, v108, v95
	;;#ASMEND
	;;#ASMSTART
	v_dot2_f32_f16 v95, v121, v109, v95
	;;#ASMEND
	;;#ASMSTART
	v_dot2_f32_f16 v72, v118, v110, v72
	;;#ASMEND
	;;#ASMSTART
	v_dot2_f32_f16 v72, v119, v111, v72
	;;#ASMEND
	;;#ASMSTART
	v_dot2_f32_f16 v72, v120, v112, v72
	;;#ASMEND
	;;#ASMSTART
	v_dot2_f32_f16 v72, v121, v113, v72
	;;#ASMEND
	;;#ASMSTART
	v_dot2_f32_f16 v70, v118, v114, v70
	;;#ASMEND
	;;#ASMSTART
	v_dot2_f32_f16 v70, v119, v115, v70
	;;#ASMEND
	;;#ASMSTART
	v_dot2_f32_f16 v70, v120, v116, v70
	;;#ASMEND
	;;#ASMSTART
	v_dot2_f32_f16 v70, v121, v117, v70
	;;#ASMEND
	ds_load_b128 v[98:101], v68 offset:16
	ds_load_b128 v[102:105], v75 offset:16
	;; [unrolled: 1-line block ×6, first 2 shown]
	s_waitcnt lgkmcnt(4)
	;;#ASMSTART
	v_dot2_f32_f16 v96, v98, v102, v96
	;;#ASMEND
	;;#ASMSTART
	v_dot2_f32_f16 v96, v99, v103, v96
	;;#ASMEND
	;;#ASMSTART
	v_dot2_f32_f16 v96, v100, v104, v96
	;;#ASMEND
	;;#ASMSTART
	v_dot2_f32_f16 v96, v101, v105, v96
	;;#ASMEND
	s_waitcnt lgkmcnt(3)
	;;#ASMSTART
	v_dot2_f32_f16 v94, v98, v106, v94
	;;#ASMEND
	;;#ASMSTART
	v_dot2_f32_f16 v94, v99, v107, v94
	;;#ASMEND
	;;#ASMSTART
	v_dot2_f32_f16 v94, v100, v108, v94
	;;#ASMEND
	;;#ASMSTART
	v_dot2_f32_f16 v94, v101, v109, v94
	;;#ASMEND
	;; [unrolled: 13-line block ×5, first 2 shown]
	;;#ASMSTART
	v_dot2_f32_f16 v95, v118, v106, v95
	;;#ASMEND
	;;#ASMSTART
	v_dot2_f32_f16 v95, v119, v107, v95
	;;#ASMEND
	;; [unrolled: 3-line block ×12, first 2 shown]
	ds_load_b128 v[98:101], v68 offset:32
	ds_load_b128 v[102:105], v75 offset:32
	;; [unrolled: 1-line block ×6, first 2 shown]
	s_waitcnt lgkmcnt(4)
	;;#ASMSTART
	v_dot2_f32_f16 v96, v98, v102, v96
	;;#ASMEND
	;;#ASMSTART
	v_dot2_f32_f16 v96, v99, v103, v96
	;;#ASMEND
	;;#ASMSTART
	v_dot2_f32_f16 v96, v100, v104, v96
	;;#ASMEND
	;;#ASMSTART
	v_dot2_f32_f16 v96, v101, v105, v96
	;;#ASMEND
	s_waitcnt lgkmcnt(3)
	;;#ASMSTART
	v_dot2_f32_f16 v94, v98, v106, v94
	;;#ASMEND
	;;#ASMSTART
	v_dot2_f32_f16 v94, v99, v107, v94
	;;#ASMEND
	;;#ASMSTART
	v_dot2_f32_f16 v94, v100, v108, v94
	;;#ASMEND
	;;#ASMSTART
	v_dot2_f32_f16 v94, v101, v109, v94
	;;#ASMEND
	;; [unrolled: 13-line block ×5, first 2 shown]
	;;#ASMSTART
	v_dot2_f32_f16 v95, v118, v106, v95
	;;#ASMEND
	;;#ASMSTART
	v_dot2_f32_f16 v95, v119, v107, v95
	;;#ASMEND
	;; [unrolled: 3-line block ×12, first 2 shown]
	ds_load_b128 v[98:101], v68 offset:48
	ds_load_b128 v[102:105], v75 offset:48
	;; [unrolled: 1-line block ×6, first 2 shown]
	s_waitcnt lgkmcnt(4)
	;;#ASMSTART
	v_dot2_f32_f16 v96, v98, v102, v96
	;;#ASMEND
	;;#ASMSTART
	v_dot2_f32_f16 v96, v99, v103, v96
	;;#ASMEND
	;;#ASMSTART
	v_dot2_f32_f16 v96, v100, v104, v96
	;;#ASMEND
	;;#ASMSTART
	v_dot2_f32_f16 v96, v101, v105, v96
	;;#ASMEND
	s_waitcnt lgkmcnt(3)
	;;#ASMSTART
	v_dot2_f32_f16 v94, v98, v106, v94
	;;#ASMEND
	;;#ASMSTART
	v_dot2_f32_f16 v94, v99, v107, v94
	;;#ASMEND
	;;#ASMSTART
	v_dot2_f32_f16 v94, v100, v108, v94
	;;#ASMEND
	;;#ASMSTART
	v_dot2_f32_f16 v94, v101, v109, v94
	;;#ASMEND
	;; [unrolled: 13-line block ×5, first 2 shown]
	;;#ASMSTART
	v_dot2_f32_f16 v95, v118, v106, v95
	;;#ASMEND
	;;#ASMSTART
	v_dot2_f32_f16 v95, v119, v107, v95
	;;#ASMEND
	;; [unrolled: 3-line block ×12, first 2 shown]
	ds_load_b128 v[98:101], v68 offset:64
	ds_load_b128 v[102:105], v75 offset:64
	;; [unrolled: 1-line block ×6, first 2 shown]
	s_waitcnt lgkmcnt(4)
	;;#ASMSTART
	v_dot2_f32_f16 v96, v98, v102, v96
	;;#ASMEND
	;;#ASMSTART
	v_dot2_f32_f16 v96, v99, v103, v96
	;;#ASMEND
	;;#ASMSTART
	v_dot2_f32_f16 v96, v100, v104, v96
	;;#ASMEND
	;;#ASMSTART
	v_dot2_f32_f16 v96, v101, v105, v96
	;;#ASMEND
	s_waitcnt lgkmcnt(3)
	;;#ASMSTART
	v_dot2_f32_f16 v94, v98, v106, v94
	;;#ASMEND
	;;#ASMSTART
	v_dot2_f32_f16 v94, v99, v107, v94
	;;#ASMEND
	;;#ASMSTART
	v_dot2_f32_f16 v94, v100, v108, v94
	;;#ASMEND
	;;#ASMSTART
	v_dot2_f32_f16 v94, v101, v109, v94
	;;#ASMEND
	;; [unrolled: 13-line block ×5, first 2 shown]
	;;#ASMSTART
	v_dot2_f32_f16 v95, v118, v106, v95
	;;#ASMEND
	;;#ASMSTART
	v_dot2_f32_f16 v95, v119, v107, v95
	;;#ASMEND
	;; [unrolled: 3-line block ×12, first 2 shown]
	ds_load_b128 v[98:101], v68 offset:80
	ds_load_b128 v[102:105], v75 offset:80
	;; [unrolled: 1-line block ×6, first 2 shown]
	s_waitcnt lgkmcnt(4)
	;;#ASMSTART
	v_dot2_f32_f16 v96, v98, v102, v96
	;;#ASMEND
	;;#ASMSTART
	v_dot2_f32_f16 v96, v99, v103, v96
	;;#ASMEND
	;;#ASMSTART
	v_dot2_f32_f16 v96, v100, v104, v96
	;;#ASMEND
	;;#ASMSTART
	v_dot2_f32_f16 v96, v101, v105, v96
	;;#ASMEND
	s_waitcnt lgkmcnt(3)
	;;#ASMSTART
	v_dot2_f32_f16 v94, v98, v106, v94
	;;#ASMEND
	;;#ASMSTART
	v_dot2_f32_f16 v94, v99, v107, v94
	;;#ASMEND
	;;#ASMSTART
	v_dot2_f32_f16 v94, v100, v108, v94
	;;#ASMEND
	;;#ASMSTART
	v_dot2_f32_f16 v94, v101, v109, v94
	;;#ASMEND
	;; [unrolled: 13-line block ×5, first 2 shown]
	;;#ASMSTART
	v_dot2_f32_f16 v95, v118, v106, v95
	;;#ASMEND
	;;#ASMSTART
	v_dot2_f32_f16 v95, v119, v107, v95
	;;#ASMEND
	;; [unrolled: 3-line block ×12, first 2 shown]
	ds_load_b128 v[98:101], v68 offset:96
	ds_load_b128 v[102:105], v75 offset:96
	;; [unrolled: 1-line block ×6, first 2 shown]
	s_waitcnt lgkmcnt(4)
	;;#ASMSTART
	v_dot2_f32_f16 v96, v98, v102, v96
	;;#ASMEND
	;;#ASMSTART
	v_dot2_f32_f16 v96, v99, v103, v96
	;;#ASMEND
	;;#ASMSTART
	v_dot2_f32_f16 v96, v100, v104, v96
	;;#ASMEND
	;;#ASMSTART
	v_dot2_f32_f16 v96, v101, v105, v96
	;;#ASMEND
	s_waitcnt lgkmcnt(3)
	;;#ASMSTART
	v_dot2_f32_f16 v94, v98, v106, v94
	;;#ASMEND
	;;#ASMSTART
	v_dot2_f32_f16 v94, v99, v107, v94
	;;#ASMEND
	;;#ASMSTART
	v_dot2_f32_f16 v94, v100, v108, v94
	;;#ASMEND
	;;#ASMSTART
	v_dot2_f32_f16 v94, v101, v109, v94
	;;#ASMEND
	;; [unrolled: 13-line block ×5, first 2 shown]
	;;#ASMSTART
	v_dot2_f32_f16 v95, v118, v106, v95
	;;#ASMEND
	;;#ASMSTART
	v_dot2_f32_f16 v95, v119, v107, v95
	;;#ASMEND
	;;#ASMSTART
	v_dot2_f32_f16 v95, v120, v108, v95
	;;#ASMEND
	;;#ASMSTART
	v_dot2_f32_f16 v95, v121, v109, v95
	;;#ASMEND
	;;#ASMSTART
	v_dot2_f32_f16 v72, v118, v110, v72
	;;#ASMEND
	;;#ASMSTART
	v_dot2_f32_f16 v72, v119, v111, v72
	;;#ASMEND
	;;#ASMSTART
	v_dot2_f32_f16 v72, v120, v112, v72
	;;#ASMEND
	;;#ASMSTART
	v_dot2_f32_f16 v72, v121, v113, v72
	;;#ASMEND
	;;#ASMSTART
	v_dot2_f32_f16 v70, v118, v114, v70
	;;#ASMEND
	;;#ASMSTART
	v_dot2_f32_f16 v70, v119, v115, v70
	;;#ASMEND
	;;#ASMSTART
	v_dot2_f32_f16 v70, v120, v116, v70
	;;#ASMEND
	;;#ASMSTART
	v_dot2_f32_f16 v70, v121, v117, v70
	;;#ASMEND
	ds_load_b128 v[98:101], v68 offset:112
	ds_load_b128 v[102:105], v75 offset:112
	;; [unrolled: 1-line block ×6, first 2 shown]
	s_waitcnt lgkmcnt(4)
	;;#ASMSTART
	v_dot2_f32_f16 v96, v98, v102, v96
	;;#ASMEND
	;;#ASMSTART
	v_dot2_f32_f16 v96, v99, v103, v96
	;;#ASMEND
	;;#ASMSTART
	v_dot2_f32_f16 v96, v100, v104, v96
	;;#ASMEND
	;;#ASMSTART
	v_dot2_f32_f16 v96, v101, v105, v96
	;;#ASMEND
	s_waitcnt lgkmcnt(3)
	;;#ASMSTART
	v_dot2_f32_f16 v94, v98, v106, v94
	;;#ASMEND
	;;#ASMSTART
	v_dot2_f32_f16 v94, v99, v107, v94
	;;#ASMEND
	;;#ASMSTART
	v_dot2_f32_f16 v94, v100, v108, v94
	;;#ASMEND
	;;#ASMSTART
	v_dot2_f32_f16 v94, v101, v109, v94
	;;#ASMEND
	;; [unrolled: 13-line block ×5, first 2 shown]
	;;#ASMSTART
	v_dot2_f32_f16 v95, v118, v106, v95
	;;#ASMEND
	;;#ASMSTART
	v_dot2_f32_f16 v95, v119, v107, v95
	;;#ASMEND
	;; [unrolled: 3-line block ×12, first 2 shown]
	ds_load_b128 v[98:101], v68 offset:128
	ds_load_b128 v[102:105], v75 offset:128
	;; [unrolled: 1-line block ×6, first 2 shown]
	s_waitcnt lgkmcnt(4)
	;;#ASMSTART
	v_dot2_f32_f16 v96, v98, v102, v96
	;;#ASMEND
	;;#ASMSTART
	v_dot2_f32_f16 v96, v99, v103, v96
	;;#ASMEND
	;;#ASMSTART
	v_dot2_f32_f16 v96, v100, v104, v96
	;;#ASMEND
	;;#ASMSTART
	v_dot2_f32_f16 v96, v101, v105, v96
	;;#ASMEND
	s_waitcnt lgkmcnt(3)
	;;#ASMSTART
	v_dot2_f32_f16 v94, v98, v106, v94
	;;#ASMEND
	;;#ASMSTART
	v_dot2_f32_f16 v94, v99, v107, v94
	;;#ASMEND
	;;#ASMSTART
	v_dot2_f32_f16 v94, v100, v108, v94
	;;#ASMEND
	;;#ASMSTART
	v_dot2_f32_f16 v94, v101, v109, v94
	;;#ASMEND
	;; [unrolled: 13-line block ×5, first 2 shown]
	;;#ASMSTART
	v_dot2_f32_f16 v95, v118, v106, v95
	;;#ASMEND
	;;#ASMSTART
	v_dot2_f32_f16 v95, v119, v107, v95
	;;#ASMEND
	;; [unrolled: 3-line block ×12, first 2 shown]
	ds_load_b128 v[98:101], v68 offset:144
	ds_load_b128 v[102:105], v75 offset:144
	;; [unrolled: 1-line block ×6, first 2 shown]
	s_waitcnt lgkmcnt(4)
	;;#ASMSTART
	v_dot2_f32_f16 v96, v98, v102, v96
	;;#ASMEND
	;;#ASMSTART
	v_dot2_f32_f16 v96, v99, v103, v96
	;;#ASMEND
	;;#ASMSTART
	v_dot2_f32_f16 v96, v100, v104, v96
	;;#ASMEND
	;;#ASMSTART
	v_dot2_f32_f16 v96, v101, v105, v96
	;;#ASMEND
	s_waitcnt lgkmcnt(3)
	;;#ASMSTART
	v_dot2_f32_f16 v94, v98, v106, v94
	;;#ASMEND
	;;#ASMSTART
	v_dot2_f32_f16 v94, v99, v107, v94
	;;#ASMEND
	;;#ASMSTART
	v_dot2_f32_f16 v94, v100, v108, v94
	;;#ASMEND
	;;#ASMSTART
	v_dot2_f32_f16 v94, v101, v109, v94
	;;#ASMEND
	;; [unrolled: 13-line block ×5, first 2 shown]
	;;#ASMSTART
	v_dot2_f32_f16 v95, v118, v106, v95
	;;#ASMEND
	;;#ASMSTART
	v_dot2_f32_f16 v95, v119, v107, v95
	;;#ASMEND
	;; [unrolled: 3-line block ×12, first 2 shown]
	ds_load_b128 v[98:101], v68 offset:160
	ds_load_b128 v[102:105], v75 offset:160
	;; [unrolled: 1-line block ×6, first 2 shown]
	s_waitcnt lgkmcnt(4)
	;;#ASMSTART
	v_dot2_f32_f16 v96, v98, v102, v96
	;;#ASMEND
	;;#ASMSTART
	v_dot2_f32_f16 v96, v99, v103, v96
	;;#ASMEND
	;;#ASMSTART
	v_dot2_f32_f16 v96, v100, v104, v96
	;;#ASMEND
	;;#ASMSTART
	v_dot2_f32_f16 v96, v101, v105, v96
	;;#ASMEND
	s_waitcnt lgkmcnt(3)
	;;#ASMSTART
	v_dot2_f32_f16 v94, v98, v106, v94
	;;#ASMEND
	;;#ASMSTART
	v_dot2_f32_f16 v94, v99, v107, v94
	;;#ASMEND
	;;#ASMSTART
	v_dot2_f32_f16 v94, v100, v108, v94
	;;#ASMEND
	;;#ASMSTART
	v_dot2_f32_f16 v94, v101, v109, v94
	;;#ASMEND
	;; [unrolled: 13-line block ×5, first 2 shown]
	;;#ASMSTART
	v_dot2_f32_f16 v95, v118, v106, v95
	;;#ASMEND
	;;#ASMSTART
	v_dot2_f32_f16 v95, v119, v107, v95
	;;#ASMEND
	;; [unrolled: 3-line block ×12, first 2 shown]
	ds_load_b128 v[98:101], v68 offset:176
	ds_load_b128 v[102:105], v75 offset:176
	ds_load_b128 v[106:109], v75 offset:688
	ds_load_b128 v[110:113], v75 offset:1200
	ds_load_b128 v[114:117], v75 offset:1712
	ds_load_b128 v[118:121], v68 offset:8880
	s_waitcnt lgkmcnt(4)
	;;#ASMSTART
	v_dot2_f32_f16 v96, v98, v102, v96
	;;#ASMEND
	;;#ASMSTART
	v_dot2_f32_f16 v96, v99, v103, v96
	;;#ASMEND
	;;#ASMSTART
	v_dot2_f32_f16 v96, v100, v104, v96
	;;#ASMEND
	;;#ASMSTART
	v_dot2_f32_f16 v96, v101, v105, v96
	;;#ASMEND
	s_waitcnt lgkmcnt(3)
	;;#ASMSTART
	v_dot2_f32_f16 v94, v98, v106, v94
	;;#ASMEND
	;;#ASMSTART
	v_dot2_f32_f16 v94, v99, v107, v94
	;;#ASMEND
	;;#ASMSTART
	v_dot2_f32_f16 v94, v100, v108, v94
	;;#ASMEND
	;;#ASMSTART
	v_dot2_f32_f16 v94, v101, v109, v94
	;;#ASMEND
	;; [unrolled: 13-line block ×5, first 2 shown]
	;;#ASMSTART
	v_dot2_f32_f16 v95, v118, v106, v95
	;;#ASMEND
	;;#ASMSTART
	v_dot2_f32_f16 v95, v119, v107, v95
	;;#ASMEND
	;; [unrolled: 3-line block ×12, first 2 shown]
	ds_load_b128 v[98:101], v68 offset:192
	ds_load_b128 v[102:105], v75 offset:192
	;; [unrolled: 1-line block ×6, first 2 shown]
	s_waitcnt lgkmcnt(4)
	;;#ASMSTART
	v_dot2_f32_f16 v96, v98, v102, v96
	;;#ASMEND
	;;#ASMSTART
	v_dot2_f32_f16 v96, v99, v103, v96
	;;#ASMEND
	;;#ASMSTART
	v_dot2_f32_f16 v96, v100, v104, v96
	;;#ASMEND
	;;#ASMSTART
	v_dot2_f32_f16 v96, v101, v105, v96
	;;#ASMEND
	s_waitcnt lgkmcnt(3)
	;;#ASMSTART
	v_dot2_f32_f16 v94, v98, v106, v94
	;;#ASMEND
	;;#ASMSTART
	v_dot2_f32_f16 v94, v99, v107, v94
	;;#ASMEND
	;;#ASMSTART
	v_dot2_f32_f16 v94, v100, v108, v94
	;;#ASMEND
	;;#ASMSTART
	v_dot2_f32_f16 v94, v101, v109, v94
	;;#ASMEND
	;; [unrolled: 13-line block ×5, first 2 shown]
	;;#ASMSTART
	v_dot2_f32_f16 v95, v118, v106, v95
	;;#ASMEND
	;;#ASMSTART
	v_dot2_f32_f16 v95, v119, v107, v95
	;;#ASMEND
	;;#ASMSTART
	v_dot2_f32_f16 v95, v120, v108, v95
	;;#ASMEND
	;;#ASMSTART
	v_dot2_f32_f16 v95, v121, v109, v95
	;;#ASMEND
	;;#ASMSTART
	v_dot2_f32_f16 v72, v118, v110, v72
	;;#ASMEND
	;;#ASMSTART
	v_dot2_f32_f16 v72, v119, v111, v72
	;;#ASMEND
	;;#ASMSTART
	v_dot2_f32_f16 v72, v120, v112, v72
	;;#ASMEND
	;;#ASMSTART
	v_dot2_f32_f16 v72, v121, v113, v72
	;;#ASMEND
	;;#ASMSTART
	v_dot2_f32_f16 v70, v118, v114, v70
	;;#ASMEND
	;;#ASMSTART
	v_dot2_f32_f16 v70, v119, v115, v70
	;;#ASMEND
	;;#ASMSTART
	v_dot2_f32_f16 v70, v120, v116, v70
	;;#ASMEND
	;;#ASMSTART
	v_dot2_f32_f16 v70, v121, v117, v70
	;;#ASMEND
	ds_load_b128 v[98:101], v68 offset:208
	ds_load_b128 v[102:105], v75 offset:208
	;; [unrolled: 1-line block ×6, first 2 shown]
	s_waitcnt lgkmcnt(4)
	;;#ASMSTART
	v_dot2_f32_f16 v96, v98, v102, v96
	;;#ASMEND
	;;#ASMSTART
	v_dot2_f32_f16 v96, v99, v103, v96
	;;#ASMEND
	;;#ASMSTART
	v_dot2_f32_f16 v96, v100, v104, v96
	;;#ASMEND
	;;#ASMSTART
	v_dot2_f32_f16 v96, v101, v105, v96
	;;#ASMEND
	s_waitcnt lgkmcnt(3)
	;;#ASMSTART
	v_dot2_f32_f16 v94, v98, v106, v94
	;;#ASMEND
	;;#ASMSTART
	v_dot2_f32_f16 v94, v99, v107, v94
	;;#ASMEND
	;;#ASMSTART
	v_dot2_f32_f16 v94, v100, v108, v94
	;;#ASMEND
	;;#ASMSTART
	v_dot2_f32_f16 v94, v101, v109, v94
	;;#ASMEND
	;; [unrolled: 13-line block ×5, first 2 shown]
	;;#ASMSTART
	v_dot2_f32_f16 v95, v118, v106, v95
	;;#ASMEND
	;;#ASMSTART
	v_dot2_f32_f16 v95, v119, v107, v95
	;;#ASMEND
	;; [unrolled: 3-line block ×12, first 2 shown]
	ds_load_b128 v[98:101], v68 offset:224
	ds_load_b128 v[102:105], v75 offset:224
	;; [unrolled: 1-line block ×6, first 2 shown]
	s_waitcnt lgkmcnt(4)
	;;#ASMSTART
	v_dot2_f32_f16 v96, v98, v102, v96
	;;#ASMEND
	;;#ASMSTART
	v_dot2_f32_f16 v96, v99, v103, v96
	;;#ASMEND
	;;#ASMSTART
	v_dot2_f32_f16 v96, v100, v104, v96
	;;#ASMEND
	;;#ASMSTART
	v_dot2_f32_f16 v96, v101, v105, v96
	;;#ASMEND
	s_waitcnt lgkmcnt(3)
	;;#ASMSTART
	v_dot2_f32_f16 v94, v98, v106, v94
	;;#ASMEND
	;;#ASMSTART
	v_dot2_f32_f16 v94, v99, v107, v94
	;;#ASMEND
	;;#ASMSTART
	v_dot2_f32_f16 v94, v100, v108, v94
	;;#ASMEND
	;;#ASMSTART
	v_dot2_f32_f16 v94, v101, v109, v94
	;;#ASMEND
	;; [unrolled: 13-line block ×5, first 2 shown]
	;;#ASMSTART
	v_dot2_f32_f16 v95, v118, v106, v95
	;;#ASMEND
	;;#ASMSTART
	v_dot2_f32_f16 v95, v119, v107, v95
	;;#ASMEND
	;; [unrolled: 3-line block ×12, first 2 shown]
	ds_load_b128 v[98:101], v68 offset:240
	ds_load_b128 v[102:105], v75 offset:240
	;; [unrolled: 1-line block ×6, first 2 shown]
	s_waitcnt lgkmcnt(4)
	;;#ASMSTART
	v_dot2_f32_f16 v96, v98, v102, v96
	;;#ASMEND
	;;#ASMSTART
	v_dot2_f32_f16 v96, v99, v103, v96
	;;#ASMEND
	;;#ASMSTART
	v_dot2_f32_f16 v96, v100, v104, v96
	;;#ASMEND
	;;#ASMSTART
	v_dot2_f32_f16 v96, v101, v105, v96
	;;#ASMEND
	s_waitcnt lgkmcnt(3)
	;;#ASMSTART
	v_dot2_f32_f16 v94, v98, v106, v94
	;;#ASMEND
	;;#ASMSTART
	v_dot2_f32_f16 v94, v99, v107, v94
	;;#ASMEND
	;;#ASMSTART
	v_dot2_f32_f16 v94, v100, v108, v94
	;;#ASMEND
	;;#ASMSTART
	v_dot2_f32_f16 v94, v101, v109, v94
	;;#ASMEND
	;; [unrolled: 13-line block ×5, first 2 shown]
	;;#ASMSTART
	v_dot2_f32_f16 v95, v118, v106, v95
	;;#ASMEND
	;;#ASMSTART
	v_dot2_f32_f16 v95, v119, v107, v95
	;;#ASMEND
	;; [unrolled: 3-line block ×12, first 2 shown]
	s_barrier
	buffer_gl0_inv
	s_clause 0x3
	global_load_b128 v[98:101], v[1:2], off offset:256
	global_load_b128 v[1:4], v[3:4], off offset:256
	;; [unrolled: 1-line block ×4, first 2 shown]
	s_waitcnt vmcnt(3)
	ds_store_b128 v76, v[98:101]
	s_waitcnt vmcnt(2)
	ds_store_b128 v77, v[1:4]
	;; [unrolled: 2-line block ×4, first 2 shown]
	s_waitcnt lgkmcnt(0)
	s_barrier
	buffer_gl0_inv
	ds_load_b128 v[1:4], v68
	ds_load_b128 v[5:8], v75 offset:256
	ds_load_b128 v[98:101], v75 offset:768
	;; [unrolled: 1-line block ×5, first 2 shown]
	s_waitcnt lgkmcnt(4)
	;;#ASMSTART
	v_dot2_f32_f16 v96, v1, v5, v96
	;;#ASMEND
	;;#ASMSTART
	v_dot2_f32_f16 v96, v2, v6, v96
	;;#ASMEND
	;;#ASMSTART
	v_dot2_f32_f16 v96, v3, v7, v96
	;;#ASMEND
	;;#ASMSTART
	v_dot2_f32_f16 v96, v4, v8, v96
	;;#ASMEND
	s_waitcnt lgkmcnt(3)
	;;#ASMSTART
	v_dot2_f32_f16 v94, v1, v98, v94
	;;#ASMEND
	;;#ASMSTART
	v_dot2_f32_f16 v94, v2, v99, v94
	;;#ASMEND
	;;#ASMSTART
	v_dot2_f32_f16 v94, v3, v100, v94
	;;#ASMEND
	;;#ASMSTART
	v_dot2_f32_f16 v94, v4, v101, v94
	;;#ASMEND
	;; [unrolled: 13-line block ×5, first 2 shown]
	;;#ASMSTART
	v_dot2_f32_f16 v95, v110, v98, v95
	;;#ASMEND
	;;#ASMSTART
	v_dot2_f32_f16 v95, v111, v99, v95
	;;#ASMEND
	;; [unrolled: 3-line block ×12, first 2 shown]
	ds_load_b128 v[1:4], v68 offset:16
	ds_load_b128 v[5:8], v75 offset:272
	;; [unrolled: 1-line block ×6, first 2 shown]
	s_waitcnt lgkmcnt(4)
	;;#ASMSTART
	v_dot2_f32_f16 v96, v1, v5, v96
	;;#ASMEND
	;;#ASMSTART
	v_dot2_f32_f16 v96, v2, v6, v96
	;;#ASMEND
	;;#ASMSTART
	v_dot2_f32_f16 v96, v3, v7, v96
	;;#ASMEND
	;;#ASMSTART
	v_dot2_f32_f16 v96, v4, v8, v96
	;;#ASMEND
	s_waitcnt lgkmcnt(3)
	;;#ASMSTART
	v_dot2_f32_f16 v94, v1, v98, v94
	;;#ASMEND
	;;#ASMSTART
	v_dot2_f32_f16 v94, v2, v99, v94
	;;#ASMEND
	;;#ASMSTART
	v_dot2_f32_f16 v94, v3, v100, v94
	;;#ASMEND
	;;#ASMSTART
	v_dot2_f32_f16 v94, v4, v101, v94
	;;#ASMEND
	;; [unrolled: 13-line block ×5, first 2 shown]
	;;#ASMSTART
	v_dot2_f32_f16 v95, v110, v98, v95
	;;#ASMEND
	;;#ASMSTART
	v_dot2_f32_f16 v95, v111, v99, v95
	;;#ASMEND
	;; [unrolled: 3-line block ×12, first 2 shown]
	ds_load_b128 v[1:4], v68 offset:32
	ds_load_b128 v[5:8], v75 offset:288
	ds_load_b128 v[98:101], v75 offset:800
	ds_load_b128 v[102:105], v75 offset:1312
	ds_load_b128 v[106:109], v75 offset:1824
	ds_load_b128 v[110:113], v68 offset:8736
	s_waitcnt lgkmcnt(4)
	;;#ASMSTART
	v_dot2_f32_f16 v96, v1, v5, v96
	;;#ASMEND
	;;#ASMSTART
	v_dot2_f32_f16 v96, v2, v6, v96
	;;#ASMEND
	;;#ASMSTART
	v_dot2_f32_f16 v96, v3, v7, v96
	;;#ASMEND
	;;#ASMSTART
	v_dot2_f32_f16 v96, v4, v8, v96
	;;#ASMEND
	s_waitcnt lgkmcnt(3)
	;;#ASMSTART
	v_dot2_f32_f16 v94, v1, v98, v94
	;;#ASMEND
	;;#ASMSTART
	v_dot2_f32_f16 v94, v2, v99, v94
	;;#ASMEND
	;;#ASMSTART
	v_dot2_f32_f16 v94, v3, v100, v94
	;;#ASMEND
	;;#ASMSTART
	v_dot2_f32_f16 v94, v4, v101, v94
	;;#ASMEND
	;; [unrolled: 13-line block ×5, first 2 shown]
	;;#ASMSTART
	v_dot2_f32_f16 v95, v110, v98, v95
	;;#ASMEND
	;;#ASMSTART
	v_dot2_f32_f16 v95, v111, v99, v95
	;;#ASMEND
	;; [unrolled: 3-line block ×12, first 2 shown]
	ds_load_b128 v[1:4], v68 offset:48
	ds_load_b128 v[5:8], v75 offset:304
	;; [unrolled: 1-line block ×6, first 2 shown]
	s_waitcnt lgkmcnt(4)
	;;#ASMSTART
	v_dot2_f32_f16 v96, v1, v5, v96
	;;#ASMEND
	;;#ASMSTART
	v_dot2_f32_f16 v96, v2, v6, v96
	;;#ASMEND
	;;#ASMSTART
	v_dot2_f32_f16 v96, v3, v7, v96
	;;#ASMEND
	;;#ASMSTART
	v_dot2_f32_f16 v96, v4, v8, v96
	;;#ASMEND
	s_waitcnt lgkmcnt(3)
	;;#ASMSTART
	v_dot2_f32_f16 v94, v1, v98, v94
	;;#ASMEND
	;;#ASMSTART
	v_dot2_f32_f16 v94, v2, v99, v94
	;;#ASMEND
	;;#ASMSTART
	v_dot2_f32_f16 v94, v3, v100, v94
	;;#ASMEND
	;;#ASMSTART
	v_dot2_f32_f16 v94, v4, v101, v94
	;;#ASMEND
	;; [unrolled: 13-line block ×5, first 2 shown]
	;;#ASMSTART
	v_dot2_f32_f16 v95, v110, v98, v95
	;;#ASMEND
	;;#ASMSTART
	v_dot2_f32_f16 v95, v111, v99, v95
	;;#ASMEND
	;; [unrolled: 3-line block ×12, first 2 shown]
	ds_load_b128 v[1:4], v68 offset:64
	ds_load_b128 v[5:8], v75 offset:320
	;; [unrolled: 1-line block ×6, first 2 shown]
	s_waitcnt lgkmcnt(4)
	;;#ASMSTART
	v_dot2_f32_f16 v96, v1, v5, v96
	;;#ASMEND
	;;#ASMSTART
	v_dot2_f32_f16 v96, v2, v6, v96
	;;#ASMEND
	;;#ASMSTART
	v_dot2_f32_f16 v96, v3, v7, v96
	;;#ASMEND
	;;#ASMSTART
	v_dot2_f32_f16 v96, v4, v8, v96
	;;#ASMEND
	s_waitcnt lgkmcnt(3)
	;;#ASMSTART
	v_dot2_f32_f16 v94, v1, v98, v94
	;;#ASMEND
	;;#ASMSTART
	v_dot2_f32_f16 v94, v2, v99, v94
	;;#ASMEND
	;;#ASMSTART
	v_dot2_f32_f16 v94, v3, v100, v94
	;;#ASMEND
	;;#ASMSTART
	v_dot2_f32_f16 v94, v4, v101, v94
	;;#ASMEND
	;; [unrolled: 13-line block ×5, first 2 shown]
	;;#ASMSTART
	v_dot2_f32_f16 v95, v110, v98, v95
	;;#ASMEND
	;;#ASMSTART
	v_dot2_f32_f16 v95, v111, v99, v95
	;;#ASMEND
	;; [unrolled: 3-line block ×12, first 2 shown]
	ds_load_b128 v[1:4], v68 offset:80
	ds_load_b128 v[5:8], v75 offset:336
	;; [unrolled: 1-line block ×6, first 2 shown]
	s_waitcnt lgkmcnt(4)
	;;#ASMSTART
	v_dot2_f32_f16 v96, v1, v5, v96
	;;#ASMEND
	;;#ASMSTART
	v_dot2_f32_f16 v96, v2, v6, v96
	;;#ASMEND
	;;#ASMSTART
	v_dot2_f32_f16 v96, v3, v7, v96
	;;#ASMEND
	;;#ASMSTART
	v_dot2_f32_f16 v96, v4, v8, v96
	;;#ASMEND
	s_waitcnt lgkmcnt(3)
	;;#ASMSTART
	v_dot2_f32_f16 v94, v1, v98, v94
	;;#ASMEND
	;;#ASMSTART
	v_dot2_f32_f16 v94, v2, v99, v94
	;;#ASMEND
	;;#ASMSTART
	v_dot2_f32_f16 v94, v3, v100, v94
	;;#ASMEND
	;;#ASMSTART
	v_dot2_f32_f16 v94, v4, v101, v94
	;;#ASMEND
	;; [unrolled: 13-line block ×5, first 2 shown]
	;;#ASMSTART
	v_dot2_f32_f16 v95, v110, v98, v95
	;;#ASMEND
	;;#ASMSTART
	v_dot2_f32_f16 v95, v111, v99, v95
	;;#ASMEND
	;; [unrolled: 3-line block ×12, first 2 shown]
	ds_load_b128 v[1:4], v68 offset:96
	ds_load_b128 v[5:8], v75 offset:352
	;; [unrolled: 1-line block ×6, first 2 shown]
	s_waitcnt lgkmcnt(4)
	;;#ASMSTART
	v_dot2_f32_f16 v96, v1, v5, v96
	;;#ASMEND
	;;#ASMSTART
	v_dot2_f32_f16 v96, v2, v6, v96
	;;#ASMEND
	;;#ASMSTART
	v_dot2_f32_f16 v96, v3, v7, v96
	;;#ASMEND
	;;#ASMSTART
	v_dot2_f32_f16 v96, v4, v8, v96
	;;#ASMEND
	s_waitcnt lgkmcnt(3)
	;;#ASMSTART
	v_dot2_f32_f16 v94, v1, v98, v94
	;;#ASMEND
	;;#ASMSTART
	v_dot2_f32_f16 v94, v2, v99, v94
	;;#ASMEND
	;;#ASMSTART
	v_dot2_f32_f16 v94, v3, v100, v94
	;;#ASMEND
	;;#ASMSTART
	v_dot2_f32_f16 v94, v4, v101, v94
	;;#ASMEND
	;; [unrolled: 13-line block ×5, first 2 shown]
	;;#ASMSTART
	v_dot2_f32_f16 v95, v110, v98, v95
	;;#ASMEND
	;;#ASMSTART
	v_dot2_f32_f16 v95, v111, v99, v95
	;;#ASMEND
	;; [unrolled: 3-line block ×12, first 2 shown]
	ds_load_b128 v[1:4], v68 offset:112
	ds_load_b128 v[5:8], v75 offset:368
	;; [unrolled: 1-line block ×6, first 2 shown]
	s_waitcnt lgkmcnt(4)
	;;#ASMSTART
	v_dot2_f32_f16 v96, v1, v5, v96
	;;#ASMEND
	;;#ASMSTART
	v_dot2_f32_f16 v96, v2, v6, v96
	;;#ASMEND
	;;#ASMSTART
	v_dot2_f32_f16 v96, v3, v7, v96
	;;#ASMEND
	;;#ASMSTART
	v_dot2_f32_f16 v96, v4, v8, v96
	;;#ASMEND
	s_waitcnt lgkmcnt(3)
	;;#ASMSTART
	v_dot2_f32_f16 v94, v1, v98, v94
	;;#ASMEND
	;;#ASMSTART
	v_dot2_f32_f16 v94, v2, v99, v94
	;;#ASMEND
	;;#ASMSTART
	v_dot2_f32_f16 v94, v3, v100, v94
	;;#ASMEND
	;;#ASMSTART
	v_dot2_f32_f16 v94, v4, v101, v94
	;;#ASMEND
	;; [unrolled: 13-line block ×5, first 2 shown]
	;;#ASMSTART
	v_dot2_f32_f16 v95, v110, v98, v95
	;;#ASMEND
	;;#ASMSTART
	v_dot2_f32_f16 v95, v111, v99, v95
	;;#ASMEND
	;;#ASMSTART
	v_dot2_f32_f16 v95, v112, v100, v95
	;;#ASMEND
	;;#ASMSTART
	v_dot2_f32_f16 v95, v113, v101, v95
	;;#ASMEND
	;;#ASMSTART
	v_dot2_f32_f16 v72, v110, v102, v72
	;;#ASMEND
	;;#ASMSTART
	v_dot2_f32_f16 v72, v111, v103, v72
	;;#ASMEND
	;;#ASMSTART
	v_dot2_f32_f16 v72, v112, v104, v72
	;;#ASMEND
	;;#ASMSTART
	v_dot2_f32_f16 v72, v113, v105, v72
	;;#ASMEND
	;;#ASMSTART
	v_dot2_f32_f16 v70, v110, v106, v70
	;;#ASMEND
	;;#ASMSTART
	v_dot2_f32_f16 v70, v111, v107, v70
	;;#ASMEND
	;;#ASMSTART
	v_dot2_f32_f16 v70, v112, v108, v70
	;;#ASMEND
	;;#ASMSTART
	v_dot2_f32_f16 v70, v113, v109, v70
	;;#ASMEND
	ds_load_b128 v[1:4], v68 offset:128
	ds_load_b128 v[5:8], v75 offset:384
	;; [unrolled: 1-line block ×6, first 2 shown]
	s_waitcnt lgkmcnt(4)
	;;#ASMSTART
	v_dot2_f32_f16 v96, v1, v5, v96
	;;#ASMEND
	;;#ASMSTART
	v_dot2_f32_f16 v96, v2, v6, v96
	;;#ASMEND
	;;#ASMSTART
	v_dot2_f32_f16 v96, v3, v7, v96
	;;#ASMEND
	;;#ASMSTART
	v_dot2_f32_f16 v96, v4, v8, v96
	;;#ASMEND
	s_waitcnt lgkmcnt(3)
	;;#ASMSTART
	v_dot2_f32_f16 v94, v1, v98, v94
	;;#ASMEND
	;;#ASMSTART
	v_dot2_f32_f16 v94, v2, v99, v94
	;;#ASMEND
	;;#ASMSTART
	v_dot2_f32_f16 v94, v3, v100, v94
	;;#ASMEND
	;;#ASMSTART
	v_dot2_f32_f16 v94, v4, v101, v94
	;;#ASMEND
	;; [unrolled: 13-line block ×5, first 2 shown]
	;;#ASMSTART
	v_dot2_f32_f16 v95, v110, v98, v95
	;;#ASMEND
	;;#ASMSTART
	v_dot2_f32_f16 v95, v111, v99, v95
	;;#ASMEND
	;;#ASMSTART
	v_dot2_f32_f16 v95, v112, v100, v95
	;;#ASMEND
	;;#ASMSTART
	v_dot2_f32_f16 v95, v113, v101, v95
	;;#ASMEND
	;;#ASMSTART
	v_dot2_f32_f16 v72, v110, v102, v72
	;;#ASMEND
	;;#ASMSTART
	v_dot2_f32_f16 v72, v111, v103, v72
	;;#ASMEND
	;;#ASMSTART
	v_dot2_f32_f16 v72, v112, v104, v72
	;;#ASMEND
	;;#ASMSTART
	v_dot2_f32_f16 v72, v113, v105, v72
	;;#ASMEND
	;;#ASMSTART
	v_dot2_f32_f16 v70, v110, v106, v70
	;;#ASMEND
	;;#ASMSTART
	v_dot2_f32_f16 v70, v111, v107, v70
	;;#ASMEND
	;;#ASMSTART
	v_dot2_f32_f16 v70, v112, v108, v70
	;;#ASMEND
	;;#ASMSTART
	v_dot2_f32_f16 v70, v113, v109, v70
	;;#ASMEND
	ds_load_b128 v[1:4], v68 offset:144
	ds_load_b128 v[5:8], v75 offset:400
	;; [unrolled: 1-line block ×6, first 2 shown]
	s_waitcnt lgkmcnt(4)
	;;#ASMSTART
	v_dot2_f32_f16 v96, v1, v5, v96
	;;#ASMEND
	;;#ASMSTART
	v_dot2_f32_f16 v96, v2, v6, v96
	;;#ASMEND
	;;#ASMSTART
	v_dot2_f32_f16 v96, v3, v7, v96
	;;#ASMEND
	;;#ASMSTART
	v_dot2_f32_f16 v96, v4, v8, v96
	;;#ASMEND
	s_waitcnt lgkmcnt(3)
	;;#ASMSTART
	v_dot2_f32_f16 v94, v1, v98, v94
	;;#ASMEND
	;;#ASMSTART
	v_dot2_f32_f16 v94, v2, v99, v94
	;;#ASMEND
	;;#ASMSTART
	v_dot2_f32_f16 v94, v3, v100, v94
	;;#ASMEND
	;;#ASMSTART
	v_dot2_f32_f16 v94, v4, v101, v94
	;;#ASMEND
	;; [unrolled: 13-line block ×5, first 2 shown]
	;;#ASMSTART
	v_dot2_f32_f16 v95, v110, v98, v95
	;;#ASMEND
	;;#ASMSTART
	v_dot2_f32_f16 v95, v111, v99, v95
	;;#ASMEND
	;; [unrolled: 3-line block ×12, first 2 shown]
	ds_load_b128 v[1:4], v68 offset:160
	ds_load_b128 v[5:8], v75 offset:416
	;; [unrolled: 1-line block ×6, first 2 shown]
	s_waitcnt lgkmcnt(4)
	;;#ASMSTART
	v_dot2_f32_f16 v96, v1, v5, v96
	;;#ASMEND
	;;#ASMSTART
	v_dot2_f32_f16 v96, v2, v6, v96
	;;#ASMEND
	;;#ASMSTART
	v_dot2_f32_f16 v96, v3, v7, v96
	;;#ASMEND
	;;#ASMSTART
	v_dot2_f32_f16 v96, v4, v8, v96
	;;#ASMEND
	s_waitcnt lgkmcnt(3)
	;;#ASMSTART
	v_dot2_f32_f16 v94, v1, v98, v94
	;;#ASMEND
	;;#ASMSTART
	v_dot2_f32_f16 v94, v2, v99, v94
	;;#ASMEND
	;;#ASMSTART
	v_dot2_f32_f16 v94, v3, v100, v94
	;;#ASMEND
	;;#ASMSTART
	v_dot2_f32_f16 v94, v4, v101, v94
	;;#ASMEND
	;; [unrolled: 13-line block ×5, first 2 shown]
	;;#ASMSTART
	v_dot2_f32_f16 v95, v110, v98, v95
	;;#ASMEND
	;;#ASMSTART
	v_dot2_f32_f16 v95, v111, v99, v95
	;;#ASMEND
	;; [unrolled: 3-line block ×12, first 2 shown]
	ds_load_b128 v[1:4], v68 offset:176
	ds_load_b128 v[5:8], v75 offset:432
	;; [unrolled: 1-line block ×6, first 2 shown]
	s_waitcnt lgkmcnt(4)
	;;#ASMSTART
	v_dot2_f32_f16 v96, v1, v5, v96
	;;#ASMEND
	;;#ASMSTART
	v_dot2_f32_f16 v96, v2, v6, v96
	;;#ASMEND
	;;#ASMSTART
	v_dot2_f32_f16 v96, v3, v7, v96
	;;#ASMEND
	;;#ASMSTART
	v_dot2_f32_f16 v96, v4, v8, v96
	;;#ASMEND
	s_waitcnt lgkmcnt(3)
	;;#ASMSTART
	v_dot2_f32_f16 v94, v1, v98, v94
	;;#ASMEND
	;;#ASMSTART
	v_dot2_f32_f16 v94, v2, v99, v94
	;;#ASMEND
	;;#ASMSTART
	v_dot2_f32_f16 v94, v3, v100, v94
	;;#ASMEND
	;;#ASMSTART
	v_dot2_f32_f16 v94, v4, v101, v94
	;;#ASMEND
	s_waitcnt lgkmcnt(2)
	;;#ASMSTART
	v_dot2_f32_f16 v71, v1, v102, v71
	;;#ASMEND
	;;#ASMSTART
	v_dot2_f32_f16 v71, v2, v103, v71
	;;#ASMEND
	;;#ASMSTART
	v_dot2_f32_f16 v71, v3, v104, v71
	;;#ASMEND
	;;#ASMSTART
	v_dot2_f32_f16 v71, v4, v105, v71
	;;#ASMEND
	s_waitcnt lgkmcnt(1)
	;;#ASMSTART
	v_dot2_f32_f16 v69, v1, v106, v69
	;;#ASMEND
	;;#ASMSTART
	v_dot2_f32_f16 v69, v2, v107, v69
	;;#ASMEND
	;;#ASMSTART
	v_dot2_f32_f16 v69, v3, v108, v69
	;;#ASMEND
	;;#ASMSTART
	v_dot2_f32_f16 v69, v4, v109, v69
	;;#ASMEND
	s_waitcnt lgkmcnt(0)
	;;#ASMSTART
	v_dot2_f32_f16 v97, v110, v5, v97
	;;#ASMEND
	;;#ASMSTART
	v_dot2_f32_f16 v97, v111, v6, v97
	;;#ASMEND
	;;#ASMSTART
	v_dot2_f32_f16 v97, v112, v7, v97
	;;#ASMEND
	;;#ASMSTART
	v_dot2_f32_f16 v97, v113, v8, v97
	;;#ASMEND
	;;#ASMSTART
	v_dot2_f32_f16 v95, v110, v98, v95
	;;#ASMEND
	;;#ASMSTART
	v_dot2_f32_f16 v95, v111, v99, v95
	;;#ASMEND
	;; [unrolled: 3-line block ×12, first 2 shown]
	ds_load_b128 v[1:4], v68 offset:192
	ds_load_b128 v[5:8], v75 offset:448
	;; [unrolled: 1-line block ×6, first 2 shown]
	s_waitcnt lgkmcnt(4)
	;;#ASMSTART
	v_dot2_f32_f16 v96, v1, v5, v96
	;;#ASMEND
	;;#ASMSTART
	v_dot2_f32_f16 v96, v2, v6, v96
	;;#ASMEND
	;;#ASMSTART
	v_dot2_f32_f16 v96, v3, v7, v96
	;;#ASMEND
	;;#ASMSTART
	v_dot2_f32_f16 v96, v4, v8, v96
	;;#ASMEND
	s_waitcnt lgkmcnt(3)
	;;#ASMSTART
	v_dot2_f32_f16 v94, v1, v98, v94
	;;#ASMEND
	;;#ASMSTART
	v_dot2_f32_f16 v94, v2, v99, v94
	;;#ASMEND
	;;#ASMSTART
	v_dot2_f32_f16 v94, v3, v100, v94
	;;#ASMEND
	;;#ASMSTART
	v_dot2_f32_f16 v94, v4, v101, v94
	;;#ASMEND
	;; [unrolled: 13-line block ×5, first 2 shown]
	;;#ASMSTART
	v_dot2_f32_f16 v95, v110, v98, v95
	;;#ASMEND
	;;#ASMSTART
	v_dot2_f32_f16 v95, v111, v99, v95
	;;#ASMEND
	;; [unrolled: 3-line block ×12, first 2 shown]
	ds_load_b128 v[1:4], v68 offset:208
	ds_load_b128 v[5:8], v75 offset:464
	;; [unrolled: 1-line block ×6, first 2 shown]
	s_waitcnt lgkmcnt(4)
	;;#ASMSTART
	v_dot2_f32_f16 v96, v1, v5, v96
	;;#ASMEND
	;;#ASMSTART
	v_dot2_f32_f16 v96, v2, v6, v96
	;;#ASMEND
	;;#ASMSTART
	v_dot2_f32_f16 v96, v3, v7, v96
	;;#ASMEND
	;;#ASMSTART
	v_dot2_f32_f16 v96, v4, v8, v96
	;;#ASMEND
	s_waitcnt lgkmcnt(3)
	;;#ASMSTART
	v_dot2_f32_f16 v94, v1, v98, v94
	;;#ASMEND
	;;#ASMSTART
	v_dot2_f32_f16 v94, v2, v99, v94
	;;#ASMEND
	;;#ASMSTART
	v_dot2_f32_f16 v94, v3, v100, v94
	;;#ASMEND
	;;#ASMSTART
	v_dot2_f32_f16 v94, v4, v101, v94
	;;#ASMEND
	s_waitcnt lgkmcnt(2)
	;;#ASMSTART
	v_dot2_f32_f16 v71, v1, v102, v71
	;;#ASMEND
	;;#ASMSTART
	v_dot2_f32_f16 v71, v2, v103, v71
	;;#ASMEND
	;;#ASMSTART
	v_dot2_f32_f16 v71, v3, v104, v71
	;;#ASMEND
	;;#ASMSTART
	v_dot2_f32_f16 v71, v4, v105, v71
	;;#ASMEND
	s_waitcnt lgkmcnt(1)
	;;#ASMSTART
	v_dot2_f32_f16 v69, v1, v106, v69
	;;#ASMEND
	;;#ASMSTART
	v_dot2_f32_f16 v69, v2, v107, v69
	;;#ASMEND
	;;#ASMSTART
	v_dot2_f32_f16 v69, v3, v108, v69
	;;#ASMEND
	;;#ASMSTART
	v_dot2_f32_f16 v69, v4, v109, v69
	;;#ASMEND
	s_waitcnt lgkmcnt(0)
	;;#ASMSTART
	v_dot2_f32_f16 v97, v110, v5, v97
	;;#ASMEND
	;;#ASMSTART
	v_dot2_f32_f16 v97, v111, v6, v97
	;;#ASMEND
	;;#ASMSTART
	v_dot2_f32_f16 v97, v112, v7, v97
	;;#ASMEND
	;;#ASMSTART
	v_dot2_f32_f16 v97, v113, v8, v97
	;;#ASMEND
	;;#ASMSTART
	v_dot2_f32_f16 v95, v110, v98, v95
	;;#ASMEND
	;;#ASMSTART
	v_dot2_f32_f16 v95, v111, v99, v95
	;;#ASMEND
	;;#ASMSTART
	v_dot2_f32_f16 v95, v112, v100, v95
	;;#ASMEND
	;;#ASMSTART
	v_dot2_f32_f16 v95, v113, v101, v95
	;;#ASMEND
	;;#ASMSTART
	v_dot2_f32_f16 v72, v110, v102, v72
	;;#ASMEND
	;;#ASMSTART
	v_dot2_f32_f16 v72, v111, v103, v72
	;;#ASMEND
	;;#ASMSTART
	v_dot2_f32_f16 v72, v112, v104, v72
	;;#ASMEND
	;;#ASMSTART
	v_dot2_f32_f16 v72, v113, v105, v72
	;;#ASMEND
	;;#ASMSTART
	v_dot2_f32_f16 v70, v110, v106, v70
	;;#ASMEND
	;;#ASMSTART
	v_dot2_f32_f16 v70, v111, v107, v70
	;;#ASMEND
	;;#ASMSTART
	v_dot2_f32_f16 v70, v112, v108, v70
	;;#ASMEND
	;;#ASMSTART
	v_dot2_f32_f16 v70, v113, v109, v70
	;;#ASMEND
	ds_load_b128 v[1:4], v68 offset:224
	ds_load_b128 v[5:8], v75 offset:480
	;; [unrolled: 1-line block ×6, first 2 shown]
	s_waitcnt lgkmcnt(4)
	;;#ASMSTART
	v_dot2_f32_f16 v96, v1, v5, v96
	;;#ASMEND
	;;#ASMSTART
	v_dot2_f32_f16 v96, v2, v6, v96
	;;#ASMEND
	;;#ASMSTART
	v_dot2_f32_f16 v96, v3, v7, v96
	;;#ASMEND
	;;#ASMSTART
	v_dot2_f32_f16 v96, v4, v8, v96
	;;#ASMEND
	s_waitcnt lgkmcnt(3)
	;;#ASMSTART
	v_dot2_f32_f16 v94, v1, v98, v94
	;;#ASMEND
	;;#ASMSTART
	v_dot2_f32_f16 v94, v2, v99, v94
	;;#ASMEND
	;;#ASMSTART
	v_dot2_f32_f16 v94, v3, v100, v94
	;;#ASMEND
	;;#ASMSTART
	v_dot2_f32_f16 v94, v4, v101, v94
	;;#ASMEND
	;; [unrolled: 13-line block ×5, first 2 shown]
	;;#ASMSTART
	v_dot2_f32_f16 v95, v110, v98, v95
	;;#ASMEND
	;;#ASMSTART
	v_dot2_f32_f16 v95, v111, v99, v95
	;;#ASMEND
	;;#ASMSTART
	v_dot2_f32_f16 v95, v112, v100, v95
	;;#ASMEND
	;;#ASMSTART
	v_dot2_f32_f16 v95, v113, v101, v95
	;;#ASMEND
	;;#ASMSTART
	v_dot2_f32_f16 v72, v110, v102, v72
	;;#ASMEND
	;;#ASMSTART
	v_dot2_f32_f16 v72, v111, v103, v72
	;;#ASMEND
	;;#ASMSTART
	v_dot2_f32_f16 v72, v112, v104, v72
	;;#ASMEND
	;;#ASMSTART
	v_dot2_f32_f16 v72, v113, v105, v72
	;;#ASMEND
	;;#ASMSTART
	v_dot2_f32_f16 v70, v110, v106, v70
	;;#ASMEND
	;;#ASMSTART
	v_dot2_f32_f16 v70, v111, v107, v70
	;;#ASMEND
	;;#ASMSTART
	v_dot2_f32_f16 v70, v112, v108, v70
	;;#ASMEND
	;;#ASMSTART
	v_dot2_f32_f16 v70, v113, v109, v70
	;;#ASMEND
	ds_load_b128 v[4:7], v68 offset:240
	ds_load_b128 v[98:101], v75 offset:496
	;; [unrolled: 1-line block ×6, first 2 shown]
	s_waitcnt lgkmcnt(4)
	;;#ASMSTART
	v_dot2_f32_f16 v96, v4, v98, v96
	;;#ASMEND
	;;#ASMSTART
	v_dot2_f32_f16 v96, v5, v99, v96
	;;#ASMEND
	;; [unrolled: 3-line block ×4, first 2 shown]
	s_waitcnt lgkmcnt(3)
	;;#ASMSTART
	v_dot2_f32_f16 v94, v4, v105, v94
	;;#ASMEND
	;;#ASMSTART
	v_dot2_f32_f16 v94, v5, v106, v94
	;;#ASMEND
	;; [unrolled: 3-line block ×4, first 2 shown]
	s_waitcnt lgkmcnt(2)
	;;#ASMSTART
	v_dot2_f32_f16 v71, v4, v109, v71
	;;#ASMEND
	;;#ASMSTART
	v_dot2_f32_f16 v71, v5, v110, v71
	;;#ASMEND
	;; [unrolled: 3-line block ×3, first 2 shown]
	v_dual_mov_b32 v3, 0 :: v_dual_add_nc_u32 v104, s12, v40
	;;#ASMSTART
	v_dot2_f32_f16 v71, v7, v112, v71
	;;#ASMEND
	s_waitcnt lgkmcnt(1)
	;;#ASMSTART
	v_dot2_f32_f16 v69, v4, v113, v69
	;;#ASMEND
	;;#ASMSTART
	v_dot2_f32_f16 v69, v5, v114, v69
	;;#ASMEND
	;;#ASMSTART
	v_dot2_f32_f16 v69, v6, v115, v69
	;;#ASMEND
	;;#ASMSTART
	v_dot2_f32_f16 v69, v7, v116, v69
	;;#ASMEND
	s_waitcnt lgkmcnt(0)
	;;#ASMSTART
	v_dot2_f32_f16 v97, v117, v98, v97
	;;#ASMEND
	;;#ASMSTART
	v_dot2_f32_f16 v97, v118, v99, v97
	;;#ASMEND
	v_add_nc_u32_e32 v1, v104, v80
	;;#ASMSTART
	v_dot2_f32_f16 v97, v119, v100, v97
	;;#ASMEND
	;;#ASMSTART
	v_dot2_f32_f16 v97, v120, v101, v97
	;;#ASMEND
	;; [unrolled: 3-line block ×7, first 2 shown]
	v_ashrrev_i32_e32 v2, 31, v1
	;;#ASMSTART
	v_dot2_f32_f16 v72, v118, v110, v72
	;;#ASMEND
	;;#ASMSTART
	v_dot2_f32_f16 v72, v119, v111, v72
	;;#ASMEND
	;; [unrolled: 3-line block ×7, first 2 shown]
	s_cbranch_vccnz .LBB42_10
; %bb.9:                                ;   in Loop: Header=BB42_8 Depth=1
	v_lshlrev_b64 v[3:4], 1, v[1:2]
	s_delay_alu instid0(VALU_DEP_1) | instskip(NEXT) | instid1(VALU_DEP_2)
	v_add_co_u32 v3, vcc_lo, s40, v3
	v_add_co_ci_u32_e32 v4, vcc_lo, s41, v4, vcc_lo
	flat_load_u16 v3, v[3:4]
	s_waitcnt vmcnt(0) lgkmcnt(0)
	v_cvt_f32_f16_e32 v3, v3
	s_delay_alu instid0(VALU_DEP_1)
	v_mul_f32_e32 v3, v48, v3
.LBB42_10:                              ;   in Loop: Header=BB42_8 Depth=1
	v_mov_b32_e32 v100, 0
	v_mov_b32_e32 v4, 0
	s_and_not1_b32 vcc_lo, exec_lo, s8
	s_cbranch_vccnz .LBB42_12
; %bb.11:                               ;   in Loop: Header=BB42_8 Depth=1
	v_lshlrev_b64 v[1:2], 1, v[1:2]
	s_delay_alu instid0(VALU_DEP_1) | instskip(NEXT) | instid1(VALU_DEP_2)
	v_add_co_u32 v1, vcc_lo, s9, v1
	v_add_co_ci_u32_e32 v2, vcc_lo, s19, v2, vcc_lo
	flat_load_u16 v1, v[1:2]
	s_waitcnt vmcnt(0) lgkmcnt(0)
	v_cvt_f32_f16_e32 v1, v1
	s_delay_alu instid0(VALU_DEP_1)
	v_mul_f32_e32 v4, v48, v1
.LBB42_12:                              ;   in Loop: Header=BB42_8 Depth=1
	v_xor_b32_e32 v1, 16, v89
	s_delay_alu instid0(VALU_DEP_2) | instskip(NEXT) | instid1(VALU_DEP_2)
	v_dual_add_f32 v7, v96, v3 :: v_dual_add_f32 v96, v97, v4
	v_cmp_gt_i32_e32 vcc_lo, 32, v1
	s_delay_alu instid0(VALU_DEP_2) | instskip(NEXT) | instid1(VALU_DEP_1)
	v_dual_add_f32 v2, 0x40051340, v7 :: v_dual_cndmask_b32 v1, v89, v1
	v_dual_add_f32 v4, 0x40051340, v96 :: v_dual_lshlrev_b32 v3, 2, v1
	s_delay_alu instid0(VALU_DEP_1) | instskip(SKIP_4) | instid1(VALU_DEP_1)
	v_max3_f32 v1, v91, v2, v4
	v_xor_b32_e32 v4, 8, v89
	ds_bpermute_b32 v2, v3, v1
	v_cmp_gt_i32_e32 vcc_lo, 32, v4
	v_cndmask_b32_e32 v4, v89, v4, vcc_lo
	v_lshlrev_b32_e32 v8, 2, v4
	v_xor_b32_e32 v4, 4, v89
	s_delay_alu instid0(VALU_DEP_1) | instskip(SKIP_1) | instid1(VALU_DEP_1)
	v_cmp_gt_i32_e32 vcc_lo, 32, v4
	v_cndmask_b32_e32 v4, v89, v4, vcc_lo
	v_lshlrev_b32_e32 v6, 2, v4
	v_xor_b32_e32 v4, 2, v89
	s_delay_alu instid0(VALU_DEP_1) | instskip(SKIP_2) | instid1(VALU_DEP_1)
	v_cmp_gt_i32_e32 vcc_lo, 32, v4
	v_cndmask_b32_e32 v4, v89, v4, vcc_lo
	s_waitcnt lgkmcnt(0)
	v_dual_max_f32 v2, v2, v2 :: v_dual_lshlrev_b32 v5, 2, v4
	s_delay_alu instid0(VALU_DEP_1)
	v_max_f32_e32 v1, v1, v2
	v_xor_b32_e32 v4, 1, v89
	ds_bpermute_b32 v2, v8, v1
	v_cmp_gt_i32_e32 vcc_lo, 32, v4
	v_cndmask_b32_e32 v4, v89, v4, vcc_lo
	s_and_not1_b32 vcc_lo, exec_lo, s8
	s_delay_alu instid0(VALU_DEP_1) | instskip(SKIP_2) | instid1(VALU_DEP_1)
	v_lshlrev_b32_e32 v4, 2, v4
	s_waitcnt lgkmcnt(0)
	v_max_f32_e32 v2, v2, v2
	v_max_f32_e32 v1, v1, v2
	ds_bpermute_b32 v2, v6, v1
	s_waitcnt lgkmcnt(0)
	v_max_f32_e32 v2, v2, v2
	s_delay_alu instid0(VALU_DEP_1) | instskip(SKIP_3) | instid1(VALU_DEP_1)
	v_max_f32_e32 v1, v1, v2
	ds_bpermute_b32 v2, v5, v1
	s_waitcnt lgkmcnt(0)
	v_max_f32_e32 v2, v2, v2
	v_dual_max_f32 v98, v1, v2 :: v_dual_add_nc_u32 v1, v104, v81
	ds_bpermute_b32 v99, v4, v98
	v_ashrrev_i32_e32 v2, 31, v1
	s_cbranch_vccnz .LBB42_14
; %bb.13:                               ;   in Loop: Header=BB42_8 Depth=1
	s_delay_alu instid0(VALU_DEP_1) | instskip(NEXT) | instid1(VALU_DEP_1)
	v_lshlrev_b64 v[100:101], 1, v[1:2]
	v_add_co_u32 v100, vcc_lo, s40, v100
	s_delay_alu instid0(VALU_DEP_2) | instskip(SKIP_3) | instid1(VALU_DEP_1)
	v_add_co_ci_u32_e32 v101, vcc_lo, s41, v101, vcc_lo
	flat_load_u16 v97, v[100:101]
	s_waitcnt vmcnt(0) lgkmcnt(0)
	v_cvt_f32_f16_e32 v97, v97
	v_mul_f32_e32 v100, v48, v97
.LBB42_14:                              ;   in Loop: Header=BB42_8 Depth=1
	v_dual_mov_b32 v102, 0 :: v_dual_mov_b32 v101, 0
	s_and_not1_b32 vcc_lo, exec_lo, s8
	s_cbranch_vccnz .LBB42_16
; %bb.15:                               ;   in Loop: Header=BB42_8 Depth=1
	v_lshlrev_b64 v[1:2], 1, v[1:2]
	s_delay_alu instid0(VALU_DEP_1) | instskip(NEXT) | instid1(VALU_DEP_2)
	v_add_co_u32 v1, vcc_lo, s9, v1
	v_add_co_ci_u32_e32 v2, vcc_lo, s19, v2, vcc_lo
	flat_load_u16 v1, v[1:2]
	s_waitcnt vmcnt(0) lgkmcnt(0)
	v_cvt_f32_f16_e32 v1, v1
	s_delay_alu instid0(VALU_DEP_1)
	v_mul_f32_e32 v101, v48, v1
.LBB42_16:                              ;   in Loop: Header=BB42_8 Depth=1
	s_delay_alu instid0(VALU_DEP_1) | instskip(SKIP_2) | instid1(VALU_DEP_1)
	v_add_f32_e32 v95, v95, v101
	v_add_f32_e32 v97, v94, v100
	s_and_not1_b32 vcc_lo, exec_lo, s8
	v_dual_add_f32 v2, 0x40051340, v95 :: v_dual_add_f32 v1, 0x40051340, v97
	s_delay_alu instid0(VALU_DEP_1) | instskip(SKIP_3) | instid1(VALU_DEP_1)
	v_max3_f32 v1, v92, v1, v2
	ds_bpermute_b32 v2, v3, v1
	s_waitcnt lgkmcnt(0)
	v_max_f32_e32 v2, v2, v2
	v_max_f32_e32 v1, v1, v2
	ds_bpermute_b32 v2, v8, v1
	s_waitcnt lgkmcnt(0)
	v_max_f32_e32 v2, v2, v2
	s_delay_alu instid0(VALU_DEP_1) | instskip(SKIP_3) | instid1(VALU_DEP_1)
	v_max_f32_e32 v1, v1, v2
	ds_bpermute_b32 v2, v6, v1
	s_waitcnt lgkmcnt(0)
	v_max_f32_e32 v2, v2, v2
	v_max_f32_e32 v1, v1, v2
	ds_bpermute_b32 v2, v5, v1
	s_waitcnt lgkmcnt(0)
	v_max_f32_e32 v2, v2, v2
	s_delay_alu instid0(VALU_DEP_1)
	v_max_f32_e32 v94, v1, v2
	v_add_nc_u32_e32 v1, v104, v82
	ds_bpermute_b32 v100, v4, v94
	v_ashrrev_i32_e32 v2, 31, v1
	s_cbranch_vccnz .LBB42_18
; %bb.17:                               ;   in Loop: Header=BB42_8 Depth=1
	s_delay_alu instid0(VALU_DEP_1) | instskip(NEXT) | instid1(VALU_DEP_1)
	v_lshlrev_b64 v[101:102], 1, v[1:2]
	v_add_co_u32 v101, vcc_lo, s40, v101
	s_delay_alu instid0(VALU_DEP_2) | instskip(SKIP_3) | instid1(VALU_DEP_1)
	v_add_co_ci_u32_e32 v102, vcc_lo, s41, v102, vcc_lo
	flat_load_u16 v101, v[101:102]
	s_waitcnt vmcnt(0) lgkmcnt(0)
	v_cvt_f32_f16_e32 v101, v101
	v_mul_f32_e32 v102, v48, v101
.LBB42_18:                              ;   in Loop: Header=BB42_8 Depth=1
	v_mov_b32_e32 v101, 0
	v_mov_b32_e32 v103, 0
	s_and_not1_b32 vcc_lo, exec_lo, s8
	s_cbranch_vccnz .LBB42_20
; %bb.19:                               ;   in Loop: Header=BB42_8 Depth=1
	v_lshlrev_b64 v[1:2], 1, v[1:2]
	s_delay_alu instid0(VALU_DEP_1) | instskip(NEXT) | instid1(VALU_DEP_2)
	v_add_co_u32 v1, vcc_lo, s9, v1
	v_add_co_ci_u32_e32 v2, vcc_lo, s19, v2, vcc_lo
	flat_load_u16 v1, v[1:2]
	s_waitcnt vmcnt(0) lgkmcnt(0)
	v_cvt_f32_f16_e32 v1, v1
	s_delay_alu instid0(VALU_DEP_1)
	v_mul_f32_e32 v103, v48, v1
.LBB42_20:                              ;   in Loop: Header=BB42_8 Depth=1
	s_delay_alu instid0(VALU_DEP_1) | instskip(SKIP_1) | instid1(VALU_DEP_1)
	v_dual_add_f32 v71, v71, v102 :: v_dual_add_f32 v72, v72, v103
	s_and_not1_b32 vcc_lo, exec_lo, s8
	v_dual_add_f32 v1, 0x40051340, v71 :: v_dual_add_f32 v2, 0x40051340, v72
	s_delay_alu instid0(VALU_DEP_1) | instskip(SKIP_3) | instid1(VALU_DEP_1)
	v_max3_f32 v1, v93, v1, v2
	ds_bpermute_b32 v2, v3, v1
	s_waitcnt lgkmcnt(0)
	v_max_f32_e32 v2, v2, v2
	v_max_f32_e32 v1, v1, v2
	ds_bpermute_b32 v2, v8, v1
	s_waitcnt lgkmcnt(0)
	v_max_f32_e32 v2, v2, v2
	s_delay_alu instid0(VALU_DEP_1) | instskip(SKIP_3) | instid1(VALU_DEP_1)
	v_max_f32_e32 v1, v1, v2
	ds_bpermute_b32 v2, v6, v1
	s_waitcnt lgkmcnt(0)
	v_max_f32_e32 v2, v2, v2
	v_max_f32_e32 v1, v1, v2
	ds_bpermute_b32 v2, v5, v1
	s_waitcnt lgkmcnt(0)
	v_max_f32_e32 v2, v2, v2
	s_delay_alu instid0(VALU_DEP_1)
	v_dual_max_f32 v102, v1, v2 :: v_dual_add_nc_u32 v1, v104, v83
	ds_bpermute_b32 v103, v4, v102
	v_ashrrev_i32_e32 v2, 31, v1
	s_cbranch_vccnz .LBB42_22
; %bb.21:                               ;   in Loop: Header=BB42_8 Depth=1
	s_delay_alu instid0(VALU_DEP_1) | instskip(NEXT) | instid1(VALU_DEP_1)
	v_lshlrev_b64 v[104:105], 1, v[1:2]
	v_add_co_u32 v104, vcc_lo, s40, v104
	s_delay_alu instid0(VALU_DEP_2) | instskip(SKIP_3) | instid1(VALU_DEP_1)
	v_add_co_ci_u32_e32 v105, vcc_lo, s41, v105, vcc_lo
	flat_load_u16 v101, v[104:105]
	s_waitcnt vmcnt(0) lgkmcnt(0)
	v_cvt_f32_f16_e32 v101, v101
	v_mul_f32_e32 v101, v48, v101
.LBB42_22:                              ;   in Loop: Header=BB42_8 Depth=1
	s_and_not1_b32 vcc_lo, exec_lo, s8
	s_cbranch_vccnz .LBB42_24
; %bb.23:                               ;   in Loop: Header=BB42_8 Depth=1
	s_delay_alu instid0(VALU_DEP_1) | instskip(NEXT) | instid1(VALU_DEP_1)
	v_lshlrev_b64 v[1:2], 1, v[1:2]
	v_add_co_u32 v1, vcc_lo, s9, v1
	s_delay_alu instid0(VALU_DEP_2) | instskip(SKIP_3) | instid1(VALU_DEP_1)
	v_add_co_ci_u32_e32 v2, vcc_lo, s19, v2, vcc_lo
	flat_load_u16 v1, v[1:2]
	s_waitcnt vmcnt(0) lgkmcnt(0)
	v_cvt_f32_f16_e32 v1, v1
	v_mul_f32_e32 v1, v48, v1
	s_branch .LBB42_25
.LBB42_24:                              ;   in Loop: Header=BB42_8 Depth=1
	v_mov_b32_e32 v1, 0
.LBB42_25:                              ;   in Loop: Header=BB42_8 Depth=1
	s_mul_hi_i32 s21, s12, s13
	s_mul_i32 s20, s12, s13
	s_waitcnt lgkmcnt(0)
	s_lshl_b64 s[20:21], s[20:21], 2
	s_barrier
	s_add_u32 s20, s15, s20
	s_addc_u32 s21, s16, s21
	v_add_co_u32 v2, vcc_lo, s20, v23
	v_add_co_ci_u32_e32 v105, vcc_lo, s21, v24, vcc_lo
	v_add_co_u32 v106, vcc_lo, s20, v25
	v_add_co_ci_u32_e32 v107, vcc_lo, s21, v26, vcc_lo
	s_delay_alu instid0(VALU_DEP_4) | instskip(NEXT) | instid1(VALU_DEP_4)
	v_add_co_u32 v104, vcc_lo, v2, v45
	v_add_co_ci_u32_e32 v105, vcc_lo, 0, v105, vcc_lo
	s_delay_alu instid0(VALU_DEP_4) | instskip(NEXT) | instid1(VALU_DEP_4)
	v_add_co_u32 v108, vcc_lo, v106, v45
	v_add_co_ci_u32_e32 v109, vcc_lo, 0, v107, vcc_lo
	v_add_co_u32 v2, vcc_lo, s20, v27
	v_add_co_ci_u32_e32 v106, vcc_lo, s21, v28, vcc_lo
	;; [unrolled: 2-line block ×3, first 2 shown]
	s_delay_alu instid0(VALU_DEP_4) | instskip(NEXT) | instid1(VALU_DEP_4)
	v_add_co_u32 v112, vcc_lo, v2, v45
	v_add_co_ci_u32_e32 v113, vcc_lo, 0, v106, vcc_lo
	s_delay_alu instid0(VALU_DEP_4) | instskip(NEXT) | instid1(VALU_DEP_4)
	v_add_co_u32 v116, vcc_lo, v107, v45
	v_add_co_ci_u32_e32 v117, vcc_lo, 0, v110, vcc_lo
	buffer_gl0_inv
	s_clause 0x3
	global_load_b128 v[104:107], v[104:105], off
	global_load_b128 v[108:111], v[108:109], off
	;; [unrolled: 1-line block ×4, first 2 shown]
	v_add_f32_e32 v69, v69, v101
	v_dual_add_f32 v101, v70, v1 :: v_dual_max_f32 v70, v100, v100
	v_dual_max_f32 v99, v99, v99 :: v_dual_max_f32 v98, v98, v98
	s_delay_alu instid0(VALU_DEP_3) | instskip(NEXT) | instid1(VALU_DEP_3)
	v_add_f32_e32 v1, 0x40051340, v69
	v_dual_add_f32 v2, 0x40051340, v101 :: v_dual_max_f32 v103, v103, v103
	v_max_f32_e32 v102, v102, v102
	s_or_b32 s20, s12, 32
	s_delay_alu instid0(VALU_DEP_2) | instskip(SKIP_4) | instid1(VALU_DEP_2)
	v_max3_f32 v100, v90, v1, v2
	v_max_f32_e32 v2, v94, v94
	v_add_nc_u32_e32 v94, 0x800, v44
	s_mul_hi_i32 s21, s20, s13
	s_mul_i32 s20, s20, s13
	v_max_f32_e32 v2, v2, v70
	v_max_f32_e32 v1, v98, v99
	ds_bpermute_b32 v98, v3, v100
	v_add_nc_u32_e32 v99, v47, v44
	v_max_f32_e32 v3, v102, v103
	s_lshl_b64 s[20:21], s[20:21], 2
	v_sub_f32_e32 v70, v91, v1
	v_dual_sub_f32 v91, v96, v1 :: v_dual_sub_f32 v96, v97, v2
	v_dual_sub_f32 v7, v7, v1 :: v_dual_sub_f32 v92, v92, v2
	;; [unrolled: 1-line block ×3, first 2 shown]
	s_delay_alu instid0(VALU_DEP_4) | instskip(NEXT) | instid1(VALU_DEP_3)
	v_dual_sub_f32 v71, v71, v3 :: v_dual_mul_f32 v120, 0x3fb8aa3b, v70
	v_mul_f32_e32 v103, 0x3fb8aa3b, v7
	v_dual_sub_f32 v93, v93, v3 :: v_dual_mul_f32 v102, 0x3fb8aa3b, v96
	s_delay_alu instid0(VALU_DEP_3) | instskip(NEXT) | instid1(VALU_DEP_4)
	v_dual_mul_f32 v123, 0x3fb8aa3b, v72 :: v_dual_mul_f32 v124, 0x3fb8aa3b, v71
	v_fma_f32 v131, 0x3fb8aa3b, v70, -v120
	v_rndne_f32_e32 v132, v120
	s_waitcnt lgkmcnt(0)
	v_dual_max_f32 v98, v98, v98 :: v_dual_mul_f32 v121, 0x3fb8aa3b, v95
	v_fma_f32 v129, 0x3fb8aa3b, v7, -v103
	v_rndne_f32_e32 v130, v103
	v_fma_f32 v127, 0x3fb8aa3b, v96, -v102
	s_delay_alu instid0(VALU_DEP_4)
	v_max_f32_e32 v98, v100, v98
	v_fmac_f32_e32 v131, 0x32a5705f, v70
	v_fmac_f32_e32 v129, 0x32a5705f, v7
	v_rndne_f32_e32 v128, v102
	v_mul_f32_e32 v125, 0x3fb8aa3b, v93
	ds_bpermute_b32 v8, v8, v98
	v_fma_f32 v139, 0x3fb8aa3b, v71, -v124
	v_dual_mul_f32 v97, 0x3fb8aa3b, v91 :: v_dual_mul_f32 v122, 0x3fb8aa3b, v92
	v_sub_f32_e32 v102, v102, v128
	v_fma_f32 v141, 0x3fb8aa3b, v93, -v125
	v_cvt_i32_f32_e32 v128, v128
	s_delay_alu instid0(VALU_DEP_4) | instskip(SKIP_4) | instid1(VALU_DEP_4)
	v_fma_f32 v126, 0x3fb8aa3b, v91, -v97
	v_rndne_f32_e32 v100, v97
	v_fma_f32 v135, 0x3fb8aa3b, v92, -v122
	v_cmp_ngt_f32_e32 vcc_lo, 0xc2ce8ed0, v91
	v_rndne_f32_e32 v142, v125
	v_dual_fmac_f32 v126, 0x32a5705f, v91 :: v_dual_sub_f32 v97, v97, v100
	v_cvt_i32_f32_e32 v100, v100
	v_fma_f32 v133, 0x3fb8aa3b, v95, -v121
	v_rndne_f32_e32 v134, v121
	v_rndne_f32_e32 v136, v122
	;; [unrolled: 1-line block ×3, first 2 shown]
	v_fma_f32 v137, 0x3fb8aa3b, v72, -v123
	s_waitcnt lgkmcnt(0)
	v_dual_max_f32 v8, v8, v8 :: v_dual_sub_f32 v103, v103, v130
	v_cvt_i32_f32_e32 v130, v130
	v_dual_fmac_f32 v133, 0x32a5705f, v95 :: v_dual_sub_f32 v122, v122, v136
	s_delay_alu instid0(VALU_DEP_3)
	v_max_f32_e32 v8, v98, v8
	v_sub_f32_e32 v98, v120, v132
	v_fmac_f32_e32 v127, 0x32a5705f, v96
	v_cvt_i32_f32_e32 v120, v132
	v_dual_sub_f32 v121, v121, v134 :: v_dual_sub_f32 v124, v124, v140
	ds_bpermute_b32 v6, v6, v8
	v_add_f32_e32 v98, v98, v131
	v_fmac_f32_e32 v139, 0x32a5705f, v71
	v_dual_fmac_f32 v135, 0x32a5705f, v92 :: v_dual_add_f32 v102, v102, v127
	v_fmac_f32_e32 v137, 0x32a5705f, v72
	s_delay_alu instid0(VALU_DEP_4) | instskip(SKIP_1) | instid1(VALU_DEP_3)
	v_exp_f32_e32 v98, v98
	v_rndne_f32_e32 v138, v123
	v_add_f32_e32 v122, v122, v135
	v_exp_f32_e32 v102, v102
	v_cvt_i32_f32_e32 v132, v134
	v_cvt_i32_f32_e32 v134, v136
	;; [unrolled: 1-line block ×3, first 2 shown]
	s_add_u32 s20, s15, s20
	s_addc_u32 s21, s16, s21
	s_delay_alu instid0(TRANS32_DEP_2)
	v_ldexp_f32 v98, v98, v120
	s_waitcnt lgkmcnt(0)
	v_dual_add_f32 v103, v103, v129 :: v_dual_max_f32 v6, v6, v6
	v_fmac_f32_e32 v141, 0x32a5705f, v93
	v_dual_sub_f32 v123, v123, v138 :: v_dual_add_f32 v124, v124, v139
	v_cvt_i32_f32_e32 v138, v140
	s_delay_alu instid0(VALU_DEP_4) | instskip(SKIP_4) | instid1(VALU_DEP_1)
	v_max_f32_e32 v6, v8, v6
	v_exp_f32_e32 v8, v103
	ds_bpermute_b32 v5, v5, v6
	v_ldexp_f32 v8, v8, v130
	v_add_f32_e32 v97, v97, v126
	v_exp_f32_e32 v97, v97
	s_waitcnt lgkmcnt(0)
	v_max_f32_e32 v5, v5, v5
	s_waitcnt_depctr 0xfff
	v_ldexp_f32 v97, v97, v100
	v_ldexp_f32 v100, v102, v128
	v_max_f32_e32 v5, v6, v5
	ds_bpermute_b32 v4, v4, v5
	v_cndmask_b32_e32 v97, 0, v97, vcc_lo
	v_cmp_ngt_f32_e32 vcc_lo, 0xc2ce8ed0, v96
	v_dual_sub_f32 v125, v125, v142 :: v_dual_cndmask_b32 v100, 0, v100
	v_cmp_ngt_f32_e32 vcc_lo, 0xc2ce8ed0, v7
	s_delay_alu instid0(VALU_DEP_2)
	v_dual_add_f32 v125, v125, v141 :: v_dual_cndmask_b32 v8, 0, v8
	v_cmp_ngt_f32_e32 vcc_lo, 0xc2ce8ed0, v70
	v_cndmask_b32_e32 v98, 0, v98, vcc_lo
	v_cmp_ngt_f32_e32 vcc_lo, 0xc2ce8ed0, v95
	s_waitcnt lgkmcnt(0)
	v_dual_add_f32 v121, v121, v133 :: v_dual_max_f32 v4, v4, v4
	s_delay_alu instid0(VALU_DEP_1) | instskip(SKIP_4) | instid1(VALU_DEP_2)
	v_exp_f32_e32 v103, v121
	v_exp_f32_e32 v121, v122
	s_waitcnt_depctr 0xfff
	v_ldexp_f32 v102, v103, v132
	v_ldexp_f32 v103, v121, v134
	v_cndmask_b32_e32 v102, 0, v102, vcc_lo
	v_cmp_ngt_f32_e32 vcc_lo, 0xc2ce8ed0, v92
	s_delay_alu instid0(VALU_DEP_3) | instskip(NEXT) | instid1(VALU_DEP_1)
	v_dual_add_f32 v123, v123, v137 :: v_dual_cndmask_b32 v6, 0, v103
	v_exp_f32_e32 v122, v123
	v_exp_f32_e32 v123, v124
	;; [unrolled: 1-line block ×3, first 2 shown]
	v_cmp_ngt_f32_e32 vcc_lo, 0xc2ce8ed0, v72
	v_cvt_i32_f32_e32 v125, v142
	s_delay_alu instid0(TRANS32_DEP_3)
	v_ldexp_f32 v120, v122, v136
	s_waitcnt_depctr 0xfff
	v_ldexp_f32 v121, v123, v138
	v_ldexp_f32 v122, v124, v125
	v_cndmask_b32_e32 v103, 0, v120, vcc_lo
	v_cmp_ngt_f32_e32 vcc_lo, 0xc2ce8ed0, v71
	s_delay_alu instid0(VALU_DEP_4)
	v_cndmask_b32_e32 v120, 0, v121, vcc_lo
	v_cmp_ngt_f32_e32 vcc_lo, 0xc2ce8ed0, v93
	v_cndmask_b32_e32 v121, 0, v122, vcc_lo
	v_cmp_nlt_f32_e32 vcc_lo, 0x42b17218, v91
	v_cndmask_b32_e32 v91, 0x7f800000, v97, vcc_lo
	v_cmp_nlt_f32_e32 vcc_lo, 0x42b17218, v96
	;; [unrolled: 2-line block ×5, first 2 shown]
	s_delay_alu instid0(VALU_DEP_2) | instskip(SKIP_2) | instid1(VALU_DEP_3)
	v_cvt_f16_f32_e32 v123, v8
	v_cndmask_b32_e32 v95, 0x7f800000, v102, vcc_lo
	v_cmp_nlt_f32_e32 vcc_lo, 0x42b17218, v92
	v_pk_mul_f16 v65, v123, v65 op_sel_hi:[0,1]
	s_delay_alu instid0(VALU_DEP_3)
	v_add_f32_e32 v70, v96, v95
	v_cndmask_b32_e32 v6, 0x7f800000, v6, vcc_lo
	v_max_f32_e32 v4, v5, v4
	v_cvt_f16_f32_e32 v5, v96
	v_cmp_nlt_f32_e32 vcc_lo, 0x42b17218, v72
	v_pk_mul_f16 v63, v123, v63 op_sel_hi:[0,1]
	v_cvt_f16_f32_e32 v124, v6
	v_sub_f32_e32 v96, v69, v4
	v_dual_sub_f32 v97, v101, v4 :: v_dual_cndmask_b32 v72, 0x7f800000, v103
	v_cmp_nlt_f32_e32 vcc_lo, 0x42b17218, v71
	v_sub_f32_e32 v90, v90, v4
	s_delay_alu instid0(VALU_DEP_4) | instskip(NEXT) | instid1(VALU_DEP_4)
	v_mul_f32_e32 v98, 0x3fb8aa3b, v96
	v_mul_f32_e32 v100, 0x3fb8aa3b, v97
	v_fmac_f32_e32 v70, v11, v6
	v_cvt_f16_f32_e32 v95, v95
	v_pk_mul_f16 v64, v123, v64 op_sel_hi:[0,1]
	v_rndne_f32_e32 v102, v98
	v_fma_f32 v101, 0x3fb8aa3b, v96, -v98
	v_fma_f32 v103, 0x3fb8aa3b, v97, -v100
	v_pk_mul_f16 v61, v124, v61 op_sel_hi:[0,1]
	v_pk_mul_f16 v58, v124, v58 op_sel_hi:[0,1]
	v_sub_f32_e32 v98, v98, v102
	v_dual_cndmask_b32 v92, 0x7f800000, v120 :: v_dual_add_f32 v71, v7, v91
	v_rndne_f32_e32 v120, v100
	v_fmac_f32_e32 v103, 0x32a5705f, v97
	v_cmp_nlt_f32_e32 vcc_lo, 0x42b17218, v93
	s_delay_alu instid0(VALU_DEP_4)
	v_add_f32_e32 v69, v92, v72
	v_cvt_i32_f32_e32 v102, v102
	v_sub_f32_e32 v100, v100, v120
	v_fmac_f32_e32 v101, 0x32a5705f, v96
	v_fmac_f32_e32 v71, v12, v8
	v_cndmask_b32_e32 v93, 0x7f800000, v121, vcc_lo
	v_mul_f32_e32 v121, 0x3fb8aa3b, v90
	v_cmp_ngt_f32_e32 vcc_lo, 0xc2ce8ed0, v96
	v_add_f32_e32 v8, v98, v101
	v_add_f32_e32 v98, v100, v103
	v_cvt_i32_f32_e32 v103, v120
	v_fma_f32 v12, 0x3fb8aa3b, v90, -v121
	v_rndne_f32_e32 v100, v121
	v_exp_f32_e32 v8, v8
	v_exp_f32_e32 v98, v98
	s_delay_alu instid0(VALU_DEP_2) | instskip(NEXT) | instid1(VALU_DEP_2)
	v_dual_fmac_f32 v69, v10, v93 :: v_dual_fmac_f32 v12, 0x32a5705f, v90
	v_sub_f32_e32 v101, v121, v100
	v_cvt_f16_f32_e32 v91, v91
	v_cvt_f16_f32_e32 v7, v7
	;; [unrolled: 1-line block ×4, first 2 shown]
	v_add_f32_e32 v12, v101, v12
	s_delay_alu instid0(TRANS32_DEP_2) | instskip(NEXT) | instid1(TRANS32_DEP_1)
	v_ldexp_f32 v6, v8, v102
	v_ldexp_f32 v8, v98, v103
	v_pack_b32_f16 v5, v7, v5
	v_pack_b32_f16 v7, v91, v95
	v_exp_f32_e32 v11, v12
	v_cndmask_b32_e32 v6, 0, v6, vcc_lo
	v_cmp_ngt_f32_e32 vcc_lo, 0xc2ce8ed0, v97
	v_cvt_i32_f32_e32 v12, v100
	v_cvt_f16_f32_e32 v125, v93
	v_pk_mul_f16 v59, v124, v59 op_sel_hi:[0,1]
	v_cndmask_b32_e32 v8, 0, v8, vcc_lo
	v_cmp_nlt_f32_e32 vcc_lo, 0x42b17218, v96
	s_delay_alu instid0(VALU_DEP_4)
	v_pk_mul_f16 v56, v125, v56 op_sel_hi:[0,1]
	v_pk_mul_f16 v54, v125, v54 op_sel_hi:[0,1]
	;; [unrolled: 1-line block ×3, first 2 shown]
	v_cndmask_b32_e32 v96, 0x7f800000, v6, vcc_lo
	v_cmp_nlt_f32_e32 vcc_lo, 0x42b17218, v97
	v_ldexp_f32 v6, v11, v12
	v_cndmask_b32_e32 v97, 0x7f800000, v8, vcc_lo
	s_delay_alu instid0(VALU_DEP_4) | instskip(SKIP_1) | instid1(VALU_DEP_3)
	v_cvt_f16_f32_e32 v8, v96
	v_cmp_ngt_f32_e32 vcc_lo, 0xc2ce8ed0, v90
	v_cvt_f16_f32_e32 v11, v97
	v_cndmask_b32_e32 v12, 0, v6, vcc_lo
	s_delay_alu instid0(VALU_DEP_4) | instskip(SKIP_1) | instid1(VALU_DEP_4)
	v_pack_b32_f16 v6, v92, v8
	v_cmp_nlt_f32_e32 vcc_lo, 0x42b17218, v90
	v_pack_b32_f16 v8, v72, v11
	ds_store_2addr_b64 v99, v[5:6], v[7:8] offset1:32
	s_waitcnt vmcnt(3)
	ds_store_b128 v84, v[104:107]
	s_waitcnt vmcnt(2)
	ds_store_b128 v85, v[108:111]
	;; [unrolled: 2-line block ×4, first 2 shown]
	v_cndmask_b32_e32 v10, 0x7f800000, v12, vcc_lo
	s_waitcnt lgkmcnt(0)
	s_barrier
	buffer_gl0_inv
	ds_load_2addr_b64 v[5:8], v44 offset1:32
	ds_load_b128 v[90:93], v47
	v_add_f32_e32 v72, v96, v97
	v_cvt_f16_f32_e32 v11, v10
	s_delay_alu instid0(VALU_DEP_2) | instskip(NEXT) | instid1(VALU_DEP_2)
	v_fmac_f32_e32 v72, v9, v10
	v_pk_mul_f16 v126, v11, v51 op_sel_hi:[0,1]
	v_pk_mul_f16 v127, v11, v52 op_sel_hi:[0,1]
	;; [unrolled: 1-line block ×4, first 2 shown]
	ds_load_b128 v[9:12], v47 offset:16
	ds_load_b128 v[49:52], v47 offset:32
	;; [unrolled: 1-line block ×3, first 2 shown]
	ds_load_2addr_b64 v[99:102], v44 offset0:64 offset1:96
	ds_load_2addr_b64 v[103:106], v44 offset0:128 offset1:160
	;; [unrolled: 1-line block ×3, first 2 shown]
	ds_load_2addr_b64 v[111:114], v94 offset1:32
	ds_load_2addr_b64 v[115:118], v94 offset0:64 offset1:96
	ds_load_2addr_b64 v[119:122], v94 offset0:128 offset1:160
	s_waitcnt lgkmcnt(9)
	v_pk_mul_f16 v130, v5, v90 op_sel_hi:[1,0]
	v_pk_mul_f16 v131, v5, v90 op_sel:[0,1]
	v_pk_mul_f16 v132, v5, v91 op_sel_hi:[1,0]
	v_pk_fma_f16 v5, v5, v91, v126 op_sel:[0,1,0]
	v_pk_fma_f16 v65, v6, v90, v65 op_sel_hi:[1,0,1]
	v_pk_fma_f16 v61, v6, v90, v61 op_sel:[0,1,0]
	v_pk_fma_f16 v56, v6, v91, v56 op_sel_hi:[1,0,1]
	;; [unrolled: 2-line block ×7, first 2 shown]
	v_pk_fma_f16 v53, v124, v53, v131 op_sel_hi:[0,1,1]
	v_pk_fma_f16 v46, v125, v46, v132 op_sel_hi:[0,1,1]
	s_waitcnt lgkmcnt(5)
	v_pk_fma_f16 v5, v99, v93, v5 op_sel:[0,1,0]
	v_pk_fma_f16 v65, v100, v92, v65 op_sel_hi:[1,0,1]
	v_pk_fma_f16 v61, v100, v92, v61 op_sel:[0,1,0]
	v_pk_fma_f16 v56, v100, v93, v56 op_sel_hi:[1,0,1]
	;; [unrolled: 2-line block ×8, first 2 shown]
	s_waitcnt lgkmcnt(4)
	v_pk_fma_f16 v5, v103, v10, v5 op_sel:[0,1,0]
	v_pk_fma_f16 v65, v104, v9, v65 op_sel_hi:[1,0,1]
	v_pk_fma_f16 v61, v104, v9, v61 op_sel:[0,1,0]
	v_pk_fma_f16 v56, v104, v10, v56 op_sel_hi:[1,0,1]
	;; [unrolled: 2-line block ×8, first 2 shown]
	s_waitcnt lgkmcnt(3)
	v_pk_fma_f16 v5, v107, v12, v5 op_sel:[0,1,0]
	v_pk_fma_f16 v46, v108, v11, v65 op_sel_hi:[1,0,1]
	v_pk_fma_f16 v53, v108, v11, v61 op_sel:[0,1,0]
	v_pk_fma_f16 v56, v108, v12, v56 op_sel_hi:[1,0,1]
	;; [unrolled: 2-line block ×3, first 2 shown]
	v_pk_fma_f16 v58, v109, v11, v58 op_sel:[0,1,0]
	v_pk_fma_f16 v7, v109, v12, v7 op_sel:[0,1,0]
	v_pk_fma_f16 v63, v110, v11, v64 op_sel_hi:[1,0,1]
	v_pk_fma_f16 v59, v110, v11, v59 op_sel:[0,1,0]
	v_pk_fma_f16 v8, v110, v12, v8 op_sel:[0,1,0]
	v_pk_fma_f16 v57, v107, v11, v57 op_sel_hi:[1,0,1]
	v_pk_fma_f16 v9, v107, v11, v9 op_sel:[0,1,0]
	v_pk_fma_f16 v10, v107, v12, v10 op_sel_hi:[1,0,1]
	s_waitcnt lgkmcnt(2)
	v_pk_fma_f16 v5, v111, v50, v5 op_sel:[0,1,0]
	v_pk_fma_f16 v54, v109, v12, v54 op_sel_hi:[1,0,1]
	v_pk_fma_f16 v55, v110, v12, v55 op_sel_hi:[1,0,1]
	;; [unrolled: 1-line block ×3, first 2 shown]
	v_pk_fma_f16 v12, v112, v49, v53 op_sel:[0,1,0]
	v_pk_fma_f16 v46, v112, v50, v56 op_sel_hi:[1,0,1]
	v_pk_fma_f16 v6, v112, v50, v6 op_sel:[0,1,0]
	v_pk_fma_f16 v53, v113, v49, v61 op_sel_hi:[1,0,1]
	v_pk_fma_f16 v56, v113, v49, v58 op_sel:[0,1,0]
	v_pk_fma_f16 v7, v113, v50, v7 op_sel:[0,1,0]
	v_pk_fma_f16 v58, v114, v49, v63 op_sel_hi:[1,0,1]
	v_pk_fma_f16 v59, v114, v49, v59 op_sel:[0,1,0]
	;; [unrolled: 3-line block ×3, first 2 shown]
	v_pk_fma_f16 v10, v111, v50, v10 op_sel_hi:[1,0,1]
	s_waitcnt lgkmcnt(1)
	v_pk_fma_f16 v49, v115, v52, v5 op_sel:[0,1,0]
	v_pk_fma_f16 v54, v113, v50, v54 op_sel_hi:[1,0,1]
	v_pk_fma_f16 v55, v114, v50, v55 op_sel_hi:[1,0,1]
	;; [unrolled: 1-line block ×3, first 2 shown]
	v_pk_fma_f16 v12, v116, v51, v12 op_sel:[0,1,0]
	v_pk_fma_f16 v50, v115, v51, v57 op_sel_hi:[1,0,1]
	v_pk_fma_f16 v9, v115, v51, v9 op_sel:[0,1,0]
	v_pk_fma_f16 v10, v115, v52, v10 op_sel_hi:[1,0,1]
	;; [unrolled: 2-line block ×3, first 2 shown]
	v_pk_fma_f16 v56, v117, v51, v56 op_sel:[0,1,0]
	v_pk_fma_f16 v61, v117, v52, v7 op_sel:[0,1,0]
	v_pk_fma_f16 v58, v118, v51, v58 op_sel_hi:[1,0,1]
	v_pk_fma_f16 v51, v118, v51, v59 op_sel:[0,1,0]
	v_pk_fma_f16 v59, v118, v52, v8 op_sel:[0,1,0]
	ds_load_2addr_b64 v[5:8], v94 offset0:192 offset1:224
	s_waitcnt lgkmcnt(1)
	v_pk_fma_f16 v90, v119, v96, v49 op_sel:[0,1,0]
	v_add_nc_u32_e32 v49, 0x1000, v44
	v_pk_fma_f16 v46, v116, v52, v46 op_sel_hi:[1,0,1]
	v_pk_fma_f16 v54, v117, v52, v54 op_sel_hi:[1,0,1]
	;; [unrolled: 1-line block ×4, first 2 shown]
	v_pk_fma_f16 v64, v119, v95, v9 op_sel:[0,1,0]
	v_pk_fma_f16 v65, v119, v96, v10 op_sel_hi:[1,0,1]
	v_pk_fma_f16 v91, v120, v95, v11 op_sel_hi:[1,0,1]
	v_pk_fma_f16 v92, v120, v95, v12 op_sel:[0,1,0]
	v_pk_fma_f16 v93, v121, v95, v53 op_sel_hi:[1,0,1]
	v_pk_fma_f16 v56, v121, v95, v56 op_sel:[0,1,0]
	;; [unrolled: 2-line block ×3, first 2 shown]
	ds_load_2addr_b64 v[9:12], v49 offset1:32
	ds_load_b128 v[50:53], v47 offset:64
	v_pk_fma_f16 v46, v120, v96, v46 op_sel_hi:[1,0,1]
	v_pk_fma_f16 v57, v120, v96, v57 op_sel:[0,1,0]
	v_pk_fma_f16 v54, v121, v96, v54 op_sel_hi:[1,0,1]
	v_pk_fma_f16 v55, v122, v96, v55 op_sel_hi:[1,0,1]
	v_pk_fma_f16 v61, v121, v96, v61 op_sel:[0,1,0]
	v_pk_fma_f16 v59, v122, v96, v59 op_sel:[0,1,0]
	s_waitcnt lgkmcnt(2)
	v_pk_fma_f16 v63, v5, v97, v63 op_sel_hi:[1,0,1]
	v_pk_fma_f16 v64, v5, v97, v64 op_sel:[0,1,0]
	v_pk_fma_f16 v65, v5, v98, v65 op_sel_hi:[1,0,1]
	v_pk_fma_f16 v90, v5, v98, v90 op_sel:[0,1,0]
	;; [unrolled: 2-line block ×5, first 2 shown]
	v_pk_fma_f16 v100, v7, v98, v54 op_sel_hi:[1,0,1]
	v_pk_fma_f16 v58, v8, v97, v58 op_sel_hi:[1,0,1]
	v_pk_fma_f16 v95, v8, v97, v95 op_sel:[0,1,0]
	v_pk_fma_f16 v97, v8, v98, v55 op_sel_hi:[1,0,1]
	ds_load_2addr_b64 v[54:57], v49 offset0:64 offset1:96
	v_pk_fma_f16 v61, v7, v98, v61 op_sel:[0,1,0]
	v_pk_fma_f16 v59, v8, v98, v59 op_sel:[0,1,0]
	ds_load_b128 v[5:8], v47 offset:80
	s_waitcnt lgkmcnt(2)
	v_pk_fma_f16 v63, v9, v50, v63 op_sel_hi:[1,0,1]
	v_pk_fma_f16 v64, v9, v50, v64 op_sel:[0,1,0]
	v_pk_fma_f16 v65, v9, v51, v65 op_sel_hi:[1,0,1]
	v_pk_fma_f16 v9, v9, v51, v90 op_sel:[0,1,0]
	;; [unrolled: 2-line block ×4, first 2 shown]
	v_pk_fma_f16 v96, v11, v50, v93 op_sel_hi:[1,0,1]
	ds_load_2addr_b64 v[90:93], v49 offset0:128 offset1:160
	v_pk_fma_f16 v99, v11, v50, v99 op_sel:[0,1,0]
	v_pk_fma_f16 v100, v11, v51, v100 op_sel_hi:[1,0,1]
	v_pk_fma_f16 v11, v11, v51, v61 op_sel:[0,1,0]
	v_pk_fma_f16 v58, v12, v50, v58 op_sel_hi:[1,0,1]
	;; [unrolled: 2-line block ×3, first 2 shown]
	v_pk_fma_f16 v51, v12, v51, v59 op_sel:[0,1,0]
	s_waitcnt lgkmcnt(2)
	v_pk_fma_f16 v59, v54, v52, v63 op_sel_hi:[1,0,1]
	v_pk_fma_f16 v63, v54, v52, v64 op_sel:[0,1,0]
	v_pk_fma_f16 v64, v54, v53, v65 op_sel_hi:[1,0,1]
	v_pk_fma_f16 v54, v54, v53, v9 op_sel:[0,1,0]
	;; [unrolled: 2-line block ×6, first 2 shown]
	v_pk_fma_f16 v58, v57, v52, v58 op_sel_hi:[1,0,1]
	ds_load_2addr_b64 v[9:12], v49 offset0:192 offset1:224
	v_pk_fma_f16 v50, v57, v52, v50 op_sel:[0,1,0]
	v_pk_fma_f16 v52, v57, v53, v61 op_sel_hi:[1,0,1]
	v_pk_fma_f16 v51, v57, v53, v51 op_sel:[0,1,0]
	s_waitcnt lgkmcnt(1)
	v_pk_fma_f16 v57, v90, v5, v63 op_sel:[0,1,0]
	v_add_co_u32 v63, vcc_lo, s20, v23
	v_pk_fma_f16 v53, v90, v5, v59 op_sel_hi:[1,0,1]
	v_pk_fma_f16 v59, v90, v6, v64 op_sel_hi:[1,0,1]
	v_add_co_ci_u32_e32 v64, vcc_lo, s21, v24, vcc_lo
	v_add_co_u32 v203, vcc_lo, s20, v25
	v_add_co_ci_u32_e32 v204, vcc_lo, s21, v26, vcc_lo
	v_add_co_u32 v63, vcc_lo, v63, v45
	s_delay_alu instid0(VALU_DEP_4) | instskip(NEXT) | instid1(VALU_DEP_4)
	v_add_co_ci_u32_e32 v64, vcc_lo, 0, v64, vcc_lo
	v_add_co_u32 v207, vcc_lo, v203, v45
	s_delay_alu instid0(VALU_DEP_4)
	v_add_co_ci_u32_e32 v208, vcc_lo, 0, v204, vcc_lo
	v_add_co_u32 v203, vcc_lo, s20, v27
	v_add_co_ci_u32_e32 v204, vcc_lo, s21, v28, vcc_lo
	v_pk_fma_f16 v54, v90, v6, v54 op_sel:[0,1,0]
	v_add_co_u32 v205, vcc_lo, s20, v29
	v_add_co_ci_u32_e32 v206, vcc_lo, s21, v30, vcc_lo
	v_add_co_u32 v211, vcc_lo, v203, v45
	v_pk_fma_f16 v61, v91, v5, v65 op_sel_hi:[1,0,1]
	v_pk_fma_f16 v65, v91, v5, v95 op_sel:[0,1,0]
	v_pk_fma_f16 v219, v91, v6, v46 op_sel_hi:[1,0,1]
	v_pk_fma_f16 v220, v91, v6, v55 op_sel:[0,1,0]
	;; [unrolled: 2-line block ×5, first 2 shown]
	v_add_nc_u32_e32 v5, 0x3800, v44
	v_pk_fma_f16 v227, v93, v6, v52 op_sel_hi:[1,0,1]
	v_pk_fma_f16 v228, v93, v6, v51 op_sel:[0,1,0]
	s_waitcnt lgkmcnt(0)
	v_pk_fma_f16 v229, v9, v7, v53 op_sel_hi:[1,0,1]
	v_add_nc_u32_e32 v50, 0x1800, v44
	v_pk_fma_f16 v230, v9, v7, v57 op_sel:[0,1,0]
	v_pk_fma_f16 v59, v9, v8, v59 op_sel_hi:[1,0,1]
	v_pk_fma_f16 v231, v9, v8, v54 op_sel:[0,1,0]
	v_add_nc_u32_e32 v46, 0x2000, v44
	v_add_nc_u32_e32 v9, 0x2800, v44
	;; [unrolled: 1-line block ×3, first 2 shown]
	v_add_co_ci_u32_e32 v212, vcc_lo, 0, v204, vcc_lo
	v_add_co_u32 v215, vcc_lo, v205, v45
	v_add_co_ci_u32_e32 v216, vcc_lo, 0, v206, vcc_lo
	ds_load_2addr_b64 v[51:54], v50 offset1:32
	ds_load_2addr_b64 v[55:58], v50 offset0:64 offset1:96
	ds_load_2addr_b64 v[90:93], v50 offset0:128 offset1:160
	ds_load_b128 v[95:98], v47 offset:96
	ds_load_b128 v[99:102], v47 offset:112
	ds_load_2addr_b64 v[103:106], v50 offset0:192 offset1:224
	ds_load_2addr_b64 v[107:110], v46 offset1:32
	ds_load_2addr_b64 v[111:114], v46 offset0:64 offset1:96
	ds_load_2addr_b64 v[115:118], v46 offset0:128 offset1:160
	ds_load_b128 v[119:122], v47 offset:128
	ds_load_b128 v[123:126], v47 offset:144
	ds_load_2addr_b64 v[127:130], v46 offset0:192 offset1:224
	;; [unrolled: 6-line block ×5, first 2 shown]
	s_waitcnt lgkmcnt(0)
	s_barrier
	buffer_gl0_inv
	s_clause 0x3
	global_load_b128 v[203:206], v[63:64], off
	global_load_b128 v[207:210], v[207:208], off
	;; [unrolled: 1-line block ×4, first 2 shown]
	v_pk_fma_f16 v61, v10, v7, v61 op_sel_hi:[1,0,1]
	v_pk_fma_f16 v63, v10, v7, v65 op_sel:[0,1,0]
	v_pk_fma_f16 v64, v10, v8, v219 op_sel_hi:[1,0,1]
	v_pk_fma_f16 v10, v10, v8, v220 op_sel:[0,1,0]
	v_pk_fma_f16 v65, v11, v7, v221 op_sel_hi:[1,0,1]
	v_pk_fma_f16 v219, v11, v7, v222 op_sel:[0,1,0]
	v_pk_fma_f16 v220, v11, v8, v223 op_sel_hi:[1,0,1]
	v_pk_fma_f16 v11, v11, v8, v224 op_sel:[0,1,0]
	v_pk_fma_f16 v221, v12, v7, v225 op_sel_hi:[1,0,1]
	v_pk_fma_f16 v7, v12, v7, v226 op_sel:[0,1,0]
	v_pk_fma_f16 v222, v12, v8, v227 op_sel_hi:[1,0,1]
	v_pk_fma_f16 v8, v12, v8, v228 op_sel:[0,1,0]
	v_pk_fma_f16 v12, v51, v95, v229 op_sel_hi:[1,0,1]
	v_pk_fma_f16 v223, v51, v95, v230 op_sel:[0,1,0]
	v_pk_fma_f16 v59, v51, v96, v59 op_sel_hi:[1,0,1]
	v_pk_fma_f16 v51, v51, v96, v231 op_sel:[0,1,0]
	v_pk_fma_f16 v61, v52, v95, v61 op_sel_hi:[1,0,1]
	v_pk_fma_f16 v63, v52, v95, v63 op_sel:[0,1,0]
	v_pk_fma_f16 v64, v52, v96, v64 op_sel_hi:[1,0,1]
	v_pk_fma_f16 v10, v52, v96, v10 op_sel:[0,1,0]
	v_pk_fma_f16 v52, v53, v95, v65 op_sel_hi:[1,0,1]
	v_pk_fma_f16 v65, v53, v95, v219 op_sel:[0,1,0]
	v_pk_fma_f16 v219, v53, v96, v220 op_sel_hi:[1,0,1]
	v_pk_fma_f16 v11, v53, v96, v11 op_sel:[0,1,0]
	v_pk_fma_f16 v53, v54, v95, v221 op_sel_hi:[1,0,1]
	v_pk_fma_f16 v7, v54, v95, v7 op_sel:[0,1,0]
	v_pk_fma_f16 v95, v54, v96, v222 op_sel_hi:[1,0,1]
	v_pk_fma_f16 v8, v54, v96, v8 op_sel:[0,1,0]
	v_pk_fma_f16 v12, v55, v97, v12 op_sel_hi:[1,0,1]
	v_pk_fma_f16 v54, v55, v97, v223 op_sel:[0,1,0]
	v_pk_fma_f16 v59, v55, v98, v59 op_sel_hi:[1,0,1]
	v_pk_fma_f16 v51, v55, v98, v51 op_sel:[0,1,0]
	v_pk_fma_f16 v55, v56, v97, v61 op_sel_hi:[1,0,1]
	v_pk_fma_f16 v61, v56, v97, v63 op_sel:[0,1,0]
	v_pk_fma_f16 v63, v56, v98, v64 op_sel_hi:[1,0,1]
	v_pk_fma_f16 v10, v56, v98, v10 op_sel:[0,1,0]
	v_pk_fma_f16 v52, v57, v97, v52 op_sel_hi:[1,0,1]
	v_pk_fma_f16 v56, v57, v97, v65 op_sel:[0,1,0]
	v_pk_fma_f16 v64, v57, v98, v219 op_sel_hi:[1,0,1]
	v_pk_fma_f16 v11, v57, v98, v11 op_sel:[0,1,0]
	v_pk_fma_f16 v53, v58, v97, v53 op_sel_hi:[1,0,1]
	v_pk_fma_f16 v57, v58, v98, v95 op_sel_hi:[1,0,1]
	v_pk_fma_f16 v7, v58, v97, v7 op_sel:[0,1,0]
	v_pk_fma_f16 v8, v58, v98, v8 op_sel:[0,1,0]
	;; [unrolled: 1-line block ×3, first 2 shown]
	v_pk_fma_f16 v58, v90, v100, v59 op_sel_hi:[1,0,1]
	v_pk_fma_f16 v51, v90, v100, v51 op_sel:[0,1,0]
	v_pk_fma_f16 v55, v91, v99, v55 op_sel_hi:[1,0,1]
	v_pk_fma_f16 v52, v92, v99, v52 op_sel_hi:[1,0,1]
	v_pk_fma_f16 v56, v92, v99, v56 op_sel:[0,1,0]
	v_pk_fma_f16 v53, v93, v99, v53 op_sel_hi:[1,0,1]
	;; [unrolled: 3-line block ×3, first 2 shown]
	v_pk_fma_f16 v51, v103, v102, v51 op_sel:[0,1,0]
	v_pk_fma_f16 v55, v104, v101, v55 op_sel_hi:[1,0,1]
	v_pk_fma_f16 v52, v105, v101, v52 op_sel_hi:[1,0,1]
	v_pk_fma_f16 v56, v105, v101, v56 op_sel:[0,1,0]
	v_pk_fma_f16 v53, v106, v101, v53 op_sel_hi:[1,0,1]
	v_pk_fma_f16 v57, v106, v102, v57 op_sel_hi:[1,0,1]
	;; [unrolled: 1-line block ×3, first 2 shown]
	v_pk_fma_f16 v59, v91, v99, v61 op_sel:[0,1,0]
	v_pk_fma_f16 v61, v91, v100, v63 op_sel_hi:[1,0,1]
	v_pk_fma_f16 v10, v91, v100, v10 op_sel:[0,1,0]
	v_pk_fma_f16 v63, v92, v100, v64 op_sel_hi:[1,0,1]
	v_pk_fma_f16 v11, v92, v100, v11 op_sel:[0,1,0]
	v_pk_fma_f16 v54, v107, v119, v54 op_sel:[0,1,0]
	v_pk_fma_f16 v58, v107, v120, v58 op_sel_hi:[1,0,1]
	v_pk_fma_f16 v51, v107, v120, v51 op_sel:[0,1,0]
	v_pk_fma_f16 v55, v108, v119, v55 op_sel_hi:[1,0,1]
	v_pk_fma_f16 v52, v109, v119, v52 op_sel_hi:[1,0,1]
	v_pk_fma_f16 v56, v109, v119, v56 op_sel:[0,1,0]
	v_pk_fma_f16 v53, v110, v119, v53 op_sel_hi:[1,0,1]
	v_pk_fma_f16 v57, v110, v120, v57 op_sel_hi:[1,0,1]
	v_pk_fma_f16 v7, v93, v99, v7 op_sel:[0,1,0]
	v_pk_fma_f16 v8, v93, v100, v8 op_sel:[0,1,0]
	v_pk_fma_f16 v12, v103, v101, v12 op_sel_hi:[1,0,1]
	v_pk_fma_f16 v59, v104, v101, v59 op_sel:[0,1,0]
	v_pk_fma_f16 v61, v104, v102, v61 op_sel_hi:[1,0,1]
	v_pk_fma_f16 v10, v104, v102, v10 op_sel:[0,1,0]
	v_pk_fma_f16 v63, v105, v102, v63 op_sel_hi:[1,0,1]
	v_pk_fma_f16 v11, v105, v102, v11 op_sel:[0,1,0]
	v_pk_fma_f16 v54, v111, v121, v54 op_sel:[0,1,0]
	v_pk_fma_f16 v58, v111, v122, v58 op_sel_hi:[1,0,1]
	v_pk_fma_f16 v51, v111, v122, v51 op_sel:[0,1,0]
	v_pk_fma_f16 v55, v112, v121, v55 op_sel_hi:[1,0,1]
	v_pk_fma_f16 v52, v113, v121, v52 op_sel_hi:[1,0,1]
	v_pk_fma_f16 v56, v113, v121, v56 op_sel:[0,1,0]
	v_pk_fma_f16 v53, v114, v121, v53 op_sel_hi:[1,0,1]
	v_pk_fma_f16 v57, v114, v122, v57 op_sel_hi:[1,0,1]
	v_pk_fma_f16 v7, v106, v101, v7 op_sel:[0,1,0]
	v_pk_fma_f16 v8, v106, v102, v8 op_sel:[0,1,0]
	v_pk_fma_f16 v12, v107, v119, v12 op_sel_hi:[1,0,1]
	;; [unrolled: 16-line block ×14, first 2 shown]
	v_pk_fma_f16 v59, v180, v191, v59 op_sel:[0,1,0]
	v_pk_fma_f16 v61, v180, v192, v61 op_sel_hi:[1,0,1]
	v_pk_fma_f16 v10, v180, v192, v10 op_sel:[0,1,0]
	v_pk_fma_f16 v63, v181, v192, v63 op_sel_hi:[1,0,1]
	v_pk_fma_f16 v11, v181, v192, v11 op_sel:[0,1,0]
	v_pk_fma_f16 v64, v187, v195, v54 op_sel:[0,1,0]
	v_pk_fma_f16 v65, v187, v196, v58 op_sel_hi:[1,0,1]
	v_pk_fma_f16 v90, v187, v196, v51 op_sel:[0,1,0]
	v_pk_fma_f16 v91, v188, v195, v55 op_sel_hi:[1,0,1]
	v_pk_fma_f16 v92, v189, v195, v52 op_sel_hi:[1,0,1]
	v_pk_fma_f16 v93, v189, v195, v56 op_sel:[0,1,0]
	v_pk_fma_f16 v95, v190, v195, v53 op_sel_hi:[1,0,1]
	v_pk_fma_f16 v96, v190, v196, v57 op_sel_hi:[1,0,1]
	s_waitcnt vmcnt(3)
	ds_store_b128 v84, v[203:206]
	s_waitcnt vmcnt(2)
	ds_store_b128 v85, v[207:210]
	;; [unrolled: 2-line block ×4, first 2 shown]
	s_waitcnt lgkmcnt(0)
	s_barrier
	buffer_gl0_inv
	ds_load_2addr_b64 v[51:54], v44 offset1:32
	ds_load_b128 v[55:58], v47 offset:256
	v_pk_fma_f16 v7, v182, v191, v7 op_sel:[0,1,0]
	v_pk_fma_f16 v8, v182, v192, v8 op_sel:[0,1,0]
	v_pk_fma_f16 v12, v183, v193, v12 op_sel_hi:[1,0,1]
	v_pk_fma_f16 v59, v184, v193, v59 op_sel:[0,1,0]
	v_pk_fma_f16 v61, v184, v194, v61 op_sel_hi:[1,0,1]
	;; [unrolled: 2-line block ×3, first 2 shown]
	v_pk_fma_f16 v11, v185, v194, v11 op_sel:[0,1,0]
	v_pk_fma_f16 v107, v199, v198, v90 op_sel:[0,1,0]
	v_pk_fma_f16 v108, v200, v197, v91 op_sel_hi:[1,0,1]
	v_pk_fma_f16 v109, v201, v197, v92 op_sel_hi:[1,0,1]
	v_pk_fma_f16 v110, v201, v197, v93 op_sel:[0,1,0]
	v_pk_fma_f16 v111, v202, v197, v95 op_sel_hi:[1,0,1]
	v_pk_fma_f16 v112, v202, v198, v96 op_sel_hi:[1,0,1]
	ds_load_b128 v[90:93], v47 offset:272
	ds_load_2addr_b64 v[95:98], v44 offset0:64 offset1:96
	ds_load_b128 v[99:102], v47 offset:288
	ds_load_b128 v[103:106], v47 offset:304
	v_pk_fma_f16 v7, v186, v193, v7 op_sel:[0,1,0]
	v_pk_fma_f16 v8, v186, v194, v8 op_sel:[0,1,0]
	v_pk_fma_f16 v12, v187, v195, v12 op_sel_hi:[1,0,1]
	v_pk_fma_f16 v59, v188, v195, v59 op_sel:[0,1,0]
	v_pk_fma_f16 v61, v188, v196, v61 op_sel_hi:[1,0,1]
	;; [unrolled: 2-line block ×3, first 2 shown]
	v_pk_fma_f16 v11, v189, v196, v11 op_sel:[0,1,0]
	v_pk_fma_f16 v7, v190, v195, v7 op_sel:[0,1,0]
	;; [unrolled: 1-line block ×3, first 2 shown]
	v_pk_fma_f16 v12, v199, v197, v12 op_sel_hi:[1,0,1]
	v_pk_fma_f16 v64, v199, v197, v64 op_sel:[0,1,0]
	v_pk_fma_f16 v65, v199, v198, v65 op_sel_hi:[1,0,1]
	v_pk_fma_f16 v59, v200, v197, v59 op_sel:[0,1,0]
	;; [unrolled: 2-line block ×4, first 2 shown]
	v_pk_fma_f16 v7, v202, v197, v7 op_sel:[0,1,0]
	v_pk_fma_f16 v8, v202, v198, v8 op_sel:[0,1,0]
	s_waitcnt lgkmcnt(4)
	v_pk_fma_f16 v12, v51, v55, v12 op_sel_hi:[1,0,1]
	v_pk_fma_f16 v64, v51, v55, v64 op_sel:[0,1,0]
	v_pk_fma_f16 v65, v51, v56, v65 op_sel_hi:[1,0,1]
	v_pk_fma_f16 v51, v51, v56, v107 op_sel:[0,1,0]
	;; [unrolled: 2-line block ×6, first 2 shown]
	v_pk_fma_f16 v53, v54, v55, v111 op_sel_hi:[1,0,1]
	ds_load_2addr_b64 v[107:110], v44 offset0:128 offset1:160
	v_pk_fma_f16 v7, v54, v55, v7 op_sel:[0,1,0]
	v_pk_fma_f16 v55, v54, v56, v112 op_sel_hi:[1,0,1]
	v_pk_fma_f16 v8, v54, v56, v8 op_sel:[0,1,0]
	s_waitcnt lgkmcnt(3)
	v_pk_fma_f16 v12, v95, v57, v12 op_sel_hi:[1,0,1]
	v_pk_fma_f16 v56, v95, v57, v64 op_sel:[0,1,0]
	v_pk_fma_f16 v64, v95, v58, v65 op_sel_hi:[1,0,1]
	v_pk_fma_f16 v65, v95, v58, v51 op_sel:[0,1,0]
	;; [unrolled: 2-line block ×6, first 2 shown]
	v_pk_fma_f16 v97, v98, v57, v53 op_sel_hi:[1,0,1]
	ds_load_2addr_b64 v[51:54], v44 offset0:192 offset1:224
	v_pk_fma_f16 v7, v98, v57, v7 op_sel:[0,1,0]
	v_pk_fma_f16 v112, v98, v58, v55 op_sel_hi:[1,0,1]
	v_pk_fma_f16 v8, v98, v58, v8 op_sel:[0,1,0]
	s_waitcnt lgkmcnt(1)
	v_pk_fma_f16 v12, v107, v90, v12 op_sel_hi:[1,0,1]
	v_pk_fma_f16 v98, v107, v90, v56 op_sel:[0,1,0]
	v_pk_fma_f16 v64, v107, v91, v64 op_sel_hi:[1,0,1]
	v_pk_fma_f16 v65, v107, v91, v65 op_sel:[0,1,0]
	;; [unrolled: 2-line block ×6, first 2 shown]
	v_pk_fma_f16 v97, v110, v90, v97 op_sel_hi:[1,0,1]
	ds_load_2addr_b64 v[55:58], v94 offset1:32
	v_pk_fma_f16 v7, v110, v90, v7 op_sel:[0,1,0]
	v_pk_fma_f16 v90, v110, v91, v112 op_sel_hi:[1,0,1]
	v_pk_fma_f16 v8, v110, v91, v8 op_sel:[0,1,0]
	s_waitcnt lgkmcnt(1)
	v_pk_fma_f16 v12, v51, v92, v12 op_sel_hi:[1,0,1]
	v_pk_fma_f16 v91, v51, v92, v98 op_sel:[0,1,0]
	v_pk_fma_f16 v64, v51, v93, v64 op_sel_hi:[1,0,1]
	v_pk_fma_f16 v51, v51, v93, v65 op_sel:[0,1,0]
	;; [unrolled: 2-line block ×6, first 2 shown]
	v_pk_fma_f16 v53, v54, v92, v97 op_sel_hi:[1,0,1]
	ds_load_2addr_b64 v[95:98], v94 offset0:64 offset1:96
	v_pk_fma_f16 v7, v54, v92, v7 op_sel:[0,1,0]
	v_pk_fma_f16 v90, v54, v93, v90 op_sel_hi:[1,0,1]
	v_pk_fma_f16 v8, v54, v93, v8 op_sel:[0,1,0]
	s_waitcnt lgkmcnt(1)
	v_pk_fma_f16 v12, v55, v99, v12 op_sel_hi:[1,0,1]
	v_pk_fma_f16 v91, v55, v99, v91 op_sel:[0,1,0]
	v_pk_fma_f16 v64, v55, v100, v64 op_sel_hi:[1,0,1]
	v_pk_fma_f16 v55, v55, v100, v51 op_sel:[0,1,0]
	;; [unrolled: 2-line block ×6, first 2 shown]
	v_pk_fma_f16 v57, v58, v99, v53 op_sel_hi:[1,0,1]
	ds_load_2addr_b64 v[51:54], v94 offset0:128 offset1:160
	v_pk_fma_f16 v7, v58, v99, v7 op_sel:[0,1,0]
	v_pk_fma_f16 v90, v58, v100, v90 op_sel_hi:[1,0,1]
	v_pk_fma_f16 v8, v58, v100, v8 op_sel:[0,1,0]
	s_waitcnt lgkmcnt(1)
	v_pk_fma_f16 v12, v95, v101, v12 op_sel_hi:[1,0,1]
	v_pk_fma_f16 v91, v95, v101, v91 op_sel:[0,1,0]
	v_pk_fma_f16 v64, v95, v102, v64 op_sel_hi:[1,0,1]
	v_pk_fma_f16 v93, v95, v102, v55 op_sel:[0,1,0]
	v_pk_fma_f16 v65, v96, v101, v65 op_sel_hi:[1,0,1]
	v_pk_fma_f16 v59, v96, v101, v59 op_sel:[0,1,0]
	v_pk_fma_f16 v61, v96, v102, v61 op_sel_hi:[1,0,1]
	v_pk_fma_f16 v10, v96, v102, v10 op_sel:[0,1,0]
	v_pk_fma_f16 v95, v97, v101, v56 op_sel_hi:[1,0,1]
	v_pk_fma_f16 v96, v98, v101, v57 op_sel_hi:[1,0,1]
	ds_load_2addr_b64 v[55:58], v94 offset0:192 offset1:224
	v_pk_fma_f16 v92, v97, v101, v92 op_sel:[0,1,0]
	v_pk_fma_f16 v63, v97, v102, v63 op_sel_hi:[1,0,1]
	v_pk_fma_f16 v11, v97, v102, v11 op_sel:[0,1,0]
	v_pk_fma_f16 v90, v98, v102, v90 op_sel_hi:[1,0,1]
	v_pk_fma_f16 v7, v98, v101, v7 op_sel:[0,1,0]
	v_pk_fma_f16 v8, v98, v102, v8 op_sel:[0,1,0]
	s_waitcnt lgkmcnt(1)
	v_pk_fma_f16 v12, v51, v103, v12 op_sel_hi:[1,0,1]
	v_pk_fma_f16 v98, v51, v103, v91 op_sel:[0,1,0]
	v_pk_fma_f16 v64, v51, v104, v64 op_sel_hi:[1,0,1]
	v_pk_fma_f16 v51, v51, v104, v93 op_sel:[0,1,0]
	;; [unrolled: 2-line block ×6, first 2 shown]
	v_pk_fma_f16 v53, v54, v103, v96 op_sel_hi:[1,0,1]
	v_pk_fma_f16 v100, v54, v104, v90 op_sel_hi:[1,0,1]
	ds_load_2addr_b64 v[90:93], v49 offset1:32
	ds_load_b128 v[94:97], v47 offset:320
	v_pk_fma_f16 v7, v54, v103, v7 op_sel:[0,1,0]
	v_pk_fma_f16 v8, v54, v104, v8 op_sel:[0,1,0]
	s_waitcnt lgkmcnt(2)
	v_pk_fma_f16 v101, v55, v106, v51 op_sel:[0,1,0]
	v_pk_fma_f16 v102, v57, v105, v52 op_sel_hi:[1,0,1]
	v_pk_fma_f16 v103, v58, v105, v53 op_sel_hi:[1,0,1]
	ds_load_2addr_b64 v[51:54], v49 offset0:64 offset1:96
	v_pk_fma_f16 v12, v55, v105, v12 op_sel_hi:[1,0,1]
	v_pk_fma_f16 v98, v55, v105, v98 op_sel:[0,1,0]
	v_pk_fma_f16 v64, v55, v106, v64 op_sel_hi:[1,0,1]
	v_pk_fma_f16 v65, v56, v105, v65 op_sel_hi:[1,0,1]
	v_pk_fma_f16 v59, v56, v105, v59 op_sel:[0,1,0]
	v_pk_fma_f16 v61, v56, v106, v61 op_sel_hi:[1,0,1]
	v_pk_fma_f16 v10, v56, v106, v10 op_sel:[0,1,0]
	v_pk_fma_f16 v99, v57, v105, v99 op_sel:[0,1,0]
	v_pk_fma_f16 v63, v57, v106, v63 op_sel_hi:[1,0,1]
	v_pk_fma_f16 v11, v57, v106, v11 op_sel:[0,1,0]
	;; [unrolled: 3-line block ×3, first 2 shown]
	ds_load_b128 v[55:58], v47 offset:336
	s_waitcnt lgkmcnt(2)
	v_pk_fma_f16 v12, v90, v94, v12 op_sel_hi:[1,0,1]
	v_pk_fma_f16 v105, v90, v94, v98 op_sel:[0,1,0]
	v_pk_fma_f16 v64, v90, v95, v64 op_sel_hi:[1,0,1]
	v_pk_fma_f16 v90, v90, v95, v101 op_sel:[0,1,0]
	;; [unrolled: 2-line block ×6, first 2 shown]
	v_pk_fma_f16 v92, v93, v94, v103 op_sel_hi:[1,0,1]
	ds_load_2addr_b64 v[98:101], v49 offset0:128 offset1:160
	v_pk_fma_f16 v7, v93, v94, v7 op_sel:[0,1,0]
	v_pk_fma_f16 v94, v93, v95, v104 op_sel_hi:[1,0,1]
	v_pk_fma_f16 v8, v93, v95, v8 op_sel:[0,1,0]
	s_waitcnt lgkmcnt(2)
	v_pk_fma_f16 v12, v51, v96, v12 op_sel_hi:[1,0,1]
	v_pk_fma_f16 v95, v51, v96, v105 op_sel:[0,1,0]
	v_pk_fma_f16 v64, v51, v97, v64 op_sel_hi:[1,0,1]
	v_pk_fma_f16 v51, v51, v97, v90 op_sel:[0,1,0]
	;; [unrolled: 2-line block ×6, first 2 shown]
	v_pk_fma_f16 v53, v54, v96, v92 op_sel_hi:[1,0,1]
	ds_load_2addr_b64 v[90:93], v49 offset0:192 offset1:224
	v_pk_fma_f16 v7, v54, v96, v7 op_sel:[0,1,0]
	v_pk_fma_f16 v94, v54, v97, v94 op_sel_hi:[1,0,1]
	v_pk_fma_f16 v8, v54, v97, v8 op_sel:[0,1,0]
	s_waitcnt lgkmcnt(1)
	v_pk_fma_f16 v12, v98, v55, v12 op_sel_hi:[1,0,1]
	v_pk_fma_f16 v49, v98, v55, v95 op_sel:[0,1,0]
	v_pk_fma_f16 v64, v98, v56, v64 op_sel_hi:[1,0,1]
	v_pk_fma_f16 v98, v98, v56, v51 op_sel:[0,1,0]
	;; [unrolled: 2-line block ×7, first 2 shown]
	v_pk_fma_f16 v55, v101, v56, v94 op_sel_hi:[1,0,1]
	ds_load_2addr_b64 v[51:54], v50 offset1:32
	ds_load_b128 v[94:97], v47 offset:352
	v_pk_fma_f16 v8, v101, v56, v8 op_sel:[0,1,0]
	s_waitcnt lgkmcnt(2)
	v_pk_fma_f16 v12, v90, v57, v12 op_sel_hi:[1,0,1]
	v_pk_fma_f16 v49, v90, v57, v49 op_sel:[0,1,0]
	v_pk_fma_f16 v64, v90, v58, v64 op_sel_hi:[1,0,1]
	v_pk_fma_f16 v90, v90, v58, v98 op_sel:[0,1,0]
	;; [unrolled: 2-line block ×6, first 2 shown]
	v_pk_fma_f16 v92, v93, v57, v100 op_sel_hi:[1,0,1]
	ds_load_2addr_b64 v[98:101], v50 offset0:64 offset1:96
	v_pk_fma_f16 v7, v93, v57, v7 op_sel:[0,1,0]
	v_pk_fma_f16 v103, v93, v58, v55 op_sel_hi:[1,0,1]
	v_pk_fma_f16 v8, v93, v58, v8 op_sel:[0,1,0]
	ds_load_b128 v[55:58], v47 offset:368
	s_waitcnt lgkmcnt(2)
	v_pk_fma_f16 v12, v51, v94, v12 op_sel_hi:[1,0,1]
	v_pk_fma_f16 v49, v51, v94, v49 op_sel:[0,1,0]
	v_pk_fma_f16 v64, v51, v95, v64 op_sel_hi:[1,0,1]
	v_pk_fma_f16 v51, v51, v95, v90 op_sel:[0,1,0]
	;; [unrolled: 2-line block ×6, first 2 shown]
	v_pk_fma_f16 v53, v54, v94, v92 op_sel_hi:[1,0,1]
	ds_load_2addr_b64 v[90:93], v50 offset0:128 offset1:160
	v_pk_fma_f16 v7, v54, v94, v7 op_sel:[0,1,0]
	v_pk_fma_f16 v94, v54, v95, v103 op_sel_hi:[1,0,1]
	v_pk_fma_f16 v8, v54, v95, v8 op_sel:[0,1,0]
	s_waitcnt lgkmcnt(2)
	v_pk_fma_f16 v12, v98, v96, v12 op_sel_hi:[1,0,1]
	v_pk_fma_f16 v54, v98, v96, v49 op_sel:[0,1,0]
	v_pk_fma_f16 v64, v98, v97, v64 op_sel_hi:[1,0,1]
	v_pk_fma_f16 v95, v98, v97, v51 op_sel:[0,1,0]
	v_pk_fma_f16 v98, v100, v96, v52 op_sel_hi:[1,0,1]
	ds_load_2addr_b64 v[49:52], v50 offset0:192 offset1:224
	v_pk_fma_f16 v65, v99, v96, v65 op_sel_hi:[1,0,1]
	v_pk_fma_f16 v59, v99, v96, v59 op_sel:[0,1,0]
	v_pk_fma_f16 v61, v99, v97, v61 op_sel_hi:[1,0,1]
	v_pk_fma_f16 v10, v99, v97, v10 op_sel:[0,1,0]
	v_pk_fma_f16 v99, v100, v96, v102 op_sel:[0,1,0]
	v_pk_fma_f16 v53, v101, v96, v53 op_sel_hi:[1,0,1]
	v_pk_fma_f16 v7, v101, v96, v7 op_sel:[0,1,0]
	v_pk_fma_f16 v94, v101, v97, v94 op_sel_hi:[1,0,1]
	v_pk_fma_f16 v63, v100, v97, v63 op_sel_hi:[1,0,1]
	v_pk_fma_f16 v11, v100, v97, v11 op_sel:[0,1,0]
	v_pk_fma_f16 v8, v101, v97, v8 op_sel:[0,1,0]
	s_waitcnt lgkmcnt(1)
	v_pk_fma_f16 v12, v90, v55, v12 op_sel_hi:[1,0,1]
	v_pk_fma_f16 v54, v90, v55, v54 op_sel:[0,1,0]
	v_pk_fma_f16 v64, v90, v56, v64 op_sel_hi:[1,0,1]
	v_pk_fma_f16 v90, v90, v56, v95 op_sel:[0,1,0]
	;; [unrolled: 2-line block ×6, first 2 shown]
	v_pk_fma_f16 v55, v93, v56, v94 op_sel_hi:[1,0,1]
	ds_load_2addr_b64 v[94:97], v46 offset1:32
	ds_load_b128 v[98:101], v47 offset:384
	v_pk_fma_f16 v63, v92, v56, v63 op_sel_hi:[1,0,1]
	v_pk_fma_f16 v11, v92, v56, v11 op_sel:[0,1,0]
	v_pk_fma_f16 v8, v93, v56, v8 op_sel:[0,1,0]
	s_waitcnt lgkmcnt(2)
	v_pk_fma_f16 v12, v49, v57, v12 op_sel_hi:[1,0,1]
	v_pk_fma_f16 v92, v49, v57, v54 op_sel:[0,1,0]
	v_pk_fma_f16 v65, v50, v57, v65 op_sel_hi:[1,0,1]
	v_pk_fma_f16 v59, v50, v57, v59 op_sel:[0,1,0]
	;; [unrolled: 2-line block ×4, first 2 shown]
	v_pk_fma_f16 v57, v52, v58, v55 op_sel_hi:[1,0,1]
	ds_load_2addr_b64 v[53:56], v46 offset0:64 offset1:96
	v_pk_fma_f16 v64, v49, v58, v64 op_sel_hi:[1,0,1]
	v_pk_fma_f16 v90, v49, v58, v90 op_sel:[0,1,0]
	v_pk_fma_f16 v61, v50, v58, v61 op_sel_hi:[1,0,1]
	v_pk_fma_f16 v10, v50, v58, v10 op_sel:[0,1,0]
	;; [unrolled: 2-line block ×3, first 2 shown]
	v_pk_fma_f16 v8, v52, v58, v8 op_sel:[0,1,0]
	ds_load_b128 v[49:52], v47 offset:400
	s_waitcnt lgkmcnt(2)
	v_pk_fma_f16 v12, v94, v98, v12 op_sel_hi:[1,0,1]
	v_pk_fma_f16 v58, v94, v98, v92 op_sel:[0,1,0]
	v_pk_fma_f16 v64, v94, v99, v64 op_sel_hi:[1,0,1]
	v_pk_fma_f16 v94, v94, v99, v90 op_sel:[0,1,0]
	;; [unrolled: 2-line block ×6, first 2 shown]
	v_pk_fma_f16 v96, v97, v98, v102 op_sel_hi:[1,0,1]
	ds_load_2addr_b64 v[90:93], v46 offset0:128 offset1:160
	v_pk_fma_f16 v7, v97, v98, v7 op_sel:[0,1,0]
	v_pk_fma_f16 v57, v97, v99, v57 op_sel_hi:[1,0,1]
	v_pk_fma_f16 v8, v97, v99, v8 op_sel:[0,1,0]
	s_waitcnt lgkmcnt(2)
	v_pk_fma_f16 v12, v53, v100, v12 op_sel_hi:[1,0,1]
	v_pk_fma_f16 v58, v53, v100, v58 op_sel:[0,1,0]
	v_pk_fma_f16 v64, v53, v101, v64 op_sel_hi:[1,0,1]
	v_pk_fma_f16 v53, v53, v101, v94 op_sel:[0,1,0]
	;; [unrolled: 2-line block ×6, first 2 shown]
	v_pk_fma_f16 v55, v56, v100, v96 op_sel_hi:[1,0,1]
	ds_load_2addr_b64 v[94:97], v46 offset0:192 offset1:224
	v_pk_fma_f16 v7, v56, v100, v7 op_sel:[0,1,0]
	v_pk_fma_f16 v57, v56, v101, v57 op_sel_hi:[1,0,1]
	v_pk_fma_f16 v8, v56, v101, v8 op_sel:[0,1,0]
	s_waitcnt lgkmcnt(1)
	v_pk_fma_f16 v12, v90, v49, v12 op_sel_hi:[1,0,1]
	v_pk_fma_f16 v46, v90, v49, v58 op_sel:[0,1,0]
	v_pk_fma_f16 v58, v90, v50, v64 op_sel_hi:[1,0,1]
	v_pk_fma_f16 v64, v90, v50, v53 op_sel:[0,1,0]
	;; [unrolled: 2-line block ×6, first 2 shown]
	v_pk_fma_f16 v92, v93, v49, v55 op_sel_hi:[1,0,1]
	ds_load_2addr_b64 v[53:56], v9 offset1:32
	ds_load_b128 v[98:101], v47 offset:416
	v_pk_fma_f16 v7, v93, v49, v7 op_sel:[0,1,0]
	v_pk_fma_f16 v49, v93, v50, v57 op_sel_hi:[1,0,1]
	v_pk_fma_f16 v8, v93, v50, v8 op_sel:[0,1,0]
	s_waitcnt lgkmcnt(2)
	v_pk_fma_f16 v12, v94, v51, v12 op_sel_hi:[1,0,1]
	v_pk_fma_f16 v46, v94, v51, v46 op_sel:[0,1,0]
	v_pk_fma_f16 v57, v94, v52, v58 op_sel_hi:[1,0,1]
	v_pk_fma_f16 v58, v94, v52, v64 op_sel:[0,1,0]
	;; [unrolled: 2-line block ×5, first 2 shown]
	v_pk_fma_f16 v95, v97, v51, v92 op_sel_hi:[1,0,1]
	ds_load_2addr_b64 v[90:93], v9 offset0:64 offset1:96
	v_pk_fma_f16 v63, v96, v52, v63 op_sel_hi:[1,0,1]
	v_pk_fma_f16 v11, v96, v52, v11 op_sel:[0,1,0]
	v_pk_fma_f16 v7, v97, v51, v7 op_sel:[0,1,0]
	v_pk_fma_f16 v102, v97, v52, v49 op_sel_hi:[1,0,1]
	v_pk_fma_f16 v8, v97, v52, v8 op_sel:[0,1,0]
	ds_load_b128 v[49:52], v47 offset:432
	s_waitcnt lgkmcnt(2)
	v_pk_fma_f16 v12, v53, v98, v12 op_sel_hi:[1,0,1]
	v_pk_fma_f16 v46, v53, v98, v46 op_sel:[0,1,0]
	v_pk_fma_f16 v57, v53, v99, v57 op_sel_hi:[1,0,1]
	v_pk_fma_f16 v53, v53, v99, v58 op_sel:[0,1,0]
	;; [unrolled: 2-line block ×7, first 2 shown]
	ds_load_2addr_b64 v[94:97], v9 offset0:128 offset1:160
	v_pk_fma_f16 v65, v56, v99, v102 op_sel_hi:[1,0,1]
	v_pk_fma_f16 v56, v56, v99, v8 op_sel:[0,1,0]
	s_waitcnt lgkmcnt(2)
	v_pk_fma_f16 v12, v90, v100, v12 op_sel_hi:[1,0,1]
	v_pk_fma_f16 v46, v90, v100, v46 op_sel:[0,1,0]
	v_pk_fma_f16 v57, v90, v101, v57 op_sel_hi:[1,0,1]
	v_pk_fma_f16 v53, v90, v101, v53 op_sel:[0,1,0]
	;; [unrolled: 2-line block ×4, first 2 shown]
	v_pk_fma_f16 v91, v93, v100, v7 op_sel:[0,1,0]
	ds_load_2addr_b64 v[7:10], v9 offset0:192 offset1:224
	v_pk_fma_f16 v54, v92, v100, v54 op_sel_hi:[1,0,1]
	v_pk_fma_f16 v64, v92, v100, v64 op_sel:[0,1,0]
	v_pk_fma_f16 v63, v92, v101, v63 op_sel_hi:[1,0,1]
	v_pk_fma_f16 v11, v92, v101, v11 op_sel:[0,1,0]
	v_pk_fma_f16 v55, v93, v100, v55 op_sel_hi:[1,0,1]
	v_pk_fma_f16 v65, v93, v101, v65 op_sel_hi:[1,0,1]
	v_pk_fma_f16 v98, v93, v101, v56 op_sel:[0,1,0]
	s_waitcnt lgkmcnt(1)
	v_pk_fma_f16 v12, v94, v49, v12 op_sel_hi:[1,0,1]
	v_pk_fma_f16 v46, v94, v49, v46 op_sel:[0,1,0]
	v_pk_fma_f16 v57, v94, v50, v57 op_sel_hi:[1,0,1]
	v_pk_fma_f16 v94, v94, v50, v53 op_sel:[0,1,0]
	v_pk_fma_f16 v58, v95, v49, v58 op_sel_hi:[1,0,1]
	v_pk_fma_f16 v59, v95, v49, v59 op_sel:[0,1,0]
	v_pk_fma_f16 v61, v95, v50, v61 op_sel_hi:[1,0,1]
	v_pk_fma_f16 v95, v95, v50, v90 op_sel:[0,1,0]
	v_pk_fma_f16 v99, v96, v49, v54 op_sel_hi:[1,0,1]
	v_pk_fma_f16 v64, v96, v49, v64 op_sel:[0,1,0]
	v_pk_fma_f16 v63, v96, v50, v63 op_sel_hi:[1,0,1]
	v_pk_fma_f16 v11, v96, v50, v11 op_sel:[0,1,0]
	v_pk_fma_f16 v96, v97, v49, v55 op_sel_hi:[1,0,1]
	v_pk_fma_f16 v49, v97, v49, v91 op_sel:[0,1,0]
	ds_load_2addr_b64 v[53:56], v6 offset1:32
	ds_load_b128 v[90:93], v47 offset:448
	v_pk_fma_f16 v65, v97, v50, v65 op_sel_hi:[1,0,1]
	v_pk_fma_f16 v50, v97, v50, v98 op_sel:[0,1,0]
	s_waitcnt lgkmcnt(2)
	v_pk_fma_f16 v98, v7, v52, v94 op_sel:[0,1,0]
	v_pk_fma_f16 v100, v8, v52, v95 op_sel:[0,1,0]
	v_pk_fma_f16 v101, v10, v51, v96 op_sel_hi:[1,0,1]
	ds_load_2addr_b64 v[94:97], v6 offset0:64 offset1:96
	v_pk_fma_f16 v12, v7, v51, v12 op_sel_hi:[1,0,1]
	v_pk_fma_f16 v46, v7, v51, v46 op_sel:[0,1,0]
	v_pk_fma_f16 v57, v7, v52, v57 op_sel_hi:[1,0,1]
	v_pk_fma_f16 v58, v8, v51, v58 op_sel_hi:[1,0,1]
	v_pk_fma_f16 v59, v8, v51, v59 op_sel:[0,1,0]
	v_pk_fma_f16 v61, v8, v52, v61 op_sel_hi:[1,0,1]
	;; [unrolled: 3-line block ×3, first 2 shown]
	v_pk_fma_f16 v11, v9, v52, v11 op_sel:[0,1,0]
	v_pk_fma_f16 v49, v10, v51, v49 op_sel:[0,1,0]
	v_pk_fma_f16 v65, v10, v52, v65 op_sel_hi:[1,0,1]
	v_pk_fma_f16 v102, v10, v52, v50 op_sel:[0,1,0]
	ds_load_b128 v[7:10], v47 offset:464
	s_waitcnt lgkmcnt(2)
	v_pk_fma_f16 v12, v53, v90, v12 op_sel_hi:[1,0,1]
	v_pk_fma_f16 v46, v53, v90, v46 op_sel:[0,1,0]
	v_pk_fma_f16 v57, v53, v91, v57 op_sel_hi:[1,0,1]
	v_pk_fma_f16 v53, v53, v91, v98 op_sel:[0,1,0]
	;; [unrolled: 2-line block ×7, first 2 shown]
	ds_load_2addr_b64 v[49:52], v6 offset0:128 offset1:160
	v_pk_fma_f16 v65, v56, v91, v65 op_sel_hi:[1,0,1]
	v_pk_fma_f16 v91, v56, v91, v102 op_sel:[0,1,0]
	s_waitcnt lgkmcnt(2)
	v_pk_fma_f16 v12, v94, v92, v12 op_sel_hi:[1,0,1]
	v_pk_fma_f16 v46, v94, v92, v46 op_sel:[0,1,0]
	v_pk_fma_f16 v57, v94, v93, v57 op_sel_hi:[1,0,1]
	v_pk_fma_f16 v94, v94, v93, v53 op_sel:[0,1,0]
	;; [unrolled: 2-line block ×6, first 2 shown]
	v_pk_fma_f16 v96, v97, v92, v55 op_sel_hi:[1,0,1]
	ds_load_2addr_b64 v[53:56], v6 offset0:192 offset1:224
	v_pk_fma_f16 v90, v97, v92, v90 op_sel:[0,1,0]
	v_pk_fma_f16 v65, v97, v93, v65 op_sel_hi:[1,0,1]
	v_pk_fma_f16 v6, v97, v93, v91 op_sel:[0,1,0]
	s_waitcnt lgkmcnt(1)
	v_pk_fma_f16 v12, v49, v7, v12 op_sel_hi:[1,0,1]
	v_pk_fma_f16 v46, v49, v7, v46 op_sel:[0,1,0]
	v_pk_fma_f16 v57, v49, v8, v57 op_sel_hi:[1,0,1]
	v_pk_fma_f16 v49, v49, v8, v94 op_sel:[0,1,0]
	;; [unrolled: 2-line block ×7, first 2 shown]
	ds_load_2addr_b64 v[90:93], v5 offset1:32
	ds_load_b128 v[94:97], v47 offset:480
	v_pk_fma_f16 v65, v52, v8, v65 op_sel_hi:[1,0,1]
	v_pk_fma_f16 v52, v52, v8, v6 op_sel:[0,1,0]
	s_waitcnt lgkmcnt(2)
	v_pk_fma_f16 v12, v53, v9, v12 op_sel_hi:[1,0,1]
	v_pk_fma_f16 v46, v53, v9, v46 op_sel:[0,1,0]
	v_pk_fma_f16 v57, v53, v10, v57 op_sel_hi:[1,0,1]
	v_pk_fma_f16 v49, v53, v10, v49 op_sel:[0,1,0]
	;; [unrolled: 2-line block ×7, first 2 shown]
	ds_load_2addr_b64 v[6:9], v5 offset0:64 offset1:96
	v_pk_fma_f16 v64, v56, v10, v65 op_sel_hi:[1,0,1]
	v_pk_fma_f16 v10, v56, v10, v52 op_sel:[0,1,0]
	s_waitcnt lgkmcnt(1)
	v_pk_fma_f16 v12, v90, v94, v12 op_sel_hi:[1,0,1]
	v_pk_fma_f16 v46, v90, v94, v46 op_sel:[0,1,0]
	v_pk_fma_f16 v56, v90, v95, v57 op_sel_hi:[1,0,1]
	v_pk_fma_f16 v57, v90, v95, v49 op_sel:[0,1,0]
	;; [unrolled: 2-line block ×6, first 2 shown]
	ds_load_b128 v[98:101], v47 offset:496
	v_pk_fma_f16 v90, v93, v94, v51 op_sel_hi:[1,0,1]
	ds_load_2addr_b64 v[49:52], v5 offset0:128 offset1:160
	v_pk_fma_f16 v55, v93, v94, v55 op_sel:[0,1,0]
	v_pk_fma_f16 v64, v93, v95, v64 op_sel_hi:[1,0,1]
	s_waitcnt lgkmcnt(2)
	v_pk_fma_f16 v12, v6, v96, v12 op_sel_hi:[1,0,1]
	v_pk_fma_f16 v46, v6, v96, v46 op_sel:[0,1,0]
	v_pk_fma_f16 v56, v6, v97, v56 op_sel_hi:[1,0,1]
	v_pk_fma_f16 v57, v6, v97, v57 op_sel:[0,1,0]
	;; [unrolled: 2-line block ×6, first 2 shown]
	ds_load_2addr_b64 v[5:8], v5 offset0:192 offset1:224
	s_waitcnt lgkmcnt(0)
	s_barrier
	buffer_gl0_inv
	s_load_b32 s20, s[4:5], 0x4
	v_pk_fma_f16 v10, v93, v95, v10 op_sel:[0,1,0]
	v_pk_fma_f16 v90, v9, v96, v90 op_sel_hi:[1,0,1]
	v_pk_fma_f16 v55, v9, v96, v55 op_sel:[0,1,0]
	v_pk_fma_f16 v64, v9, v97, v64 op_sel_hi:[1,0,1]
	v_pk_fma_f16 v58, v50, v98, v58 op_sel:[0,1,0]
	v_pk_fma_f16 v9, v9, v97, v10 op_sel:[0,1,0]
	v_pk_fma_f16 v10, v49, v98, v12 op_sel_hi:[1,0,1]
	v_pk_fma_f16 v12, v49, v98, v46 op_sel:[0,1,0]
	v_pk_fma_f16 v46, v49, v99, v56 op_sel_hi:[1,0,1]
	;; [unrolled: 2-line block ×3, first 2 shown]
	v_pk_fma_f16 v59, v50, v99, v59 op_sel_hi:[1,0,1]
	v_pk_fma_f16 v50, v50, v99, v65 op_sel:[0,1,0]
	v_pk_fma_f16 v54, v51, v98, v54 op_sel_hi:[1,0,1]
	v_pk_fma_f16 v91, v51, v98, v61 op_sel:[0,1,0]
	;; [unrolled: 2-line block ×5, first 2 shown]
	s_waitcnt lgkmcnt(0)
	s_lshl_b32 s20, s20, 6
	v_pk_fma_f16 v57, v5, v100, v10 op_sel_hi:[1,0,1]
	v_pk_fma_f16 v53, v5, v100, v12 op_sel:[0,1,0]
	v_pk_fma_f16 v46, v5, v101, v46 op_sel_hi:[1,0,1]
	v_pk_fma_f16 v51, v5, v101, v49 op_sel:[0,1,0]
	v_pk_fma_f16 v65, v6, v100, v56 op_sel_hi:[1,0,1]
	v_pk_fma_f16 v61, v6, v100, v58 op_sel:[0,1,0]
	v_pk_fma_f16 v56, v6, v101, v59 op_sel_hi:[1,0,1]
	v_pk_fma_f16 v52, v6, v101, v50 op_sel:[0,1,0]
	v_pk_fma_f16 v63, v7, v100, v54 op_sel_hi:[1,0,1]
	v_pk_fma_f16 v58, v7, v100, v91 op_sel:[0,1,0]
	v_pk_fma_f16 v54, v7, v101, v92 op_sel_hi:[1,0,1]
	v_pk_fma_f16 v50, v7, v101, v11 op_sel:[0,1,0]
	v_pk_fma_f16 v64, v8, v100, v90 op_sel_hi:[1,0,1]
	v_pk_fma_f16 v59, v8, v100, v55 op_sel:[0,1,0]
	v_pk_fma_f16 v55, v8, v101, v93 op_sel_hi:[1,0,1]
	v_pk_fma_f16 v49, v8, v101, v9 op_sel:[0,1,0]
	s_add_i32 s12, s20, s12
	s_delay_alu instid0(SALU_CYCLE_1)
	s_cmp_lt_i32 s12, s7
	s_cbranch_scc0 .LBB42_28
; %bb.26:                               ;   in Loop: Header=BB42_8 Depth=1
	v_dual_mov_b32 v91, v1 :: v_dual_mov_b32 v92, v2
	v_dual_mov_b32 v93, v3 :: v_dual_mov_b32 v90, v4
	;; [unrolled: 1-line block ×4, first 2 shown]
	s_branch .LBB42_8
.LBB42_27:
	s_mov_b32 s45, s44
	s_mov_b32 s46, s44
	;; [unrolled: 1-line block ×3, first 2 shown]
	v_dual_mov_b32 v1, s44 :: v_dual_mov_b32 v2, s45
	v_dual_mov_b32 v3, s46 :: v_dual_mov_b32 v4, s47
	;; [unrolled: 1-line block ×10, first 2 shown]
	v_mov_b32_e32 v51, 0
	v_mov_b32_e32 v49, 0
.LBB42_28:
	s_cmp_gt_i32 s42, s12
	s_cbranch_scc1 .LBB42_30
; %bb.29:
	v_mbcnt_lo_u32_b32 v5, -1, 0
	v_mov_b32_e32 v25, 32
	s_delay_alu instid0(VALU_DEP_2)
	v_xor_b32_e32 v26, 16, v5
	v_xor_b32_e32 v24, 8, v5
	;; [unrolled: 1-line block ×5, first 2 shown]
	s_cbranch_execz .LBB42_31
	s_branch .LBB42_71
.LBB42_30:
                                        ; implicit-def: $vgpr5
                                        ; implicit-def: $vgpr25
                                        ; implicit-def: $vgpr26
                                        ; implicit-def: $vgpr24
                                        ; implicit-def: $vgpr23
                                        ; implicit-def: $vgpr22
                                        ; implicit-def: $vgpr21
.LBB42_31:
	v_lshl_add_u32 v25, v43, 1, v74
	s_mul_hi_i32 s5, s12, s17
	s_mul_i32 s4, s12, s17
	s_sub_i32 s19, s42, s12
	s_lshl_b64 s[4:5], s[4:5], 2
	v_mul_lo_u32 v8, s17, v25
	s_add_u32 s7, s6, s4
	s_mov_b64 s[8:9], src_private_base
	v_dual_mov_b32 v21, 0 :: v_dual_lshlrev_b32 v26, 2, v73
	s_addc_u32 s8, s18, s5
	v_cmp_gt_i32_e64 s6, s19, v25
	s_mov_b32 s20, 0
	s_delay_alu instid0(VALU_DEP_3)
	v_ashrrev_i32_e32 v9, 31, v8
	s_mov_b32 s21, s20
	s_mov_b32 s22, s20
	s_lshl_b32 s5, s17, 4
	s_cmp_lg_u64 s[40:41], 0
	v_lshlrev_b64 v[5:6], 2, v[8:9]
	v_add_nc_u32_e32 v8, s5, v8
	s_delay_alu instid0(VALU_DEP_2) | instskip(NEXT) | instid1(VALU_DEP_3)
	v_add_co_u32 v5, vcc_lo, s7, v5
	v_add_co_ci_u32_e32 v6, vcc_lo, s8, v6, vcc_lo
	s_delay_alu instid0(VALU_DEP_2) | instskip(NEXT) | instid1(VALU_DEP_2)
	v_add_co_u32 v27, vcc_lo, v5, v26
	v_add_co_ci_u32_e32 v28, vcc_lo, 0, v6, vcc_lo
	v_dual_mov_b32 v5, s20 :: v_dual_mov_b32 v6, s21
	v_mov_b32_e32 v7, s22
	s_delay_alu instid0(VALU_DEP_3)
	v_cndmask_b32_e64 v10, s9, v28, s6
	v_cndmask_b32_e64 v9, 0, v27, s6
	s_clause 0x1
	scratch_store_b32 off, v21, off
	scratch_store_b96 off, v[5:7], off offset:4
	flat_load_b128 v[15:18], v[9:10]
	v_ashrrev_i32_e32 v9, 31, v8
	s_clause 0x1
	scratch_store_b32 off, v21, off
	scratch_store_b96 off, v[5:7], off offset:4
	v_lshlrev_b64 v[9:10], 2, v[8:9]
	s_delay_alu instid0(VALU_DEP_1) | instskip(NEXT) | instid1(VALU_DEP_2)
	v_add_co_u32 v9, vcc_lo, s7, v9
	v_add_co_ci_u32_e32 v11, vcc_lo, s8, v10, vcc_lo
	s_delay_alu instid0(VALU_DEP_2) | instskip(SKIP_1) | instid1(VALU_DEP_3)
	v_add_co_u32 v10, vcc_lo, v9, v26
	v_add_nc_u32_e32 v12, 16, v25
	v_add_co_ci_u32_e32 v22, vcc_lo, 0, v11, vcc_lo
	v_mad_u32_u24 v9, 0x110, v25, v26
	s_delay_alu instid0(VALU_DEP_3) | instskip(SKIP_1) | instid1(VALU_DEP_4)
	v_cmp_gt_i32_e32 vcc_lo, s19, v12
	v_cndmask_b32_e32 v11, 0, v10, vcc_lo
	v_cndmask_b32_e32 v12, s9, v22, vcc_lo
	s_waitcnt vmcnt(0) lgkmcnt(0)
	ds_store_b128 v9, v[15:18]
	flat_load_b128 v[15:18], v[11:12]
	v_add_nc_u32_e32 v11, s5, v8
	s_clause 0x1
	scratch_store_b32 off, v21, off
	scratch_store_b96 off, v[5:7], off offset:4
	v_ashrrev_i32_e32 v12, 31, v11
	s_delay_alu instid0(VALU_DEP_1) | instskip(NEXT) | instid1(VALU_DEP_1)
	v_lshlrev_b64 v[19:20], 2, v[11:12]
	v_add_co_u32 v8, s4, s7, v19
	s_delay_alu instid0(VALU_DEP_1) | instskip(SKIP_1) | instid1(VALU_DEP_3)
	v_add_co_ci_u32_e64 v12, s4, s8, v20, s4
	v_add_nc_u32_e32 v19, 32, v25
	v_add_co_u32 v23, s4, v8, v26
	s_delay_alu instid0(VALU_DEP_1) | instskip(NEXT) | instid1(VALU_DEP_3)
	v_add_co_ci_u32_e64 v24, s4, 0, v12, s4
	v_cmp_gt_i32_e64 s4, s19, v19
	s_delay_alu instid0(VALU_DEP_1) | instskip(NEXT) | instid1(VALU_DEP_4)
	v_cndmask_b32_e64 v20, s9, v24, s4
	v_cndmask_b32_e64 v19, 0, v23, s4
	s_waitcnt vmcnt(0) lgkmcnt(0)
	ds_store_b128 v9, v[15:18] offset:4352
	flat_load_b128 v[15:18], v[19:20]
	v_dual_mov_b32 v20, 0 :: v_dual_add_nc_u32 v11, s5, v11
	s_clause 0x1
	scratch_store_b32 off, v21, off
	scratch_store_b96 off, v[5:7], off offset:4
	v_mov_b32_e32 v19, 0
	v_ashrrev_i32_e32 v12, 31, v11
	s_delay_alu instid0(VALU_DEP_1) | instskip(NEXT) | instid1(VALU_DEP_1)
	v_lshlrev_b64 v[11:12], 2, v[11:12]
	v_add_co_u32 v8, s5, s7, v11
	s_delay_alu instid0(VALU_DEP_1) | instskip(SKIP_1) | instid1(VALU_DEP_3)
	v_add_co_ci_u32_e64 v11, s5, s8, v12, s5
	v_add_nc_u32_e32 v12, 48, v25
	v_add_co_u32 v25, s5, v8, v26
	s_delay_alu instid0(VALU_DEP_1) | instskip(NEXT) | instid1(VALU_DEP_3)
	v_add_co_ci_u32_e64 v26, s5, 0, v11, s5
	v_cmp_gt_i32_e64 s5, s19, v12
	v_lshlrev_b32_e32 v8, 11, v43
	s_delay_alu instid0(VALU_DEP_2)
	v_cndmask_b32_e64 v12, s9, v26, s5
	v_cndmask_b32_e64 v11, 0, v25, s5
	s_waitcnt vmcnt(0) lgkmcnt(0)
	ds_store_b128 v9, v[15:18] offset:8704
	flat_load_b128 v[15:18], v[11:12]
	v_dual_mov_b32 v12, 0 :: v_dual_mov_b32 v11, 0
	s_waitcnt vmcnt(0) lgkmcnt(0)
	ds_store_b128 v9, v[15:18] offset:13056
	v_mov_b32_e32 v15, 0
	s_waitcnt lgkmcnt(0)
	s_waitcnt_vscnt null, 0x0
	s_barrier
	buffer_gl0_inv
	v_mov_b32_e32 v17, 0
	ds_load_b128 v[73:76], v68
	ds_load_b128 v[77:80], v8 offset:17408
	ds_load_b128 v[81:84], v8 offset:17920
	;; [unrolled: 1-line block ×5, first 2 shown]
	v_mov_b32_e32 v18, 0
	v_mov_b32_e32 v16, 0
	s_waitcnt lgkmcnt(4)
	;;#ASMSTART
	v_dot2_f32_f16 v20, v73, v77, v20
	;;#ASMEND
	;;#ASMSTART
	v_dot2_f32_f16 v20, v74, v78, v20
	;;#ASMEND
	;;#ASMSTART
	v_dot2_f32_f16 v20, v75, v79, v20
	;;#ASMEND
	;;#ASMSTART
	v_dot2_f32_f16 v20, v76, v80, v20
	;;#ASMEND
	s_waitcnt lgkmcnt(3)
	;;#ASMSTART
	v_dot2_f32_f16 v19, v73, v81, v19
	;;#ASMEND
	;;#ASMSTART
	v_dot2_f32_f16 v19, v74, v82, v19
	;;#ASMEND
	;;#ASMSTART
	v_dot2_f32_f16 v19, v75, v83, v19
	;;#ASMEND
	;;#ASMSTART
	v_dot2_f32_f16 v19, v76, v84, v19
	;;#ASMEND
	;; [unrolled: 13-line block ×5, first 2 shown]
	;;#ASMSTART
	v_dot2_f32_f16 v15, v93, v81, v15
	;;#ASMEND
	;;#ASMSTART
	v_dot2_f32_f16 v15, v94, v82, v15
	;;#ASMEND
	;; [unrolled: 3-line block ×12, first 2 shown]
	ds_load_b128 v[73:76], v68 offset:16
	ds_load_b128 v[77:80], v8 offset:17424
	;; [unrolled: 1-line block ×6, first 2 shown]
	s_waitcnt lgkmcnt(4)
	;;#ASMSTART
	v_dot2_f32_f16 v20, v73, v77, v20
	;;#ASMEND
	;;#ASMSTART
	v_dot2_f32_f16 v20, v74, v78, v20
	;;#ASMEND
	;;#ASMSTART
	v_dot2_f32_f16 v20, v75, v79, v20
	;;#ASMEND
	;;#ASMSTART
	v_dot2_f32_f16 v20, v76, v80, v20
	;;#ASMEND
	s_waitcnt lgkmcnt(3)
	;;#ASMSTART
	v_dot2_f32_f16 v19, v73, v81, v19
	;;#ASMEND
	;;#ASMSTART
	v_dot2_f32_f16 v19, v74, v82, v19
	;;#ASMEND
	;;#ASMSTART
	v_dot2_f32_f16 v19, v75, v83, v19
	;;#ASMEND
	;;#ASMSTART
	v_dot2_f32_f16 v19, v76, v84, v19
	;;#ASMEND
	;; [unrolled: 13-line block ×5, first 2 shown]
	;;#ASMSTART
	v_dot2_f32_f16 v15, v93, v81, v15
	;;#ASMEND
	;;#ASMSTART
	v_dot2_f32_f16 v15, v94, v82, v15
	;;#ASMEND
	;;#ASMSTART
	v_dot2_f32_f16 v15, v95, v83, v15
	;;#ASMEND
	;;#ASMSTART
	v_dot2_f32_f16 v15, v96, v84, v15
	;;#ASMEND
	;;#ASMSTART
	v_dot2_f32_f16 v16, v93, v85, v16
	;;#ASMEND
	;;#ASMSTART
	v_dot2_f32_f16 v16, v94, v86, v16
	;;#ASMEND
	;;#ASMSTART
	v_dot2_f32_f16 v16, v95, v87, v16
	;;#ASMEND
	;;#ASMSTART
	v_dot2_f32_f16 v16, v96, v88, v16
	;;#ASMEND
	;;#ASMSTART
	v_dot2_f32_f16 v11, v93, v89, v11
	;;#ASMEND
	;;#ASMSTART
	v_dot2_f32_f16 v11, v94, v90, v11
	;;#ASMEND
	;;#ASMSTART
	v_dot2_f32_f16 v11, v95, v91, v11
	;;#ASMEND
	;;#ASMSTART
	v_dot2_f32_f16 v11, v96, v92, v11
	;;#ASMEND
	ds_load_b128 v[73:76], v68 offset:32
	ds_load_b128 v[77:80], v8 offset:17440
	;; [unrolled: 1-line block ×6, first 2 shown]
	s_waitcnt lgkmcnt(4)
	;;#ASMSTART
	v_dot2_f32_f16 v20, v73, v77, v20
	;;#ASMEND
	;;#ASMSTART
	v_dot2_f32_f16 v20, v74, v78, v20
	;;#ASMEND
	;;#ASMSTART
	v_dot2_f32_f16 v20, v75, v79, v20
	;;#ASMEND
	;;#ASMSTART
	v_dot2_f32_f16 v20, v76, v80, v20
	;;#ASMEND
	s_waitcnt lgkmcnt(3)
	;;#ASMSTART
	v_dot2_f32_f16 v19, v73, v81, v19
	;;#ASMEND
	;;#ASMSTART
	v_dot2_f32_f16 v19, v74, v82, v19
	;;#ASMEND
	;;#ASMSTART
	v_dot2_f32_f16 v19, v75, v83, v19
	;;#ASMEND
	;;#ASMSTART
	v_dot2_f32_f16 v19, v76, v84, v19
	;;#ASMEND
	;; [unrolled: 13-line block ×5, first 2 shown]
	;;#ASMSTART
	v_dot2_f32_f16 v15, v93, v81, v15
	;;#ASMEND
	;;#ASMSTART
	v_dot2_f32_f16 v15, v94, v82, v15
	;;#ASMEND
	;; [unrolled: 3-line block ×12, first 2 shown]
	ds_load_b128 v[73:76], v68 offset:48
	ds_load_b128 v[77:80], v8 offset:17456
	;; [unrolled: 1-line block ×6, first 2 shown]
	s_waitcnt lgkmcnt(4)
	;;#ASMSTART
	v_dot2_f32_f16 v20, v73, v77, v20
	;;#ASMEND
	;;#ASMSTART
	v_dot2_f32_f16 v20, v74, v78, v20
	;;#ASMEND
	;;#ASMSTART
	v_dot2_f32_f16 v20, v75, v79, v20
	;;#ASMEND
	;;#ASMSTART
	v_dot2_f32_f16 v20, v76, v80, v20
	;;#ASMEND
	s_waitcnt lgkmcnt(3)
	;;#ASMSTART
	v_dot2_f32_f16 v19, v73, v81, v19
	;;#ASMEND
	;;#ASMSTART
	v_dot2_f32_f16 v19, v74, v82, v19
	;;#ASMEND
	;;#ASMSTART
	v_dot2_f32_f16 v19, v75, v83, v19
	;;#ASMEND
	;;#ASMSTART
	v_dot2_f32_f16 v19, v76, v84, v19
	;;#ASMEND
	;; [unrolled: 13-line block ×5, first 2 shown]
	;;#ASMSTART
	v_dot2_f32_f16 v15, v93, v81, v15
	;;#ASMEND
	;;#ASMSTART
	v_dot2_f32_f16 v15, v94, v82, v15
	;;#ASMEND
	;;#ASMSTART
	v_dot2_f32_f16 v15, v95, v83, v15
	;;#ASMEND
	;;#ASMSTART
	v_dot2_f32_f16 v15, v96, v84, v15
	;;#ASMEND
	;;#ASMSTART
	v_dot2_f32_f16 v16, v93, v85, v16
	;;#ASMEND
	;;#ASMSTART
	v_dot2_f32_f16 v16, v94, v86, v16
	;;#ASMEND
	;;#ASMSTART
	v_dot2_f32_f16 v16, v95, v87, v16
	;;#ASMEND
	;;#ASMSTART
	v_dot2_f32_f16 v16, v96, v88, v16
	;;#ASMEND
	;;#ASMSTART
	v_dot2_f32_f16 v11, v93, v89, v11
	;;#ASMEND
	;;#ASMSTART
	v_dot2_f32_f16 v11, v94, v90, v11
	;;#ASMEND
	;;#ASMSTART
	v_dot2_f32_f16 v11, v95, v91, v11
	;;#ASMEND
	;;#ASMSTART
	v_dot2_f32_f16 v11, v96, v92, v11
	;;#ASMEND
	ds_load_b128 v[73:76], v68 offset:64
	ds_load_b128 v[77:80], v8 offset:17472
	;; [unrolled: 1-line block ×6, first 2 shown]
	s_waitcnt lgkmcnt(4)
	;;#ASMSTART
	v_dot2_f32_f16 v20, v73, v77, v20
	;;#ASMEND
	;;#ASMSTART
	v_dot2_f32_f16 v20, v74, v78, v20
	;;#ASMEND
	;;#ASMSTART
	v_dot2_f32_f16 v20, v75, v79, v20
	;;#ASMEND
	;;#ASMSTART
	v_dot2_f32_f16 v20, v76, v80, v20
	;;#ASMEND
	s_waitcnt lgkmcnt(3)
	;;#ASMSTART
	v_dot2_f32_f16 v19, v73, v81, v19
	;;#ASMEND
	;;#ASMSTART
	v_dot2_f32_f16 v19, v74, v82, v19
	;;#ASMEND
	;;#ASMSTART
	v_dot2_f32_f16 v19, v75, v83, v19
	;;#ASMEND
	;;#ASMSTART
	v_dot2_f32_f16 v19, v76, v84, v19
	;;#ASMEND
	;; [unrolled: 13-line block ×5, first 2 shown]
	;;#ASMSTART
	v_dot2_f32_f16 v15, v93, v81, v15
	;;#ASMEND
	;;#ASMSTART
	v_dot2_f32_f16 v15, v94, v82, v15
	;;#ASMEND
	;; [unrolled: 3-line block ×12, first 2 shown]
	ds_load_b128 v[73:76], v68 offset:80
	ds_load_b128 v[77:80], v8 offset:17488
	;; [unrolled: 1-line block ×6, first 2 shown]
	s_waitcnt lgkmcnt(4)
	;;#ASMSTART
	v_dot2_f32_f16 v20, v73, v77, v20
	;;#ASMEND
	;;#ASMSTART
	v_dot2_f32_f16 v20, v74, v78, v20
	;;#ASMEND
	;;#ASMSTART
	v_dot2_f32_f16 v20, v75, v79, v20
	;;#ASMEND
	;;#ASMSTART
	v_dot2_f32_f16 v20, v76, v80, v20
	;;#ASMEND
	s_waitcnt lgkmcnt(3)
	;;#ASMSTART
	v_dot2_f32_f16 v19, v73, v81, v19
	;;#ASMEND
	;;#ASMSTART
	v_dot2_f32_f16 v19, v74, v82, v19
	;;#ASMEND
	;;#ASMSTART
	v_dot2_f32_f16 v19, v75, v83, v19
	;;#ASMEND
	;;#ASMSTART
	v_dot2_f32_f16 v19, v76, v84, v19
	;;#ASMEND
	;; [unrolled: 13-line block ×5, first 2 shown]
	;;#ASMSTART
	v_dot2_f32_f16 v15, v93, v81, v15
	;;#ASMEND
	;;#ASMSTART
	v_dot2_f32_f16 v15, v94, v82, v15
	;;#ASMEND
	;; [unrolled: 3-line block ×12, first 2 shown]
	ds_load_b128 v[73:76], v68 offset:96
	ds_load_b128 v[77:80], v8 offset:17504
	;; [unrolled: 1-line block ×6, first 2 shown]
	s_waitcnt lgkmcnt(4)
	;;#ASMSTART
	v_dot2_f32_f16 v20, v73, v77, v20
	;;#ASMEND
	;;#ASMSTART
	v_dot2_f32_f16 v20, v74, v78, v20
	;;#ASMEND
	;;#ASMSTART
	v_dot2_f32_f16 v20, v75, v79, v20
	;;#ASMEND
	;;#ASMSTART
	v_dot2_f32_f16 v20, v76, v80, v20
	;;#ASMEND
	s_waitcnt lgkmcnt(3)
	;;#ASMSTART
	v_dot2_f32_f16 v19, v73, v81, v19
	;;#ASMEND
	;;#ASMSTART
	v_dot2_f32_f16 v19, v74, v82, v19
	;;#ASMEND
	;;#ASMSTART
	v_dot2_f32_f16 v19, v75, v83, v19
	;;#ASMEND
	;;#ASMSTART
	v_dot2_f32_f16 v19, v76, v84, v19
	;;#ASMEND
	;; [unrolled: 13-line block ×5, first 2 shown]
	;;#ASMSTART
	v_dot2_f32_f16 v15, v93, v81, v15
	;;#ASMEND
	;;#ASMSTART
	v_dot2_f32_f16 v15, v94, v82, v15
	;;#ASMEND
	;; [unrolled: 3-line block ×12, first 2 shown]
	ds_load_b128 v[73:76], v68 offset:112
	ds_load_b128 v[77:80], v8 offset:17520
	;; [unrolled: 1-line block ×6, first 2 shown]
	s_waitcnt lgkmcnt(4)
	;;#ASMSTART
	v_dot2_f32_f16 v20, v73, v77, v20
	;;#ASMEND
	;;#ASMSTART
	v_dot2_f32_f16 v20, v74, v78, v20
	;;#ASMEND
	;;#ASMSTART
	v_dot2_f32_f16 v20, v75, v79, v20
	;;#ASMEND
	;;#ASMSTART
	v_dot2_f32_f16 v20, v76, v80, v20
	;;#ASMEND
	s_waitcnt lgkmcnt(3)
	;;#ASMSTART
	v_dot2_f32_f16 v19, v73, v81, v19
	;;#ASMEND
	;;#ASMSTART
	v_dot2_f32_f16 v19, v74, v82, v19
	;;#ASMEND
	;;#ASMSTART
	v_dot2_f32_f16 v19, v75, v83, v19
	;;#ASMEND
	;;#ASMSTART
	v_dot2_f32_f16 v19, v76, v84, v19
	;;#ASMEND
	;; [unrolled: 13-line block ×5, first 2 shown]
	;;#ASMSTART
	v_dot2_f32_f16 v15, v93, v81, v15
	;;#ASMEND
	;;#ASMSTART
	v_dot2_f32_f16 v15, v94, v82, v15
	;;#ASMEND
	;; [unrolled: 3-line block ×12, first 2 shown]
	ds_load_b128 v[73:76], v68 offset:128
	ds_load_b128 v[77:80], v8 offset:17536
	;; [unrolled: 1-line block ×6, first 2 shown]
	s_waitcnt lgkmcnt(4)
	;;#ASMSTART
	v_dot2_f32_f16 v20, v73, v77, v20
	;;#ASMEND
	;;#ASMSTART
	v_dot2_f32_f16 v20, v74, v78, v20
	;;#ASMEND
	;;#ASMSTART
	v_dot2_f32_f16 v20, v75, v79, v20
	;;#ASMEND
	;;#ASMSTART
	v_dot2_f32_f16 v20, v76, v80, v20
	;;#ASMEND
	s_waitcnt lgkmcnt(3)
	;;#ASMSTART
	v_dot2_f32_f16 v19, v73, v81, v19
	;;#ASMEND
	;;#ASMSTART
	v_dot2_f32_f16 v19, v74, v82, v19
	;;#ASMEND
	;;#ASMSTART
	v_dot2_f32_f16 v19, v75, v83, v19
	;;#ASMEND
	;;#ASMSTART
	v_dot2_f32_f16 v19, v76, v84, v19
	;;#ASMEND
	;; [unrolled: 13-line block ×5, first 2 shown]
	;;#ASMSTART
	v_dot2_f32_f16 v15, v93, v81, v15
	;;#ASMEND
	;;#ASMSTART
	v_dot2_f32_f16 v15, v94, v82, v15
	;;#ASMEND
	;; [unrolled: 3-line block ×12, first 2 shown]
	ds_load_b128 v[73:76], v68 offset:144
	ds_load_b128 v[77:80], v8 offset:17552
	;; [unrolled: 1-line block ×6, first 2 shown]
	s_waitcnt lgkmcnt(4)
	;;#ASMSTART
	v_dot2_f32_f16 v20, v73, v77, v20
	;;#ASMEND
	;;#ASMSTART
	v_dot2_f32_f16 v20, v74, v78, v20
	;;#ASMEND
	;;#ASMSTART
	v_dot2_f32_f16 v20, v75, v79, v20
	;;#ASMEND
	;;#ASMSTART
	v_dot2_f32_f16 v20, v76, v80, v20
	;;#ASMEND
	s_waitcnt lgkmcnt(3)
	;;#ASMSTART
	v_dot2_f32_f16 v19, v73, v81, v19
	;;#ASMEND
	;;#ASMSTART
	v_dot2_f32_f16 v19, v74, v82, v19
	;;#ASMEND
	;;#ASMSTART
	v_dot2_f32_f16 v19, v75, v83, v19
	;;#ASMEND
	;;#ASMSTART
	v_dot2_f32_f16 v19, v76, v84, v19
	;;#ASMEND
	;; [unrolled: 13-line block ×5, first 2 shown]
	;;#ASMSTART
	v_dot2_f32_f16 v15, v93, v81, v15
	;;#ASMEND
	;;#ASMSTART
	v_dot2_f32_f16 v15, v94, v82, v15
	;;#ASMEND
	;; [unrolled: 3-line block ×12, first 2 shown]
	ds_load_b128 v[73:76], v68 offset:160
	ds_load_b128 v[77:80], v8 offset:17568
	;; [unrolled: 1-line block ×6, first 2 shown]
	s_waitcnt lgkmcnt(4)
	;;#ASMSTART
	v_dot2_f32_f16 v20, v73, v77, v20
	;;#ASMEND
	;;#ASMSTART
	v_dot2_f32_f16 v20, v74, v78, v20
	;;#ASMEND
	;;#ASMSTART
	v_dot2_f32_f16 v20, v75, v79, v20
	;;#ASMEND
	;;#ASMSTART
	v_dot2_f32_f16 v20, v76, v80, v20
	;;#ASMEND
	s_waitcnt lgkmcnt(3)
	;;#ASMSTART
	v_dot2_f32_f16 v19, v73, v81, v19
	;;#ASMEND
	;;#ASMSTART
	v_dot2_f32_f16 v19, v74, v82, v19
	;;#ASMEND
	;;#ASMSTART
	v_dot2_f32_f16 v19, v75, v83, v19
	;;#ASMEND
	;;#ASMSTART
	v_dot2_f32_f16 v19, v76, v84, v19
	;;#ASMEND
	;; [unrolled: 13-line block ×5, first 2 shown]
	;;#ASMSTART
	v_dot2_f32_f16 v15, v93, v81, v15
	;;#ASMEND
	;;#ASMSTART
	v_dot2_f32_f16 v15, v94, v82, v15
	;;#ASMEND
	;; [unrolled: 3-line block ×12, first 2 shown]
	ds_load_b128 v[73:76], v68 offset:176
	ds_load_b128 v[77:80], v8 offset:17584
	;; [unrolled: 1-line block ×6, first 2 shown]
	s_waitcnt lgkmcnt(4)
	;;#ASMSTART
	v_dot2_f32_f16 v20, v73, v77, v20
	;;#ASMEND
	;;#ASMSTART
	v_dot2_f32_f16 v20, v74, v78, v20
	;;#ASMEND
	;;#ASMSTART
	v_dot2_f32_f16 v20, v75, v79, v20
	;;#ASMEND
	;;#ASMSTART
	v_dot2_f32_f16 v20, v76, v80, v20
	;;#ASMEND
	s_waitcnt lgkmcnt(3)
	;;#ASMSTART
	v_dot2_f32_f16 v19, v73, v81, v19
	;;#ASMEND
	;;#ASMSTART
	v_dot2_f32_f16 v19, v74, v82, v19
	;;#ASMEND
	;;#ASMSTART
	v_dot2_f32_f16 v19, v75, v83, v19
	;;#ASMEND
	;;#ASMSTART
	v_dot2_f32_f16 v19, v76, v84, v19
	;;#ASMEND
	;; [unrolled: 13-line block ×5, first 2 shown]
	;;#ASMSTART
	v_dot2_f32_f16 v15, v93, v81, v15
	;;#ASMEND
	;;#ASMSTART
	v_dot2_f32_f16 v15, v94, v82, v15
	;;#ASMEND
	;; [unrolled: 3-line block ×12, first 2 shown]
	ds_load_b128 v[73:76], v68 offset:192
	ds_load_b128 v[77:80], v8 offset:17600
	;; [unrolled: 1-line block ×6, first 2 shown]
	s_waitcnt lgkmcnt(4)
	;;#ASMSTART
	v_dot2_f32_f16 v20, v73, v77, v20
	;;#ASMEND
	;;#ASMSTART
	v_dot2_f32_f16 v20, v74, v78, v20
	;;#ASMEND
	;;#ASMSTART
	v_dot2_f32_f16 v20, v75, v79, v20
	;;#ASMEND
	;;#ASMSTART
	v_dot2_f32_f16 v20, v76, v80, v20
	;;#ASMEND
	s_waitcnt lgkmcnt(3)
	;;#ASMSTART
	v_dot2_f32_f16 v19, v73, v81, v19
	;;#ASMEND
	;;#ASMSTART
	v_dot2_f32_f16 v19, v74, v82, v19
	;;#ASMEND
	;;#ASMSTART
	v_dot2_f32_f16 v19, v75, v83, v19
	;;#ASMEND
	;;#ASMSTART
	v_dot2_f32_f16 v19, v76, v84, v19
	;;#ASMEND
	;; [unrolled: 13-line block ×5, first 2 shown]
	;;#ASMSTART
	v_dot2_f32_f16 v15, v93, v81, v15
	;;#ASMEND
	;;#ASMSTART
	v_dot2_f32_f16 v15, v94, v82, v15
	;;#ASMEND
	;; [unrolled: 3-line block ×12, first 2 shown]
	ds_load_b128 v[73:76], v68 offset:208
	ds_load_b128 v[77:80], v8 offset:17616
	;; [unrolled: 1-line block ×6, first 2 shown]
	s_waitcnt lgkmcnt(4)
	;;#ASMSTART
	v_dot2_f32_f16 v20, v73, v77, v20
	;;#ASMEND
	;;#ASMSTART
	v_dot2_f32_f16 v20, v74, v78, v20
	;;#ASMEND
	;;#ASMSTART
	v_dot2_f32_f16 v20, v75, v79, v20
	;;#ASMEND
	;;#ASMSTART
	v_dot2_f32_f16 v20, v76, v80, v20
	;;#ASMEND
	s_waitcnt lgkmcnt(3)
	;;#ASMSTART
	v_dot2_f32_f16 v19, v73, v81, v19
	;;#ASMEND
	;;#ASMSTART
	v_dot2_f32_f16 v19, v74, v82, v19
	;;#ASMEND
	;;#ASMSTART
	v_dot2_f32_f16 v19, v75, v83, v19
	;;#ASMEND
	;;#ASMSTART
	v_dot2_f32_f16 v19, v76, v84, v19
	;;#ASMEND
	;; [unrolled: 13-line block ×5, first 2 shown]
	;;#ASMSTART
	v_dot2_f32_f16 v15, v93, v81, v15
	;;#ASMEND
	;;#ASMSTART
	v_dot2_f32_f16 v15, v94, v82, v15
	;;#ASMEND
	;; [unrolled: 3-line block ×12, first 2 shown]
	ds_load_b128 v[73:76], v68 offset:224
	ds_load_b128 v[77:80], v8 offset:17632
	;; [unrolled: 1-line block ×6, first 2 shown]
	s_waitcnt lgkmcnt(4)
	;;#ASMSTART
	v_dot2_f32_f16 v20, v73, v77, v20
	;;#ASMEND
	;;#ASMSTART
	v_dot2_f32_f16 v20, v74, v78, v20
	;;#ASMEND
	;;#ASMSTART
	v_dot2_f32_f16 v20, v75, v79, v20
	;;#ASMEND
	;;#ASMSTART
	v_dot2_f32_f16 v20, v76, v80, v20
	;;#ASMEND
	s_waitcnt lgkmcnt(3)
	;;#ASMSTART
	v_dot2_f32_f16 v19, v73, v81, v19
	;;#ASMEND
	;;#ASMSTART
	v_dot2_f32_f16 v19, v74, v82, v19
	;;#ASMEND
	;;#ASMSTART
	v_dot2_f32_f16 v19, v75, v83, v19
	;;#ASMEND
	;;#ASMSTART
	v_dot2_f32_f16 v19, v76, v84, v19
	;;#ASMEND
	;; [unrolled: 13-line block ×5, first 2 shown]
	;;#ASMSTART
	v_dot2_f32_f16 v15, v93, v81, v15
	;;#ASMEND
	;;#ASMSTART
	v_dot2_f32_f16 v15, v94, v82, v15
	;;#ASMEND
	;; [unrolled: 3-line block ×12, first 2 shown]
	ds_load_b128 v[73:76], v68 offset:240
	ds_load_b128 v[77:80], v8 offset:17648
	;; [unrolled: 1-line block ×5, first 2 shown]
	v_add_co_u32 v93, s7, 0x100, v27
	s_delay_alu instid0(VALU_DEP_1)
	v_add_co_ci_u32_e64 v94, s7, 0, v28, s7
	ds_load_b128 v[27:30], v68 offset:8944
	s_waitcnt lgkmcnt(4)
	;;#ASMSTART
	v_dot2_f32_f16 v20, v73, v77, v20
	;;#ASMEND
	;;#ASMSTART
	v_dot2_f32_f16 v20, v74, v78, v20
	;;#ASMEND
	;;#ASMSTART
	v_dot2_f32_f16 v20, v75, v79, v20
	;;#ASMEND
	;;#ASMSTART
	v_dot2_f32_f16 v20, v76, v80, v20
	;;#ASMEND
	s_waitcnt lgkmcnt(3)
	;;#ASMSTART
	v_dot2_f32_f16 v19, v73, v81, v19
	;;#ASMEND
	;;#ASMSTART
	v_dot2_f32_f16 v19, v74, v82, v19
	;;#ASMEND
	;;#ASMSTART
	v_dot2_f32_f16 v19, v75, v83, v19
	;;#ASMEND
	;;#ASMSTART
	v_dot2_f32_f16 v19, v76, v84, v19
	;;#ASMEND
	;; [unrolled: 13-line block ×5, first 2 shown]
	;;#ASMSTART
	v_dot2_f32_f16 v15, v27, v81, v15
	;;#ASMEND
	;;#ASMSTART
	v_dot2_f32_f16 v15, v28, v82, v15
	;;#ASMEND
	;; [unrolled: 3-line block ×6, first 2 shown]
	v_cndmask_b32_e64 v94, s9, v94, s6
	v_cndmask_b32_e64 v93, 0, v93, s6
	;;#ASMSTART
	v_dot2_f32_f16 v16, v29, v87, v16
	;;#ASMEND
	;;#ASMSTART
	v_dot2_f32_f16 v16, v30, v88, v16
	;;#ASMEND
	;; [unrolled: 3-line block ×6, first 2 shown]
	s_barrier
	buffer_gl0_inv
	s_clause 0x1
	scratch_store_b32 off, v21, off
	scratch_store_b96 off, v[5:7], off offset:4
	flat_load_b128 v[27:30], v[93:94]
	v_add_co_u32 v10, s6, 0x100, v10
	s_delay_alu instid0(VALU_DEP_1)
	v_add_co_ci_u32_e64 v22, s6, 0, v22, s6
	s_clause 0x1
	scratch_store_b32 off, v21, off
	scratch_store_b96 off, v[5:7], off offset:4
	v_cndmask_b32_e32 v73, 0, v10, vcc_lo
	v_cndmask_b32_e32 v74, s9, v22, vcc_lo
	v_add_co_u32 v10, vcc_lo, 0x100, v23
	v_add_co_ci_u32_e32 v22, vcc_lo, 0, v24, vcc_lo
	s_delay_alu instid0(VALU_DEP_1) | instskip(NEXT) | instid1(VALU_DEP_3)
	v_cndmask_b32_e64 v23, s9, v22, s4
	v_cndmask_b32_e64 v22, 0, v10, s4
	v_add_co_u32 v10, vcc_lo, 0x100, v25
	v_cmp_gt_i32_e64 s4, s19, v40
	s_waitcnt vmcnt(0) lgkmcnt(0)
	ds_store_b128 v9, v[27:30]
	flat_load_b128 v[27:30], v[73:74]
	s_clause 0x1
	scratch_store_b32 off, v21, off
	scratch_store_b96 off, v[5:7], off offset:4
	s_waitcnt vmcnt(0) lgkmcnt(0)
	ds_store_b128 v9, v[27:30] offset:4352
	flat_load_b128 v[27:30], v[22:23]
	v_add_co_ci_u32_e32 v22, vcc_lo, 0, v26, vcc_lo
	s_clause 0x1
	scratch_store_b32 off, v21, off
	scratch_store_b96 off, v[5:7], off offset:4
	v_cndmask_b32_e64 v23, s9, v22, s5
	v_cndmask_b32_e64 v22, 0, v10, s5
	s_cselect_b32 s5, -1, 0
	s_waitcnt vmcnt(0) lgkmcnt(0)
	ds_store_b128 v9, v[27:30] offset:8704
	flat_load_b128 v[22:25], v[22:23]
	v_cndmask_b32_e64 v30, 0, 1, s5
	s_waitcnt vmcnt(0) lgkmcnt(0)
	ds_store_b128 v9, v[22:25] offset:13056
	s_waitcnt lgkmcnt(0)
	s_waitcnt_vscnt null, 0x0
	s_barrier
	buffer_gl0_inv
	ds_load_b128 v[22:25], v68
	ds_load_b128 v[26:29], v8 offset:17664
	ds_load_b128 v[73:76], v8 offset:18176
	ds_load_b128 v[77:80], v8 offset:18688
	ds_load_b128 v[81:84], v8 offset:19200
	ds_load_b128 v[85:88], v68 offset:8704
	s_waitcnt lgkmcnt(4)
	;;#ASMSTART
	v_dot2_f32_f16 v20, v22, v26, v20
	;;#ASMEND
	;;#ASMSTART
	v_dot2_f32_f16 v20, v23, v27, v20
	;;#ASMEND
	;;#ASMSTART
	v_dot2_f32_f16 v20, v24, v28, v20
	;;#ASMEND
	;;#ASMSTART
	v_dot2_f32_f16 v20, v25, v29, v20
	;;#ASMEND
	s_waitcnt lgkmcnt(3)
	;;#ASMSTART
	v_dot2_f32_f16 v19, v22, v73, v19
	;;#ASMEND
	;;#ASMSTART
	v_dot2_f32_f16 v19, v23, v74, v19
	;;#ASMEND
	;;#ASMSTART
	v_dot2_f32_f16 v19, v24, v75, v19
	;;#ASMEND
	;;#ASMSTART
	v_dot2_f32_f16 v19, v25, v76, v19
	;;#ASMEND
	;; [unrolled: 13-line block ×5, first 2 shown]
	;;#ASMSTART
	v_dot2_f32_f16 v15, v85, v73, v15
	;;#ASMEND
	;;#ASMSTART
	v_dot2_f32_f16 v15, v86, v74, v15
	;;#ASMEND
	;; [unrolled: 3-line block ×12, first 2 shown]
	ds_load_b128 v[22:25], v68 offset:16
	ds_load_b128 v[26:29], v8 offset:17680
	;; [unrolled: 1-line block ×6, first 2 shown]
	s_waitcnt lgkmcnt(4)
	;;#ASMSTART
	v_dot2_f32_f16 v20, v22, v26, v20
	;;#ASMEND
	;;#ASMSTART
	v_dot2_f32_f16 v20, v23, v27, v20
	;;#ASMEND
	;;#ASMSTART
	v_dot2_f32_f16 v20, v24, v28, v20
	;;#ASMEND
	;;#ASMSTART
	v_dot2_f32_f16 v20, v25, v29, v20
	;;#ASMEND
	s_waitcnt lgkmcnt(3)
	;;#ASMSTART
	v_dot2_f32_f16 v19, v22, v73, v19
	;;#ASMEND
	;;#ASMSTART
	v_dot2_f32_f16 v19, v23, v74, v19
	;;#ASMEND
	;;#ASMSTART
	v_dot2_f32_f16 v19, v24, v75, v19
	;;#ASMEND
	;;#ASMSTART
	v_dot2_f32_f16 v19, v25, v76, v19
	;;#ASMEND
	s_waitcnt lgkmcnt(2)
	;;#ASMSTART
	v_dot2_f32_f16 v18, v22, v77, v18
	;;#ASMEND
	;;#ASMSTART
	v_dot2_f32_f16 v18, v23, v78, v18
	;;#ASMEND
	;;#ASMSTART
	v_dot2_f32_f16 v18, v24, v79, v18
	;;#ASMEND
	;;#ASMSTART
	v_dot2_f32_f16 v18, v25, v80, v18
	;;#ASMEND
	s_waitcnt lgkmcnt(1)
	;;#ASMSTART
	v_dot2_f32_f16 v17, v22, v81, v17
	;;#ASMEND
	;;#ASMSTART
	v_dot2_f32_f16 v17, v23, v82, v17
	;;#ASMEND
	;;#ASMSTART
	v_dot2_f32_f16 v17, v24, v83, v17
	;;#ASMEND
	;;#ASMSTART
	v_dot2_f32_f16 v17, v25, v84, v17
	;;#ASMEND
	s_waitcnt lgkmcnt(0)
	;;#ASMSTART
	v_dot2_f32_f16 v12, v85, v26, v12
	;;#ASMEND
	;;#ASMSTART
	v_dot2_f32_f16 v12, v86, v27, v12
	;;#ASMEND
	;;#ASMSTART
	v_dot2_f32_f16 v12, v87, v28, v12
	;;#ASMEND
	;;#ASMSTART
	v_dot2_f32_f16 v12, v88, v29, v12
	;;#ASMEND
	;;#ASMSTART
	v_dot2_f32_f16 v15, v85, v73, v15
	;;#ASMEND
	;;#ASMSTART
	v_dot2_f32_f16 v15, v86, v74, v15
	;;#ASMEND
	;;#ASMSTART
	v_dot2_f32_f16 v15, v87, v75, v15
	;;#ASMEND
	;;#ASMSTART
	v_dot2_f32_f16 v15, v88, v76, v15
	;;#ASMEND
	;;#ASMSTART
	v_dot2_f32_f16 v16, v85, v77, v16
	;;#ASMEND
	;;#ASMSTART
	v_dot2_f32_f16 v16, v86, v78, v16
	;;#ASMEND
	;;#ASMSTART
	v_dot2_f32_f16 v16, v87, v79, v16
	;;#ASMEND
	;;#ASMSTART
	v_dot2_f32_f16 v16, v88, v80, v16
	;;#ASMEND
	;;#ASMSTART
	v_dot2_f32_f16 v11, v85, v81, v11
	;;#ASMEND
	;;#ASMSTART
	v_dot2_f32_f16 v11, v86, v82, v11
	;;#ASMEND
	;;#ASMSTART
	v_dot2_f32_f16 v11, v87, v83, v11
	;;#ASMEND
	;;#ASMSTART
	v_dot2_f32_f16 v11, v88, v84, v11
	;;#ASMEND
	ds_load_b128 v[22:25], v68 offset:32
	ds_load_b128 v[26:29], v8 offset:17696
	;; [unrolled: 1-line block ×6, first 2 shown]
	s_waitcnt lgkmcnt(4)
	;;#ASMSTART
	v_dot2_f32_f16 v20, v22, v26, v20
	;;#ASMEND
	;;#ASMSTART
	v_dot2_f32_f16 v20, v23, v27, v20
	;;#ASMEND
	;;#ASMSTART
	v_dot2_f32_f16 v20, v24, v28, v20
	;;#ASMEND
	;;#ASMSTART
	v_dot2_f32_f16 v20, v25, v29, v20
	;;#ASMEND
	s_waitcnt lgkmcnt(3)
	;;#ASMSTART
	v_dot2_f32_f16 v19, v22, v73, v19
	;;#ASMEND
	;;#ASMSTART
	v_dot2_f32_f16 v19, v23, v74, v19
	;;#ASMEND
	;;#ASMSTART
	v_dot2_f32_f16 v19, v24, v75, v19
	;;#ASMEND
	;;#ASMSTART
	v_dot2_f32_f16 v19, v25, v76, v19
	;;#ASMEND
	;; [unrolled: 13-line block ×5, first 2 shown]
	;;#ASMSTART
	v_dot2_f32_f16 v15, v85, v73, v15
	;;#ASMEND
	;;#ASMSTART
	v_dot2_f32_f16 v15, v86, v74, v15
	;;#ASMEND
	;; [unrolled: 3-line block ×12, first 2 shown]
	ds_load_b128 v[22:25], v68 offset:48
	ds_load_b128 v[26:29], v8 offset:17712
	;; [unrolled: 1-line block ×6, first 2 shown]
	s_waitcnt lgkmcnt(4)
	;;#ASMSTART
	v_dot2_f32_f16 v20, v22, v26, v20
	;;#ASMEND
	;;#ASMSTART
	v_dot2_f32_f16 v20, v23, v27, v20
	;;#ASMEND
	;;#ASMSTART
	v_dot2_f32_f16 v20, v24, v28, v20
	;;#ASMEND
	;;#ASMSTART
	v_dot2_f32_f16 v20, v25, v29, v20
	;;#ASMEND
	s_waitcnt lgkmcnt(3)
	;;#ASMSTART
	v_dot2_f32_f16 v19, v22, v73, v19
	;;#ASMEND
	;;#ASMSTART
	v_dot2_f32_f16 v19, v23, v74, v19
	;;#ASMEND
	;;#ASMSTART
	v_dot2_f32_f16 v19, v24, v75, v19
	;;#ASMEND
	;;#ASMSTART
	v_dot2_f32_f16 v19, v25, v76, v19
	;;#ASMEND
	;; [unrolled: 13-line block ×5, first 2 shown]
	;;#ASMSTART
	v_dot2_f32_f16 v15, v85, v73, v15
	;;#ASMEND
	;;#ASMSTART
	v_dot2_f32_f16 v15, v86, v74, v15
	;;#ASMEND
	;; [unrolled: 3-line block ×12, first 2 shown]
	ds_load_b128 v[22:25], v68 offset:64
	ds_load_b128 v[26:29], v8 offset:17728
	;; [unrolled: 1-line block ×6, first 2 shown]
	s_waitcnt lgkmcnt(4)
	;;#ASMSTART
	v_dot2_f32_f16 v20, v22, v26, v20
	;;#ASMEND
	;;#ASMSTART
	v_dot2_f32_f16 v20, v23, v27, v20
	;;#ASMEND
	;;#ASMSTART
	v_dot2_f32_f16 v20, v24, v28, v20
	;;#ASMEND
	;;#ASMSTART
	v_dot2_f32_f16 v20, v25, v29, v20
	;;#ASMEND
	s_waitcnt lgkmcnt(3)
	;;#ASMSTART
	v_dot2_f32_f16 v19, v22, v73, v19
	;;#ASMEND
	;;#ASMSTART
	v_dot2_f32_f16 v19, v23, v74, v19
	;;#ASMEND
	;;#ASMSTART
	v_dot2_f32_f16 v19, v24, v75, v19
	;;#ASMEND
	;;#ASMSTART
	v_dot2_f32_f16 v19, v25, v76, v19
	;;#ASMEND
	;; [unrolled: 13-line block ×5, first 2 shown]
	;;#ASMSTART
	v_dot2_f32_f16 v15, v85, v73, v15
	;;#ASMEND
	;;#ASMSTART
	v_dot2_f32_f16 v15, v86, v74, v15
	;;#ASMEND
	;; [unrolled: 3-line block ×12, first 2 shown]
	ds_load_b128 v[22:25], v68 offset:80
	ds_load_b128 v[26:29], v8 offset:17744
	;; [unrolled: 1-line block ×6, first 2 shown]
	s_waitcnt lgkmcnt(4)
	;;#ASMSTART
	v_dot2_f32_f16 v20, v22, v26, v20
	;;#ASMEND
	;;#ASMSTART
	v_dot2_f32_f16 v20, v23, v27, v20
	;;#ASMEND
	;;#ASMSTART
	v_dot2_f32_f16 v20, v24, v28, v20
	;;#ASMEND
	;;#ASMSTART
	v_dot2_f32_f16 v20, v25, v29, v20
	;;#ASMEND
	s_waitcnt lgkmcnt(3)
	;;#ASMSTART
	v_dot2_f32_f16 v19, v22, v73, v19
	;;#ASMEND
	;;#ASMSTART
	v_dot2_f32_f16 v19, v23, v74, v19
	;;#ASMEND
	;;#ASMSTART
	v_dot2_f32_f16 v19, v24, v75, v19
	;;#ASMEND
	;;#ASMSTART
	v_dot2_f32_f16 v19, v25, v76, v19
	;;#ASMEND
	;; [unrolled: 13-line block ×5, first 2 shown]
	;;#ASMSTART
	v_dot2_f32_f16 v15, v85, v73, v15
	;;#ASMEND
	;;#ASMSTART
	v_dot2_f32_f16 v15, v86, v74, v15
	;;#ASMEND
	;;#ASMSTART
	v_dot2_f32_f16 v15, v87, v75, v15
	;;#ASMEND
	;;#ASMSTART
	v_dot2_f32_f16 v15, v88, v76, v15
	;;#ASMEND
	;;#ASMSTART
	v_dot2_f32_f16 v16, v85, v77, v16
	;;#ASMEND
	;;#ASMSTART
	v_dot2_f32_f16 v16, v86, v78, v16
	;;#ASMEND
	;;#ASMSTART
	v_dot2_f32_f16 v16, v87, v79, v16
	;;#ASMEND
	;;#ASMSTART
	v_dot2_f32_f16 v16, v88, v80, v16
	;;#ASMEND
	;;#ASMSTART
	v_dot2_f32_f16 v11, v85, v81, v11
	;;#ASMEND
	;;#ASMSTART
	v_dot2_f32_f16 v11, v86, v82, v11
	;;#ASMEND
	;;#ASMSTART
	v_dot2_f32_f16 v11, v87, v83, v11
	;;#ASMEND
	;;#ASMSTART
	v_dot2_f32_f16 v11, v88, v84, v11
	;;#ASMEND
	ds_load_b128 v[22:25], v68 offset:96
	ds_load_b128 v[26:29], v8 offset:17760
	;; [unrolled: 1-line block ×6, first 2 shown]
	s_waitcnt lgkmcnt(4)
	;;#ASMSTART
	v_dot2_f32_f16 v20, v22, v26, v20
	;;#ASMEND
	;;#ASMSTART
	v_dot2_f32_f16 v20, v23, v27, v20
	;;#ASMEND
	;;#ASMSTART
	v_dot2_f32_f16 v20, v24, v28, v20
	;;#ASMEND
	;;#ASMSTART
	v_dot2_f32_f16 v20, v25, v29, v20
	;;#ASMEND
	s_waitcnt lgkmcnt(3)
	;;#ASMSTART
	v_dot2_f32_f16 v19, v22, v73, v19
	;;#ASMEND
	;;#ASMSTART
	v_dot2_f32_f16 v19, v23, v74, v19
	;;#ASMEND
	;;#ASMSTART
	v_dot2_f32_f16 v19, v24, v75, v19
	;;#ASMEND
	;;#ASMSTART
	v_dot2_f32_f16 v19, v25, v76, v19
	;;#ASMEND
	;; [unrolled: 13-line block ×5, first 2 shown]
	;;#ASMSTART
	v_dot2_f32_f16 v15, v85, v73, v15
	;;#ASMEND
	;;#ASMSTART
	v_dot2_f32_f16 v15, v86, v74, v15
	;;#ASMEND
	;; [unrolled: 3-line block ×12, first 2 shown]
	ds_load_b128 v[22:25], v68 offset:112
	ds_load_b128 v[26:29], v8 offset:17776
	;; [unrolled: 1-line block ×6, first 2 shown]
	s_waitcnt lgkmcnt(4)
	;;#ASMSTART
	v_dot2_f32_f16 v20, v22, v26, v20
	;;#ASMEND
	;;#ASMSTART
	v_dot2_f32_f16 v20, v23, v27, v20
	;;#ASMEND
	;;#ASMSTART
	v_dot2_f32_f16 v20, v24, v28, v20
	;;#ASMEND
	;;#ASMSTART
	v_dot2_f32_f16 v20, v25, v29, v20
	;;#ASMEND
	s_waitcnt lgkmcnt(3)
	;;#ASMSTART
	v_dot2_f32_f16 v19, v22, v73, v19
	;;#ASMEND
	;;#ASMSTART
	v_dot2_f32_f16 v19, v23, v74, v19
	;;#ASMEND
	;;#ASMSTART
	v_dot2_f32_f16 v19, v24, v75, v19
	;;#ASMEND
	;;#ASMSTART
	v_dot2_f32_f16 v19, v25, v76, v19
	;;#ASMEND
	;; [unrolled: 13-line block ×5, first 2 shown]
	;;#ASMSTART
	v_dot2_f32_f16 v15, v85, v73, v15
	;;#ASMEND
	;;#ASMSTART
	v_dot2_f32_f16 v15, v86, v74, v15
	;;#ASMEND
	;; [unrolled: 3-line block ×12, first 2 shown]
	ds_load_b128 v[22:25], v68 offset:128
	ds_load_b128 v[26:29], v8 offset:17792
	;; [unrolled: 1-line block ×6, first 2 shown]
	s_waitcnt lgkmcnt(4)
	;;#ASMSTART
	v_dot2_f32_f16 v20, v22, v26, v20
	;;#ASMEND
	;;#ASMSTART
	v_dot2_f32_f16 v20, v23, v27, v20
	;;#ASMEND
	;;#ASMSTART
	v_dot2_f32_f16 v20, v24, v28, v20
	;;#ASMEND
	;;#ASMSTART
	v_dot2_f32_f16 v20, v25, v29, v20
	;;#ASMEND
	s_waitcnt lgkmcnt(3)
	;;#ASMSTART
	v_dot2_f32_f16 v19, v22, v73, v19
	;;#ASMEND
	;;#ASMSTART
	v_dot2_f32_f16 v19, v23, v74, v19
	;;#ASMEND
	;;#ASMSTART
	v_dot2_f32_f16 v19, v24, v75, v19
	;;#ASMEND
	;;#ASMSTART
	v_dot2_f32_f16 v19, v25, v76, v19
	;;#ASMEND
	;; [unrolled: 13-line block ×5, first 2 shown]
	;;#ASMSTART
	v_dot2_f32_f16 v15, v85, v73, v15
	;;#ASMEND
	;;#ASMSTART
	v_dot2_f32_f16 v15, v86, v74, v15
	;;#ASMEND
	;;#ASMSTART
	v_dot2_f32_f16 v15, v87, v75, v15
	;;#ASMEND
	;;#ASMSTART
	v_dot2_f32_f16 v15, v88, v76, v15
	;;#ASMEND
	;;#ASMSTART
	v_dot2_f32_f16 v16, v85, v77, v16
	;;#ASMEND
	;;#ASMSTART
	v_dot2_f32_f16 v16, v86, v78, v16
	;;#ASMEND
	;;#ASMSTART
	v_dot2_f32_f16 v16, v87, v79, v16
	;;#ASMEND
	;;#ASMSTART
	v_dot2_f32_f16 v16, v88, v80, v16
	;;#ASMEND
	;;#ASMSTART
	v_dot2_f32_f16 v11, v85, v81, v11
	;;#ASMEND
	;;#ASMSTART
	v_dot2_f32_f16 v11, v86, v82, v11
	;;#ASMEND
	;;#ASMSTART
	v_dot2_f32_f16 v11, v87, v83, v11
	;;#ASMEND
	;;#ASMSTART
	v_dot2_f32_f16 v11, v88, v84, v11
	;;#ASMEND
	ds_load_b128 v[22:25], v68 offset:144
	ds_load_b128 v[26:29], v8 offset:17808
	;; [unrolled: 1-line block ×6, first 2 shown]
	s_waitcnt lgkmcnt(4)
	;;#ASMSTART
	v_dot2_f32_f16 v20, v22, v26, v20
	;;#ASMEND
	;;#ASMSTART
	v_dot2_f32_f16 v20, v23, v27, v20
	;;#ASMEND
	;;#ASMSTART
	v_dot2_f32_f16 v20, v24, v28, v20
	;;#ASMEND
	;;#ASMSTART
	v_dot2_f32_f16 v20, v25, v29, v20
	;;#ASMEND
	s_waitcnt lgkmcnt(3)
	;;#ASMSTART
	v_dot2_f32_f16 v19, v22, v73, v19
	;;#ASMEND
	;;#ASMSTART
	v_dot2_f32_f16 v19, v23, v74, v19
	;;#ASMEND
	;;#ASMSTART
	v_dot2_f32_f16 v19, v24, v75, v19
	;;#ASMEND
	;;#ASMSTART
	v_dot2_f32_f16 v19, v25, v76, v19
	;;#ASMEND
	;; [unrolled: 13-line block ×5, first 2 shown]
	;;#ASMSTART
	v_dot2_f32_f16 v15, v85, v73, v15
	;;#ASMEND
	;;#ASMSTART
	v_dot2_f32_f16 v15, v86, v74, v15
	;;#ASMEND
	;; [unrolled: 3-line block ×12, first 2 shown]
	ds_load_b128 v[22:25], v68 offset:160
	ds_load_b128 v[26:29], v8 offset:17824
	;; [unrolled: 1-line block ×6, first 2 shown]
	s_waitcnt lgkmcnt(4)
	;;#ASMSTART
	v_dot2_f32_f16 v20, v22, v26, v20
	;;#ASMEND
	;;#ASMSTART
	v_dot2_f32_f16 v20, v23, v27, v20
	;;#ASMEND
	;;#ASMSTART
	v_dot2_f32_f16 v20, v24, v28, v20
	;;#ASMEND
	;;#ASMSTART
	v_dot2_f32_f16 v20, v25, v29, v20
	;;#ASMEND
	s_waitcnt lgkmcnt(3)
	;;#ASMSTART
	v_dot2_f32_f16 v19, v22, v73, v19
	;;#ASMEND
	;;#ASMSTART
	v_dot2_f32_f16 v19, v23, v74, v19
	;;#ASMEND
	;;#ASMSTART
	v_dot2_f32_f16 v19, v24, v75, v19
	;;#ASMEND
	;;#ASMSTART
	v_dot2_f32_f16 v19, v25, v76, v19
	;;#ASMEND
	;; [unrolled: 13-line block ×5, first 2 shown]
	;;#ASMSTART
	v_dot2_f32_f16 v15, v85, v73, v15
	;;#ASMEND
	;;#ASMSTART
	v_dot2_f32_f16 v15, v86, v74, v15
	;;#ASMEND
	;; [unrolled: 3-line block ×12, first 2 shown]
	ds_load_b128 v[22:25], v68 offset:176
	ds_load_b128 v[26:29], v8 offset:17840
	;; [unrolled: 1-line block ×6, first 2 shown]
	s_waitcnt lgkmcnt(4)
	;;#ASMSTART
	v_dot2_f32_f16 v20, v22, v26, v20
	;;#ASMEND
	;;#ASMSTART
	v_dot2_f32_f16 v20, v23, v27, v20
	;;#ASMEND
	;;#ASMSTART
	v_dot2_f32_f16 v20, v24, v28, v20
	;;#ASMEND
	;;#ASMSTART
	v_dot2_f32_f16 v20, v25, v29, v20
	;;#ASMEND
	s_waitcnt lgkmcnt(3)
	;;#ASMSTART
	v_dot2_f32_f16 v19, v22, v73, v19
	;;#ASMEND
	;;#ASMSTART
	v_dot2_f32_f16 v19, v23, v74, v19
	;;#ASMEND
	;;#ASMSTART
	v_dot2_f32_f16 v19, v24, v75, v19
	;;#ASMEND
	;;#ASMSTART
	v_dot2_f32_f16 v19, v25, v76, v19
	;;#ASMEND
	;; [unrolled: 13-line block ×5, first 2 shown]
	;;#ASMSTART
	v_dot2_f32_f16 v15, v85, v73, v15
	;;#ASMEND
	;;#ASMSTART
	v_dot2_f32_f16 v15, v86, v74, v15
	;;#ASMEND
	;; [unrolled: 3-line block ×12, first 2 shown]
	ds_load_b128 v[22:25], v68 offset:192
	ds_load_b128 v[26:29], v8 offset:17856
	;; [unrolled: 1-line block ×6, first 2 shown]
	s_waitcnt lgkmcnt(4)
	;;#ASMSTART
	v_dot2_f32_f16 v20, v22, v26, v20
	;;#ASMEND
	;;#ASMSTART
	v_dot2_f32_f16 v20, v23, v27, v20
	;;#ASMEND
	;;#ASMSTART
	v_dot2_f32_f16 v20, v24, v28, v20
	;;#ASMEND
	;;#ASMSTART
	v_dot2_f32_f16 v20, v25, v29, v20
	;;#ASMEND
	s_waitcnt lgkmcnt(3)
	;;#ASMSTART
	v_dot2_f32_f16 v19, v22, v73, v19
	;;#ASMEND
	;;#ASMSTART
	v_dot2_f32_f16 v19, v23, v74, v19
	;;#ASMEND
	;;#ASMSTART
	v_dot2_f32_f16 v19, v24, v75, v19
	;;#ASMEND
	;;#ASMSTART
	v_dot2_f32_f16 v19, v25, v76, v19
	;;#ASMEND
	;; [unrolled: 13-line block ×5, first 2 shown]
	;;#ASMSTART
	v_dot2_f32_f16 v15, v85, v73, v15
	;;#ASMEND
	;;#ASMSTART
	v_dot2_f32_f16 v15, v86, v74, v15
	;;#ASMEND
	;;#ASMSTART
	v_dot2_f32_f16 v15, v87, v75, v15
	;;#ASMEND
	;;#ASMSTART
	v_dot2_f32_f16 v15, v88, v76, v15
	;;#ASMEND
	;;#ASMSTART
	v_dot2_f32_f16 v16, v85, v77, v16
	;;#ASMEND
	;;#ASMSTART
	v_dot2_f32_f16 v16, v86, v78, v16
	;;#ASMEND
	;;#ASMSTART
	v_dot2_f32_f16 v16, v87, v79, v16
	;;#ASMEND
	;;#ASMSTART
	v_dot2_f32_f16 v16, v88, v80, v16
	;;#ASMEND
	;;#ASMSTART
	v_dot2_f32_f16 v11, v85, v81, v11
	;;#ASMEND
	;;#ASMSTART
	v_dot2_f32_f16 v11, v86, v82, v11
	;;#ASMEND
	;;#ASMSTART
	v_dot2_f32_f16 v11, v87, v83, v11
	;;#ASMEND
	;;#ASMSTART
	v_dot2_f32_f16 v11, v88, v84, v11
	;;#ASMEND
	ds_load_b128 v[22:25], v68 offset:208
	ds_load_b128 v[26:29], v8 offset:17872
	;; [unrolled: 1-line block ×6, first 2 shown]
	s_waitcnt lgkmcnt(4)
	;;#ASMSTART
	v_dot2_f32_f16 v20, v22, v26, v20
	;;#ASMEND
	;;#ASMSTART
	v_dot2_f32_f16 v20, v23, v27, v20
	;;#ASMEND
	;;#ASMSTART
	v_dot2_f32_f16 v20, v24, v28, v20
	;;#ASMEND
	;;#ASMSTART
	v_dot2_f32_f16 v20, v25, v29, v20
	;;#ASMEND
	s_waitcnt lgkmcnt(3)
	;;#ASMSTART
	v_dot2_f32_f16 v19, v22, v73, v19
	;;#ASMEND
	;;#ASMSTART
	v_dot2_f32_f16 v19, v23, v74, v19
	;;#ASMEND
	;;#ASMSTART
	v_dot2_f32_f16 v19, v24, v75, v19
	;;#ASMEND
	;;#ASMSTART
	v_dot2_f32_f16 v19, v25, v76, v19
	;;#ASMEND
	;; [unrolled: 13-line block ×5, first 2 shown]
	;;#ASMSTART
	v_dot2_f32_f16 v15, v85, v73, v15
	;;#ASMEND
	;;#ASMSTART
	v_dot2_f32_f16 v15, v86, v74, v15
	;;#ASMEND
	;; [unrolled: 3-line block ×12, first 2 shown]
	ds_load_b128 v[22:25], v68 offset:224
	ds_load_b128 v[26:29], v8 offset:17888
	;; [unrolled: 1-line block ×6, first 2 shown]
	s_waitcnt lgkmcnt(4)
	;;#ASMSTART
	v_dot2_f32_f16 v20, v22, v26, v20
	;;#ASMEND
	;;#ASMSTART
	v_dot2_f32_f16 v20, v23, v27, v20
	;;#ASMEND
	;;#ASMSTART
	v_dot2_f32_f16 v20, v24, v28, v20
	;;#ASMEND
	;;#ASMSTART
	v_dot2_f32_f16 v20, v25, v29, v20
	;;#ASMEND
	s_waitcnt lgkmcnt(3)
	;;#ASMSTART
	v_dot2_f32_f16 v19, v22, v73, v19
	;;#ASMEND
	;;#ASMSTART
	v_dot2_f32_f16 v19, v23, v74, v19
	;;#ASMEND
	;;#ASMSTART
	v_dot2_f32_f16 v19, v24, v75, v19
	;;#ASMEND
	;;#ASMSTART
	v_dot2_f32_f16 v19, v25, v76, v19
	;;#ASMEND
	;; [unrolled: 13-line block ×5, first 2 shown]
	;;#ASMSTART
	v_dot2_f32_f16 v15, v85, v73, v15
	;;#ASMEND
	;;#ASMSTART
	v_dot2_f32_f16 v15, v86, v74, v15
	;;#ASMEND
	;;#ASMSTART
	v_dot2_f32_f16 v15, v87, v75, v15
	;;#ASMEND
	;;#ASMSTART
	v_dot2_f32_f16 v15, v88, v76, v15
	;;#ASMEND
	;;#ASMSTART
	v_dot2_f32_f16 v16, v85, v77, v16
	;;#ASMEND
	;;#ASMSTART
	v_dot2_f32_f16 v16, v86, v78, v16
	;;#ASMEND
	;;#ASMSTART
	v_dot2_f32_f16 v16, v87, v79, v16
	;;#ASMEND
	;;#ASMSTART
	v_dot2_f32_f16 v16, v88, v80, v16
	;;#ASMEND
	;;#ASMSTART
	v_dot2_f32_f16 v11, v85, v81, v11
	;;#ASMEND
	;;#ASMSTART
	v_dot2_f32_f16 v11, v86, v82, v11
	;;#ASMEND
	;;#ASMSTART
	v_dot2_f32_f16 v11, v87, v83, v11
	;;#ASMEND
	;;#ASMSTART
	v_dot2_f32_f16 v11, v88, v84, v11
	;;#ASMEND
	ds_load_b128 v[22:25], v68 offset:240
	ds_load_b128 v[26:29], v8 offset:17904
	;; [unrolled: 1-line block ×6, first 2 shown]
	s_waitcnt lgkmcnt(4)
	;;#ASMSTART
	v_dot2_f32_f16 v20, v22, v26, v20
	;;#ASMEND
	;;#ASMSTART
	v_dot2_f32_f16 v20, v23, v27, v20
	;;#ASMEND
	;;#ASMSTART
	v_dot2_f32_f16 v20, v24, v28, v20
	;;#ASMEND
	;;#ASMSTART
	v_dot2_f32_f16 v20, v25, v29, v20
	;;#ASMEND
	s_waitcnt lgkmcnt(3)
	;;#ASMSTART
	v_dot2_f32_f16 v19, v22, v73, v19
	;;#ASMEND
	;;#ASMSTART
	v_dot2_f32_f16 v19, v23, v74, v19
	;;#ASMEND
	;;#ASMSTART
	v_dot2_f32_f16 v19, v24, v75, v19
	;;#ASMEND
	;;#ASMSTART
	v_dot2_f32_f16 v19, v25, v76, v19
	;;#ASMEND
	;; [unrolled: 13-line block ×5, first 2 shown]
	;;#ASMSTART
	v_dot2_f32_f16 v15, v85, v73, v15
	;;#ASMEND
	v_mad_u64_u32 v[9:10], null, v66, s10, s[12:13]
	;;#ASMSTART
	v_dot2_f32_f16 v15, v86, v74, v15
	;;#ASMEND
	;;#ASMSTART
	v_dot2_f32_f16 v15, v87, v75, v15
	;;#ASMEND
	v_dual_mov_b32 v8, v4 :: v_dual_mov_b32 v7, v3
	;;#ASMSTART
	v_dot2_f32_f16 v15, v88, v76, v15
	;;#ASMEND
	;;#ASMSTART
	v_dot2_f32_f16 v16, v85, v77, v16
	;;#ASMEND
	v_dual_mov_b32 v6, v2 :: v_dual_mov_b32 v5, v1
	;;#ASMSTART
	v_dot2_f32_f16 v16, v86, v78, v16
	;;#ASMEND
	;;#ASMSTART
	v_dot2_f32_f16 v16, v87, v79, v16
	;;#ASMEND
	;; [unrolled: 3-line block ×7, first 2 shown]
	s_and_saveexec_b32 s6, s4
	s_cbranch_execz .LBB42_35
; %bb.32:
	s_and_not1_b32 vcc_lo, exec_lo, s5
	s_cbranch_vccnz .LBB42_34
; %bb.33:
	v_add_nc_u32_e32 v5, v9, v40
	s_delay_alu instid0(VALU_DEP_1) | instskip(NEXT) | instid1(VALU_DEP_1)
	v_ashrrev_i32_e32 v6, 31, v5
	v_lshlrev_b64 v[5:6], 1, v[5:6]
	s_delay_alu instid0(VALU_DEP_1) | instskip(NEXT) | instid1(VALU_DEP_2)
	v_add_co_u32 v5, vcc_lo, s40, v5
	v_add_co_ci_u32_e32 v6, vcc_lo, s41, v6, vcc_lo
	flat_load_u16 v5, v[5:6]
	s_waitcnt vmcnt(0) lgkmcnt(0)
	v_cvt_f32_f16_e32 v5, v5
	s_delay_alu instid0(VALU_DEP_1)
	v_mul_f32_e32 v21, v48, v5
.LBB42_34:
	s_delay_alu instid0(VALU_DEP_1) | instskip(NEXT) | instid1(VALU_DEP_1)
	v_add_f32_e32 v20, v20, v21
	v_dual_max_f32 v6, v1, v1 :: v_dual_add_f32 v5, 0x40051340, v20
	s_delay_alu instid0(VALU_DEP_1) | instskip(SKIP_2) | instid1(VALU_DEP_3)
	v_max_f32_e32 v10, v6, v5
	v_dual_mov_b32 v8, v4 :: v_dual_mov_b32 v5, v1
	v_dual_mov_b32 v7, v3 :: v_dual_mov_b32 v6, v2
	v_mov_b32_e32 v5, v10
.LBB42_35:
	s_or_b32 exec_lo, exec_lo, s6
	v_add_nc_u32_e32 v66, 32, v40
	s_delay_alu instid0(VALU_DEP_1) | instskip(NEXT) | instid1(VALU_DEP_1)
	v_cmp_gt_i32_e64 s5, s19, v66
	s_and_saveexec_b32 s6, s5
	s_cbranch_execz .LBB42_40
; %bb.36:
	v_cmp_ne_u32_e32 vcc_lo, 1, v30
	s_cbranch_vccnz .LBB42_38
; %bb.37:
	v_ashrrev_i32_e32 v10, 31, v9
	v_add_co_u32 v9, vcc_lo, v9, v40
	s_delay_alu instid0(VALU_DEP_2) | instskip(NEXT) | instid1(VALU_DEP_1)
	v_add_co_ci_u32_e32 v10, vcc_lo, 0, v10, vcc_lo
	v_lshlrev_b64 v[9:10], 1, v[9:10]
	s_delay_alu instid0(VALU_DEP_1) | instskip(NEXT) | instid1(VALU_DEP_2)
	v_add_co_u32 v9, vcc_lo, s40, v9
	v_add_co_ci_u32_e32 v10, vcc_lo, s41, v10, vcc_lo
	flat_load_u16 v9, v[9:10] offset:64
	s_waitcnt vmcnt(0) lgkmcnt(0)
	v_cvt_f32_f16_e32 v9, v9
	s_delay_alu instid0(VALU_DEP_1)
	v_mul_f32_e32 v9, v48, v9
	s_branch .LBB42_39
.LBB42_38:
	v_mov_b32_e32 v9, 0
.LBB42_39:
	s_delay_alu instid0(VALU_DEP_1) | instskip(SKIP_1) | instid1(VALU_DEP_2)
	v_add_f32_e32 v12, v12, v9
	v_max_f32_e32 v5, v5, v5
	v_add_f32_e32 v9, 0x40051340, v12
	s_delay_alu instid0(VALU_DEP_1)
	v_max_f32_e32 v5, v5, v9
.LBB42_40:
	s_or_b32 exec_lo, exec_lo, s6
	v_xor_b32_e32 v26, 16, v42
	v_xor_b32_e32 v24, 8, v42
	;; [unrolled: 1-line block ×5, first 2 shown]
	v_cmp_gt_i32_e32 vcc_lo, 32, v26
	v_mul_hi_u32 v25, s36, v67
	v_cndmask_b32_e32 v9, v42, v26, vcc_lo
	v_cmp_gt_i32_e32 vcc_lo, 32, v24
	s_delay_alu instid0(VALU_DEP_2)
	v_lshlrev_b32_e32 v68, 2, v9
	ds_bpermute_b32 v9, v68, v5
	v_cndmask_b32_e32 v10, v42, v24, vcc_lo
	v_cmp_gt_i32_e32 vcc_lo, 32, v23
	v_max_f32_e32 v5, v5, v5
	s_waitcnt lgkmcnt(0)
	v_max_f32_e32 v9, v9, v9
	v_dual_cndmask_b32 v10, v42, v23 :: v_dual_lshlrev_b32 v73, 2, v10
	v_cmp_gt_i32_e32 vcc_lo, 32, v22
	s_delay_alu instid0(VALU_DEP_3) | instskip(NEXT) | instid1(VALU_DEP_3)
	v_max_f32_e32 v5, v5, v9
	v_lshlrev_b32_e32 v29, 2, v10
	v_cndmask_b32_e32 v10, v42, v22, vcc_lo
	v_cmp_gt_i32_e32 vcc_lo, 32, v21
	s_delay_alu instid0(VALU_DEP_2)
	v_lshlrev_b32_e32 v28, 2, v10
	v_cndmask_b32_e32 v10, v42, v21, vcc_lo
	ds_bpermute_b32 v9, v73, v5
	v_lshlrev_b32_e32 v27, 2, v10
	s_waitcnt lgkmcnt(0)
	v_max_f32_e32 v9, v9, v9
	s_delay_alu instid0(VALU_DEP_1) | instskip(SKIP_3) | instid1(VALU_DEP_1)
	v_max_f32_e32 v5, v5, v9
	ds_bpermute_b32 v9, v29, v5
	s_waitcnt lgkmcnt(0)
	v_max_f32_e32 v9, v9, v9
	v_max_f32_e32 v5, v5, v9
	ds_bpermute_b32 v9, v28, v5
	s_waitcnt lgkmcnt(0)
	v_max_f32_e32 v9, v9, v9
	s_delay_alu instid0(VALU_DEP_1) | instskip(SKIP_3) | instid1(VALU_DEP_1)
	v_max_f32_e32 v5, v5, v9
	v_add_nc_u32_e32 v9, v67, v25
	ds_bpermute_b32 v10, v27, v5
	v_lshrrev_b32_e32 v9, s37, v9
	v_mul_lo_u32 v9, v9, s38
	s_delay_alu instid0(VALU_DEP_1) | instskip(SKIP_2) | instid1(VALU_DEP_2)
	v_sub_nc_u32_e32 v25, v67, v9
	s_waitcnt lgkmcnt(0)
	v_max_f32_e32 v67, v10, v10
	v_mad_u64_u32 v[9:10], null, v25, s10, s[12:13]
	v_mov_b32_e32 v25, 32
	s_delay_alu instid0(VALU_DEP_3)
	v_max_f32_e32 v5, v5, v67
	s_and_saveexec_b32 s6, s4
	s_cbranch_execz .LBB42_45
; %bb.41:
	v_cmp_ne_u32_e32 vcc_lo, 1, v30
	s_cbranch_vccnz .LBB42_43
; %bb.42:
	s_delay_alu instid0(VALU_DEP_4) | instskip(NEXT) | instid1(VALU_DEP_1)
	v_add_nc_u32_e32 v74, v9, v40
	v_ashrrev_i32_e32 v75, 31, v74
	s_delay_alu instid0(VALU_DEP_1) | instskip(NEXT) | instid1(VALU_DEP_1)
	v_lshlrev_b64 v[74:75], 1, v[74:75]
	v_add_co_u32 v74, vcc_lo, s40, v74
	s_delay_alu instid0(VALU_DEP_2) | instskip(SKIP_3) | instid1(VALU_DEP_1)
	v_add_co_ci_u32_e32 v75, vcc_lo, s41, v75, vcc_lo
	flat_load_u16 v10, v[74:75]
	s_waitcnt vmcnt(0) lgkmcnt(0)
	v_cvt_f32_f16_e32 v10, v10
	v_mul_f32_e32 v10, v48, v10
	s_branch .LBB42_44
.LBB42_43:
	v_mov_b32_e32 v10, 0
.LBB42_44:
	s_delay_alu instid0(VALU_DEP_1) | instskip(SKIP_1) | instid1(VALU_DEP_2)
	v_add_f32_e32 v19, v19, v10
	v_max_f32_e32 v6, v6, v6
	v_add_f32_e32 v10, 0x40051340, v19
	s_delay_alu instid0(VALU_DEP_1)
	v_max_f32_e32 v6, v6, v10
.LBB42_45:
	s_or_b32 exec_lo, exec_lo, s6
	s_and_saveexec_b32 s6, s5
	s_cbranch_execz .LBB42_50
; %bb.46:
	v_cmp_ne_u32_e32 vcc_lo, 1, v30
	s_cbranch_vccnz .LBB42_48
; %bb.47:
	v_ashrrev_i32_e32 v10, 31, v9
	v_add_co_u32 v9, vcc_lo, v9, v40
	s_delay_alu instid0(VALU_DEP_2) | instskip(NEXT) | instid1(VALU_DEP_1)
	v_add_co_ci_u32_e32 v10, vcc_lo, 0, v10, vcc_lo
	v_lshlrev_b64 v[9:10], 1, v[9:10]
	s_delay_alu instid0(VALU_DEP_1) | instskip(NEXT) | instid1(VALU_DEP_2)
	v_add_co_u32 v9, vcc_lo, s40, v9
	v_add_co_ci_u32_e32 v10, vcc_lo, s41, v10, vcc_lo
	flat_load_u16 v9, v[9:10] offset:64
	s_waitcnt vmcnt(0) lgkmcnt(0)
	v_cvt_f32_f16_e32 v9, v9
	s_delay_alu instid0(VALU_DEP_1)
	v_mul_f32_e32 v9, v48, v9
	s_branch .LBB42_49
.LBB42_48:
	v_mov_b32_e32 v9, 0
.LBB42_49:
	s_delay_alu instid0(VALU_DEP_1) | instskip(NEXT) | instid1(VALU_DEP_1)
	v_dual_add_f32 v15, v15, v9 :: v_dual_max_f32 v6, v6, v6
	v_add_f32_e32 v9, 0x40051340, v15
	s_delay_alu instid0(VALU_DEP_1)
	v_max_f32_e32 v6, v6, v9
.LBB42_50:
	s_or_b32 exec_lo, exec_lo, s6
	ds_bpermute_b32 v9, v68, v6
	v_mul_hi_u32 v10, s36, v62
	s_waitcnt lgkmcnt(0)
	v_dual_max_f32 v6, v6, v6 :: v_dual_max_f32 v9, v9, v9
	s_delay_alu instid0(VALU_DEP_1) | instskip(SKIP_3) | instid1(VALU_DEP_1)
	v_max_f32_e32 v6, v6, v9
	ds_bpermute_b32 v9, v73, v6
	s_waitcnt lgkmcnt(0)
	v_max_f32_e32 v9, v9, v9
	v_max_f32_e32 v6, v6, v9
	ds_bpermute_b32 v9, v29, v6
	s_waitcnt lgkmcnt(0)
	v_max_f32_e32 v9, v9, v9
	s_delay_alu instid0(VALU_DEP_1) | instskip(SKIP_3) | instid1(VALU_DEP_1)
	v_max_f32_e32 v6, v6, v9
	ds_bpermute_b32 v9, v28, v6
	s_waitcnt lgkmcnt(0)
	v_max_f32_e32 v9, v9, v9
	v_max_f32_e32 v6, v6, v9
	v_add_nc_u32_e32 v9, v62, v10
	ds_bpermute_b32 v10, v27, v6
	v_lshrrev_b32_e32 v9, s37, v9
	s_delay_alu instid0(VALU_DEP_1) | instskip(NEXT) | instid1(VALU_DEP_1)
	v_mul_lo_u32 v9, v9, s38
	v_sub_nc_u32_e32 v62, v62, v9
	s_waitcnt lgkmcnt(0)
	v_max_f32_e32 v67, v10, v10
	s_delay_alu instid0(VALU_DEP_2) | instskip(NEXT) | instid1(VALU_DEP_2)
	v_mad_u64_u32 v[9:10], null, v62, s10, s[12:13]
	v_max_f32_e32 v6, v6, v67
	s_and_saveexec_b32 s6, s4
	s_cbranch_execz .LBB42_55
; %bb.51:
	v_cmp_ne_u32_e32 vcc_lo, 1, v30
	s_cbranch_vccnz .LBB42_53
; %bb.52:
	s_delay_alu instid0(VALU_DEP_3) | instskip(NEXT) | instid1(VALU_DEP_1)
	v_add_nc_u32_e32 v74, v9, v40
	v_ashrrev_i32_e32 v75, 31, v74
	s_delay_alu instid0(VALU_DEP_1) | instskip(NEXT) | instid1(VALU_DEP_1)
	v_lshlrev_b64 v[74:75], 1, v[74:75]
	v_add_co_u32 v74, vcc_lo, s40, v74
	s_delay_alu instid0(VALU_DEP_2) | instskip(SKIP_3) | instid1(VALU_DEP_1)
	v_add_co_ci_u32_e32 v75, vcc_lo, s41, v75, vcc_lo
	flat_load_u16 v10, v[74:75]
	s_waitcnt vmcnt(0) lgkmcnt(0)
	v_cvt_f32_f16_e32 v10, v10
	v_mul_f32_e32 v10, v48, v10
	s_branch .LBB42_54
.LBB42_53:
	v_mov_b32_e32 v10, 0
.LBB42_54:
	s_delay_alu instid0(VALU_DEP_1) | instskip(NEXT) | instid1(VALU_DEP_1)
	v_dual_add_f32 v18, v18, v10 :: v_dual_max_f32 v7, v7, v7
	v_add_f32_e32 v10, 0x40051340, v18
	s_delay_alu instid0(VALU_DEP_1)
	v_max_f32_e32 v7, v7, v10
.LBB42_55:
	s_or_b32 exec_lo, exec_lo, s6
	s_and_saveexec_b32 s6, s5
	s_cbranch_execz .LBB42_60
; %bb.56:
	v_cmp_ne_u32_e32 vcc_lo, 1, v30
	s_cbranch_vccnz .LBB42_58
; %bb.57:
	v_ashrrev_i32_e32 v10, 31, v9
	v_add_co_u32 v9, vcc_lo, v9, v40
	s_delay_alu instid0(VALU_DEP_2) | instskip(NEXT) | instid1(VALU_DEP_1)
	v_add_co_ci_u32_e32 v10, vcc_lo, 0, v10, vcc_lo
	v_lshlrev_b64 v[9:10], 1, v[9:10]
	s_delay_alu instid0(VALU_DEP_1) | instskip(NEXT) | instid1(VALU_DEP_2)
	v_add_co_u32 v9, vcc_lo, s40, v9
	v_add_co_ci_u32_e32 v10, vcc_lo, s41, v10, vcc_lo
	flat_load_u16 v9, v[9:10] offset:64
	s_waitcnt vmcnt(0) lgkmcnt(0)
	v_cvt_f32_f16_e32 v9, v9
	s_delay_alu instid0(VALU_DEP_1)
	v_mul_f32_e32 v9, v48, v9
	s_branch .LBB42_59
.LBB42_58:
	v_mov_b32_e32 v9, 0
.LBB42_59:
	s_delay_alu instid0(VALU_DEP_1) | instskip(NEXT) | instid1(VALU_DEP_1)
	v_dual_add_f32 v16, v16, v9 :: v_dual_max_f32 v7, v7, v7
	v_add_f32_e32 v9, 0x40051340, v16
	s_delay_alu instid0(VALU_DEP_1)
	v_max_f32_e32 v7, v7, v9
.LBB42_60:
	s_or_b32 exec_lo, exec_lo, s6
	ds_bpermute_b32 v9, v68, v7
	v_max_f32_e32 v7, v7, v7
	v_mul_hi_u32 v10, s36, v60
	s_waitcnt lgkmcnt(0)
	v_max_f32_e32 v9, v9, v9
	s_delay_alu instid0(VALU_DEP_1) | instskip(SKIP_3) | instid1(VALU_DEP_1)
	v_max_f32_e32 v7, v7, v9
	ds_bpermute_b32 v9, v73, v7
	s_waitcnt lgkmcnt(0)
	v_max_f32_e32 v9, v9, v9
	v_max_f32_e32 v7, v7, v9
	ds_bpermute_b32 v9, v29, v7
	s_waitcnt lgkmcnt(0)
	v_max_f32_e32 v9, v9, v9
	s_delay_alu instid0(VALU_DEP_1) | instskip(SKIP_3) | instid1(VALU_DEP_1)
	v_max_f32_e32 v7, v7, v9
	ds_bpermute_b32 v9, v28, v7
	s_waitcnt lgkmcnt(0)
	v_max_f32_e32 v9, v9, v9
	v_max_f32_e32 v7, v7, v9
	v_add_nc_u32_e32 v9, v60, v10
	ds_bpermute_b32 v10, v27, v7
	v_lshrrev_b32_e32 v9, s37, v9
	s_delay_alu instid0(VALU_DEP_1) | instskip(NEXT) | instid1(VALU_DEP_1)
	v_mul_lo_u32 v9, v9, s38
	v_sub_nc_u32_e32 v60, v60, v9
	s_waitcnt lgkmcnt(0)
	v_max_f32_e32 v62, v10, v10
	s_delay_alu instid0(VALU_DEP_2) | instskip(NEXT) | instid1(VALU_DEP_2)
	v_mad_u64_u32 v[9:10], null, v60, s10, s[12:13]
	v_max_f32_e32 v7, v7, v62
	s_and_saveexec_b32 s6, s4
	s_cbranch_execz .LBB42_65
; %bb.61:
	v_cmp_ne_u32_e32 vcc_lo, 1, v30
	s_cbranch_vccnz .LBB42_63
; %bb.62:
	s_delay_alu instid0(VALU_DEP_3) | instskip(NEXT) | instid1(VALU_DEP_1)
	v_add_nc_u32_e32 v74, v9, v40
	v_ashrrev_i32_e32 v75, 31, v74
	s_delay_alu instid0(VALU_DEP_1) | instskip(NEXT) | instid1(VALU_DEP_1)
	v_lshlrev_b64 v[74:75], 1, v[74:75]
	v_add_co_u32 v74, vcc_lo, s40, v74
	s_delay_alu instid0(VALU_DEP_2) | instskip(SKIP_3) | instid1(VALU_DEP_1)
	v_add_co_ci_u32_e32 v75, vcc_lo, s41, v75, vcc_lo
	flat_load_u16 v10, v[74:75]
	s_waitcnt vmcnt(0) lgkmcnt(0)
	v_cvt_f32_f16_e32 v10, v10
	v_mul_f32_e32 v10, v48, v10
	s_branch .LBB42_64
.LBB42_63:
	v_mov_b32_e32 v10, 0
.LBB42_64:
	s_delay_alu instid0(VALU_DEP_1) | instskip(NEXT) | instid1(VALU_DEP_1)
	v_dual_add_f32 v17, v17, v10 :: v_dual_max_f32 v8, v8, v8
	v_add_f32_e32 v10, 0x40051340, v17
	s_delay_alu instid0(VALU_DEP_1)
	v_max_f32_e32 v8, v8, v10
.LBB42_65:
	s_or_b32 exec_lo, exec_lo, s6
	s_and_saveexec_b32 s4, s5
	s_cbranch_execz .LBB42_70
; %bb.66:
	v_cmp_ne_u32_e32 vcc_lo, 1, v30
	s_cbranch_vccnz .LBB42_68
; %bb.67:
	v_ashrrev_i32_e32 v10, 31, v9
	v_add_co_u32 v9, vcc_lo, v9, v40
	s_delay_alu instid0(VALU_DEP_2) | instskip(NEXT) | instid1(VALU_DEP_1)
	v_add_co_ci_u32_e32 v10, vcc_lo, 0, v10, vcc_lo
	v_lshlrev_b64 v[9:10], 1, v[9:10]
	s_delay_alu instid0(VALU_DEP_1) | instskip(NEXT) | instid1(VALU_DEP_2)
	v_add_co_u32 v9, vcc_lo, s40, v9
	v_add_co_ci_u32_e32 v10, vcc_lo, s41, v10, vcc_lo
	flat_load_u16 v9, v[9:10] offset:64
	s_waitcnt vmcnt(0) lgkmcnt(0)
	v_cvt_f32_f16_e32 v9, v9
	s_delay_alu instid0(VALU_DEP_1)
	v_mul_f32_e32 v9, v48, v9
	s_branch .LBB42_69
.LBB42_68:
	v_mov_b32_e32 v9, 0
.LBB42_69:
	s_delay_alu instid0(VALU_DEP_1) | instskip(NEXT) | instid1(VALU_DEP_1)
	v_dual_add_f32 v11, v11, v9 :: v_dual_max_f32 v8, v8, v8
	v_add_f32_e32 v9, 0x40051340, v11
	s_delay_alu instid0(VALU_DEP_1)
	v_max_f32_e32 v8, v8, v9
.LBB42_70:
	s_or_b32 exec_lo, exec_lo, s4
	ds_bpermute_b32 v9, v68, v8
	v_max_f32_e32 v8, v8, v8
	s_waitcnt lgkmcnt(0)
	s_barrier
	buffer_gl0_inv
	s_load_b64 s[0:1], s[0:1], 0x4
	v_bfe_u32 v0, v0, 20, 10
	v_add_nc_u32_e32 v75, 16, v43
	s_delay_alu instid0(VALU_DEP_1) | instskip(SKIP_1) | instid1(VALU_DEP_1)
	v_lshl_add_u32 v76, v75, 9, v45
	v_max_f32_e32 v9, v9, v9
	v_max_f32_e32 v8, v8, v9
	s_waitcnt lgkmcnt(0)
	s_lshr_b32 s0, s0, 16
	s_delay_alu instid0(SALU_CYCLE_1) | instskip(SKIP_2) | instid1(VALU_DEP_1)
	s_mul_i32 s0, s0, s1
	ds_bpermute_b32 v9, v73, v8
	v_add_nc_u32_e32 v73, 8, v43
	v_lshl_add_u32 v74, v73, 9, v45
	s_waitcnt lgkmcnt(0)
	v_max_f32_e32 v9, v9, v9
	s_delay_alu instid0(VALU_DEP_1) | instskip(SKIP_3) | instid1(VALU_DEP_1)
	v_max_f32_e32 v8, v8, v9
	ds_bpermute_b32 v9, v29, v8
	s_waitcnt lgkmcnt(0)
	v_max_f32_e32 v9, v9, v9
	v_max_f32_e32 v8, v8, v9
	ds_bpermute_b32 v9, v28, v8
	s_waitcnt lgkmcnt(0)
	v_max_f32_e32 v9, v9, v9
	s_delay_alu instid0(VALU_DEP_1) | instskip(SKIP_3) | instid1(VALU_DEP_1)
	v_max_f32_e32 v8, v8, v9
	ds_bpermute_b32 v9, v27, v8
	s_waitcnt lgkmcnt(0)
	v_max_f32_e32 v9, v9, v9
	v_max_f32_e32 v8, v8, v9
	v_sub_f32_e32 v9, v20, v5
	s_delay_alu instid0(VALU_DEP_1) | instskip(SKIP_2) | instid1(VALU_DEP_3)
	v_dual_sub_f32 v17, v17, v8 :: v_dual_mul_f32 v10, 0x3fb8aa3b, v9
	v_cmp_ngt_f32_e32 vcc_lo, 0xc2ce8ed0, v9
	v_cmp_nlt_f32_e64 s4, 0x42b17218, v9
	v_cmp_ngt_f32_e64 s9, 0xc2ce8ed0, v17
	s_delay_alu instid0(VALU_DEP_4) | instskip(SKIP_1) | instid1(VALU_DEP_2)
	v_fma_f32 v20, 0x3fb8aa3b, v9, -v10
	v_cmp_nlt_f32_e64 s10, 0x42b17218, v17
	v_dual_fmac_f32 v20, 0x32a5705f, v9 :: v_dual_sub_f32 v9, v19, v6
	s_delay_alu instid0(VALU_DEP_1) | instskip(SKIP_2) | instid1(VALU_DEP_3)
	v_mul_f32_e32 v19, 0x3fb8aa3b, v9
	v_cmp_ngt_f32_e64 s5, 0xc2ce8ed0, v9
	v_cmp_nlt_f32_e64 s6, 0x42b17218, v9
	v_fma_f32 v27, 0x3fb8aa3b, v9, -v19
	s_delay_alu instid0(VALU_DEP_1) | instskip(SKIP_1) | instid1(VALU_DEP_1)
	v_fmac_f32_e32 v27, 0x32a5705f, v9
	v_sub_f32_e32 v9, v18, v7
	v_mul_f32_e32 v18, 0x3fb8aa3b, v9
	v_cmp_ngt_f32_e64 s7, 0xc2ce8ed0, v9
	v_cmp_nlt_f32_e64 s8, 0x42b17218, v9
	s_delay_alu instid0(VALU_DEP_3) | instskip(NEXT) | instid1(VALU_DEP_1)
	v_fma_f32 v28, 0x3fb8aa3b, v9, -v18
	v_fmac_f32_e32 v28, 0x32a5705f, v9
	v_rndne_f32_e32 v9, v10
	s_delay_alu instid0(VALU_DEP_1) | instskip(SKIP_1) | instid1(VALU_DEP_2)
	v_sub_f32_e32 v10, v10, v9
	v_cvt_i32_f32_e32 v9, v9
	v_add_f32_e32 v10, v10, v20
	v_rndne_f32_e32 v20, v19
	s_delay_alu instid0(VALU_DEP_2) | instskip(NEXT) | instid1(VALU_DEP_1)
	v_exp_f32_e32 v10, v10
	v_sub_f32_e32 v19, v19, v20
	s_delay_alu instid0(VALU_DEP_1)
	v_add_f32_e32 v19, v19, v27
	v_rndne_f32_e32 v27, v18
	s_waitcnt_depctr 0xfff
	v_ldexp_f32 v9, v10, v9
	v_exp_f32_e32 v10, v19
	v_cvt_i32_f32_e32 v19, v20
	s_delay_alu instid0(VALU_DEP_2) | instskip(SKIP_1) | instid1(VALU_DEP_2)
	v_dual_sub_f32 v18, v18, v27 :: v_dual_cndmask_b32 v9, 0, v9
	v_cmp_gt_u32_e32 vcc_lo, s19, v40
	v_add_f32_e32 v18, v18, v28
	s_delay_alu instid0(VALU_DEP_3) | instskip(SKIP_4) | instid1(VALU_DEP_2)
	v_cndmask_b32_e64 v9, 0x7f800000, v9, s4
	s_waitcnt_depctr 0xfff
	v_ldexp_f32 v10, v10, v19
	v_mul_f32_e32 v19, 0x3fb8aa3b, v17
	v_exp_f32_e32 v18, v18
	v_cndmask_b32_e64 v10, 0, v10, s5
	s_delay_alu instid0(VALU_DEP_2) | instskip(SKIP_1) | instid1(VALU_DEP_3)
	v_fma_f32 v20, 0x3fb8aa3b, v17, -v19
	v_rndne_f32_e32 v28, v19
	v_cndmask_b32_e64 v10, 0x7f800000, v10, s6
	s_delay_alu instid0(VALU_DEP_2) | instskip(SKIP_1) | instid1(VALU_DEP_2)
	v_dual_fmac_f32 v20, 0x32a5705f, v17 :: v_dual_sub_f32 v19, v19, v28
	v_sub_f32_e32 v11, v11, v8
	v_add_f32_e32 v19, v19, v20
	v_cvt_i32_f32_e32 v20, v27
	v_cndmask_b32_e32 v27, 0, v9, vcc_lo
	s_delay_alu instid0(VALU_DEP_3) | instskip(SKIP_1) | instid1(VALU_DEP_3)
	v_exp_f32_e32 v17, v19
	v_cvt_i32_f32_e32 v19, v28
	v_ldexp_f32 v18, v18, v20
	v_cndmask_b32_e32 v20, 0, v10, vcc_lo
	v_cvt_f16_f32_e32 v9, v27
	s_delay_alu instid0(VALU_DEP_3) | instskip(NEXT) | instid1(VALU_DEP_3)
	v_cndmask_b32_e64 v18, 0, v18, s7
	v_cvt_f16_f32_e32 v10, v20
	s_delay_alu instid0(TRANS32_DEP_1) | instskip(NEXT) | instid1(VALU_DEP_3)
	v_ldexp_f32 v17, v17, v19
	v_cndmask_b32_e64 v18, 0x7f800000, v18, s8
	s_delay_alu instid0(VALU_DEP_3) | instskip(NEXT) | instid1(VALU_DEP_3)
	v_pack_b32_f16 v9, v9, v10
	v_cndmask_b32_e64 v17, 0, v17, s9
	v_cmp_ngt_f32_e64 s9, 0xc2ce8ed0, v11
	s_delay_alu instid0(VALU_DEP_4) | instskip(NEXT) | instid1(VALU_DEP_3)
	v_cndmask_b32_e32 v19, 0, v18, vcc_lo
	v_cndmask_b32_e64 v17, 0x7f800000, v17, s10
	v_cmp_nlt_f32_e64 s10, 0x42b17218, v11
	s_delay_alu instid0(VALU_DEP_3) | instskip(NEXT) | instid1(VALU_DEP_3)
	v_cvt_f16_f32_e32 v10, v19
	v_cndmask_b32_e32 v28, 0, v17, vcc_lo
	s_delay_alu instid0(VALU_DEP_1) | instskip(NEXT) | instid1(VALU_DEP_1)
	v_cvt_f16_f32_e32 v17, v28
	v_pack_b32_f16 v10, v10, v17
	v_add_nc_u32_e32 v17, v47, v44
	ds_store_b64 v17, v[9:10]
	v_sub_f32_e32 v9, v12, v5
	s_delay_alu instid0(VALU_DEP_1) | instskip(SKIP_2) | instid1(VALU_DEP_3)
	v_mul_f32_e32 v10, 0x3fb8aa3b, v9
	v_cmp_ngt_f32_e32 vcc_lo, 0xc2ce8ed0, v9
	v_cmp_nlt_f32_e64 s4, 0x42b17218, v9
	v_fma_f32 v12, 0x3fb8aa3b, v9, -v10
	s_delay_alu instid0(VALU_DEP_1) | instskip(NEXT) | instid1(VALU_DEP_1)
	v_dual_fmac_f32 v12, 0x32a5705f, v9 :: v_dual_sub_f32 v9, v15, v6
	v_mul_f32_e32 v15, 0x3fb8aa3b, v9
	v_cmp_ngt_f32_e64 s5, 0xc2ce8ed0, v9
	v_cmp_nlt_f32_e64 s6, 0x42b17218, v9
	s_delay_alu instid0(VALU_DEP_3) | instskip(NEXT) | instid1(VALU_DEP_1)
	v_fma_f32 v17, 0x3fb8aa3b, v9, -v15
	v_fmac_f32_e32 v17, 0x32a5705f, v9
	v_sub_f32_e32 v9, v16, v7
	s_delay_alu instid0(VALU_DEP_1) | instskip(SKIP_2) | instid1(VALU_DEP_3)
	v_mul_f32_e32 v16, 0x3fb8aa3b, v9
	v_cmp_ngt_f32_e64 s7, 0xc2ce8ed0, v9
	v_cmp_nlt_f32_e64 s8, 0x42b17218, v9
	v_fma_f32 v18, 0x3fb8aa3b, v9, -v16
	s_delay_alu instid0(VALU_DEP_1) | instskip(SKIP_1) | instid1(VALU_DEP_1)
	v_fmac_f32_e32 v18, 0x32a5705f, v9
	v_rndne_f32_e32 v9, v10
	v_sub_f32_e32 v10, v10, v9
	v_cvt_i32_f32_e32 v9, v9
	s_delay_alu instid0(VALU_DEP_2) | instskip(SKIP_1) | instid1(VALU_DEP_2)
	v_add_f32_e32 v10, v10, v12
	v_rndne_f32_e32 v12, v15
	v_exp_f32_e32 v10, v10
	s_delay_alu instid0(VALU_DEP_1) | instskip(SKIP_1) | instid1(VALU_DEP_2)
	v_sub_f32_e32 v15, v15, v12
	v_cvt_i32_f32_e32 v12, v12
	v_add_f32_e32 v15, v15, v17
	v_rndne_f32_e32 v17, v16
	s_waitcnt_depctr 0xfff
	v_ldexp_f32 v9, v10, v9
	v_exp_f32_e32 v10, v15
	v_sub_f32_e32 v16, v16, v17
	s_delay_alu instid0(VALU_DEP_2) | instskip(SKIP_1) | instid1(VALU_DEP_3)
	v_cndmask_b32_e32 v9, 0, v9, vcc_lo
	v_cmp_gt_u32_e32 vcc_lo, s19, v66
	v_add_f32_e32 v16, v16, v18
	s_delay_alu instid0(VALU_DEP_3)
	v_cndmask_b32_e64 v9, 0x7f800000, v9, s4
	s_waitcnt_depctr 0xfff
	v_ldexp_f32 v10, v10, v12
	v_mul_f32_e32 v12, 0x3fb8aa3b, v11
	s_lshl_b32 s4, s13, 3
	v_cndmask_b32_e32 v60, 0, v9, vcc_lo
	s_delay_alu instid0(VALU_DEP_3) | instskip(NEXT) | instid1(VALU_DEP_3)
	v_cndmask_b32_e64 v10, 0, v10, s5
	v_fma_f32 v15, 0x3fb8aa3b, v11, -v12
	v_rndne_f32_e32 v18, v12
	s_delay_alu instid0(VALU_DEP_4) | instskip(NEXT) | instid1(VALU_DEP_4)
	v_cvt_f16_f32_e32 v9, v60
	v_cndmask_b32_e64 v10, 0x7f800000, v10, s6
	s_delay_alu instid0(VALU_DEP_3) | instskip(NEXT) | instid1(VALU_DEP_2)
	v_dual_fmac_f32 v15, 0x32a5705f, v11 :: v_dual_sub_f32 v12, v12, v18
	v_cndmask_b32_e32 v48, 0, v10, vcc_lo
	s_delay_alu instid0(VALU_DEP_2) | instskip(SKIP_2) | instid1(VALU_DEP_3)
	v_add_f32_e32 v12, v12, v15
	v_exp_f32_e32 v15, v16
	v_cvt_i32_f32_e32 v16, v17
	v_cvt_f16_f32_e32 v10, v48
	s_delay_alu instid0(VALU_DEP_3) | instskip(SKIP_1) | instid1(VALU_DEP_2)
	v_exp_f32_e32 v11, v12
	v_cvt_i32_f32_e32 v12, v18
	v_pack_b32_f16 v9, v9, v10
	s_waitcnt_depctr 0xfff
	v_ldexp_f32 v15, v15, v16
	v_ldexp_f32 v11, v11, v12
	s_delay_alu instid0(VALU_DEP_2) | instskip(NEXT) | instid1(VALU_DEP_2)
	v_cndmask_b32_e64 v12, 0, v15, s7
	v_cndmask_b32_e64 v11, 0, v11, s9
	s_delay_alu instid0(VALU_DEP_2) | instskip(SKIP_1) | instid1(VALU_DEP_2)
	v_cndmask_b32_e64 v12, 0x7f800000, v12, s8
	s_mov_b64 s[8:9], src_shared_base
	v_cndmask_b32_e64 v11, 0x7f800000, v11, s10
	s_delay_alu instid0(VALU_DEP_1) | instskip(NEXT) | instid1(VALU_DEP_1)
	v_dual_cndmask_b32 v30, 0, v12 :: v_dual_cndmask_b32 v29, 0, v11
	v_cvt_f16_f32_e32 v10, v30
	v_cmp_gt_i32_e32 vcc_lo, s19, v43
	s_delay_alu instid0(VALU_DEP_3) | instskip(NEXT) | instid1(VALU_DEP_1)
	v_cvt_f16_f32_e32 v11, v29
	v_pack_b32_f16 v10, v10, v11
	v_lshl_add_u32 v11, v66, 3, v47
	v_mov_b32_e32 v66, 0
	ds_store_b64 v11, v[9:10]
	v_mul_lo_u32 v9, s0, v40
	s_mul_i32 s0, s12, s13
	s_delay_alu instid0(VALU_DEP_1) | instskip(SKIP_1) | instid1(SALU_CYCLE_1)
	v_mad_u32_u24 v9, v43, s1, v9
	s_mul_hi_i32 s1, s12, s13
	s_lshl_b64 s[0:1], s[0:1], 2
	s_delay_alu instid0(VALU_DEP_1)
	v_add_lshl_u32 v47, v9, v0, 4
	v_lshlrev_b64 v[9:10], 2, v[13:14]
	s_add_u32 s5, s15, s0
	s_addc_u32 s6, s16, s1
	ds_store_b32 v47, v66 offset:37888
	ds_store_b32 v47, v66 offset:37900
	v_add_nc_u32_e32 v62, 0x9400, v47
	v_add_co_u32 v0, s0, s5, v9
	s_delay_alu instid0(VALU_DEP_1) | instskip(SKIP_1) | instid1(VALU_DEP_3)
	v_add_co_ci_u32_e64 v11, s0, s6, v10, s0
	v_add_nc_u32_e32 v67, 0x9404, v47
	v_add_co_u32 v0, s1, v0, v45
	s_delay_alu instid0(VALU_DEP_1)
	v_add_co_ci_u32_e64 v11, s0, 0, v11, s1
	ds_store_2addr_b32 v67, v66, v66 offset1:1
	v_add_nc_u32_e32 v68, v41, v45
	v_cndmask_b32_e32 v12, s9, v11, vcc_lo
	v_cndmask_b32_e32 v11, v62, v0, vcc_lo
	v_cmp_gt_i32_e32 vcc_lo, s19, v73
	flat_load_b128 v[14:17], v[11:12]
	s_waitcnt vmcnt(0) lgkmcnt(0)
	ds_store_b128 v68, v[14:17]
	v_add_nc_u32_e32 v17, s4, v13
	ds_store_b32 v47, v66 offset:37888
	ds_store_2addr_b32 v67, v66, v66 offset1:1
	ds_store_b32 v47, v66 offset:37900
	v_ashrrev_i32_e32 v18, 31, v17
	v_add_nc_u32_e32 v77, s4, v17
	s_delay_alu instid0(VALU_DEP_2) | instskip(NEXT) | instid1(VALU_DEP_2)
	v_lshlrev_b64 v[11:12], 2, v[17:18]
	v_ashrrev_i32_e32 v78, 31, v77
	s_delay_alu instid0(VALU_DEP_2) | instskip(NEXT) | instid1(VALU_DEP_1)
	v_add_co_u32 v0, s0, s5, v11
	v_add_co_ci_u32_e64 v13, s0, s6, v12, s0
	s_delay_alu instid0(VALU_DEP_2) | instskip(NEXT) | instid1(VALU_DEP_1)
	v_add_co_u32 v0, s1, v0, v45
	v_add_co_ci_u32_e64 v13, s0, 0, v13, s1
	s_delay_alu instid0(VALU_DEP_1) | instskip(NEXT) | instid1(VALU_DEP_3)
	v_cndmask_b32_e32 v14, s9, v13, vcc_lo
	v_cndmask_b32_e32 v13, v62, v0, vcc_lo
	v_cmp_gt_i32_e32 vcc_lo, s19, v75
	flat_load_b128 v[13:16], v[13:14]
	s_waitcnt vmcnt(0) lgkmcnt(0)
	ds_store_b128 v74, v[13:16]
	v_lshlrev_b64 v[13:14], 2, v[77:78]
	ds_store_b32 v47, v66 offset:37888
	ds_store_2addr_b32 v67, v66, v66 offset1:1
	ds_store_b32 v47, v66 offset:37900
	v_add_co_u32 v0, s0, s5, v13
	s_delay_alu instid0(VALU_DEP_1) | instskip(NEXT) | instid1(VALU_DEP_2)
	v_add_co_ci_u32_e64 v15, s0, s6, v14, s0
	v_add_co_u32 v0, s1, v0, v45
	s_delay_alu instid0(VALU_DEP_1) | instskip(NEXT) | instid1(VALU_DEP_1)
	v_add_co_ci_u32_e64 v15, s0, 0, v15, s1
	v_cndmask_b32_e32 v16, s9, v15, vcc_lo
	s_delay_alu instid0(VALU_DEP_3)
	v_cndmask_b32_e32 v15, v62, v0, vcc_lo
	flat_load_b128 v[15:18], v[15:16]
	s_waitcnt vmcnt(0) lgkmcnt(0)
	ds_store_b128 v76, v[15:18]
	v_add_nc_u32_e32 v15, s4, v77
	ds_store_b32 v47, v66 offset:37888
	ds_store_2addr_b32 v67, v66, v66 offset1:1
	ds_store_b32 v47, v66 offset:37900
	v_ashrrev_i32_e32 v16, 31, v15
	s_delay_alu instid0(VALU_DEP_1) | instskip(NEXT) | instid1(VALU_DEP_1)
	v_lshlrev_b64 v[15:16], 2, v[15:16]
	v_add_co_u32 v0, s0, s5, v15
	s_delay_alu instid0(VALU_DEP_1) | instskip(NEXT) | instid1(VALU_DEP_2)
	v_add_co_ci_u32_e64 v17, s0, s6, v16, s0
	v_add_co_u32 v0, s1, v0, v45
	s_delay_alu instid0(VALU_DEP_1) | instskip(SKIP_1) | instid1(VALU_DEP_1)
	v_add_co_ci_u32_e64 v17, s0, 0, v17, s1
	v_add_nc_u32_e32 v77, 24, v43
	v_cmp_gt_i32_e32 vcc_lo, s19, v77
	s_delay_alu instid0(VALU_DEP_3)
	v_cndmask_b32_e32 v18, s9, v17, vcc_lo
	v_dual_cndmask_b32 v17, v62, v0 :: v_dual_sub_f32 v0, v1, v5
	v_dual_sub_f32 v1, v2, v6 :: v_dual_sub_f32 v2, v3, v7
	v_sub_f32_e32 v3, v4, v8
	flat_load_b128 v[80:83], v[17:18]
	v_mul_f32_e32 v4, 0x3fb8aa3b, v0
	v_cmp_ngt_f32_e32 vcc_lo, 0xc2ce8ed0, v0
	v_cmp_nlt_f32_e64 s0, 0x42b17218, v0
	v_cmp_ngt_f32_e64 s1, 0xc2ce8ed0, v1
	v_cmp_nlt_f32_e64 s4, 0x42b17218, v1
	v_fma_f32 v17, 0x3fb8aa3b, v0, -v4
	v_cmp_ngt_f32_e64 s5, 0xc2ce8ed0, v2
	v_cmp_nlt_f32_e64 s6, 0x42b17218, v2
	v_cmp_ngt_f32_e64 s7, 0xc2ce8ed0, v3
	v_cmp_nlt_f32_e64 s8, 0x42b17218, v3
	v_fmac_f32_e32 v17, 0x32a5705f, v0
	v_mul_f32_e32 v0, 0x3fb8aa3b, v1
	v_lshl_add_u32 v79, v77, 9, v45
	s_delay_alu instid0(VALU_DEP_2) | instskip(NEXT) | instid1(VALU_DEP_1)
	v_fma_f32 v18, 0x3fb8aa3b, v1, -v0
	v_fmac_f32_e32 v18, 0x32a5705f, v1
	v_mul_f32_e32 v1, 0x3fb8aa3b, v2
	s_delay_alu instid0(VALU_DEP_1) | instskip(NEXT) | instid1(VALU_DEP_1)
	v_fma_f32 v78, 0x3fb8aa3b, v2, -v1
	v_fmac_f32_e32 v78, 0x32a5705f, v2
	v_rndne_f32_e32 v2, v4
	s_delay_alu instid0(VALU_DEP_1) | instskip(SKIP_1) | instid1(VALU_DEP_2)
	v_sub_f32_e32 v4, v4, v2
	v_cvt_i32_f32_e32 v2, v2
	v_add_f32_e32 v4, v4, v17
	v_rndne_f32_e32 v17, v0
	s_delay_alu instid0(VALU_DEP_1) | instskip(NEXT) | instid1(VALU_DEP_1)
	v_sub_f32_e32 v0, v0, v17
	v_add_f32_e32 v0, v0, v18
	v_rndne_f32_e32 v18, v1
	s_delay_alu instid0(VALU_DEP_2) | instskip(NEXT) | instid1(VALU_DEP_1)
	v_exp_f32_e32 v0, v0
	v_sub_f32_e32 v1, v1, v18
	v_exp_f32_e32 v4, v4
	s_delay_alu instid0(VALU_DEP_1) | instskip(NEXT) | instid1(VALU_DEP_1)
	v_add_f32_e32 v1, v1, v78
	v_exp_f32_e32 v1, v1
	s_waitcnt_depctr 0xfff
	v_ldexp_f32 v2, v4, v2
	v_cvt_i32_f32_e32 v4, v17
	s_delay_alu instid0(VALU_DEP_2) | instskip(NEXT) | instid1(VALU_DEP_2)
	v_cndmask_b32_e32 v2, 0, v2, vcc_lo
	v_ldexp_f32 v0, v0, v4
	v_mul_f32_e32 v4, 0x3fb8aa3b, v3
	s_delay_alu instid0(VALU_DEP_2) | instskip(NEXT) | instid1(VALU_DEP_2)
	v_cndmask_b32_e64 v0, 0, v0, s1
	v_fma_f32 v17, 0x3fb8aa3b, v3, -v4
	v_rndne_f32_e32 v78, v4
	s_delay_alu instid0(VALU_DEP_1) | instskip(NEXT) | instid1(VALU_DEP_1)
	v_dual_fmac_f32 v17, 0x32a5705f, v3 :: v_dual_sub_f32 v4, v4, v78
	v_add_f32_e32 v4, v4, v17
	v_cvt_i32_f32_e32 v17, v18
	v_cndmask_b32_e64 v18, 0x7f800000, v0, s4
	s_delay_alu instid0(VALU_DEP_3) | instskip(NEXT) | instid1(VALU_DEP_2)
	v_exp_f32_e32 v4, v4
	v_ldexp_f32 v1, v1, v17
	v_cvt_i32_f32_e32 v17, v78
	v_cndmask_b32_e64 v78, 0x7f800000, v2, s0
	v_cvt_f16_f32_e32 v88, v18
	s_or_b32 s0, s12, 32
	v_cndmask_b32_e64 v1, 0, v1, s5
	s_mul_hi_i32 s1, s0, s13
	v_cvt_f16_f32_e32 v87, v78
	v_pk_mul_f16 v61, v88, v61 op_sel_hi:[0,1]
	v_ldexp_f32 v4, v4, v17
	v_cndmask_b32_e64 v17, 0x7f800000, v1, s6
	v_pk_mul_f16 v58, v88, v58 op_sel_hi:[0,1]
	v_pk_mul_f16 v63, v87, v63 op_sel_hi:[0,1]
	;; [unrolled: 1-line block ×3, first 2 shown]
	v_cndmask_b32_e64 v3, 0, v4, s7
	s_mul_i32 s0, s0, s13
	s_delay_alu instid0(SALU_CYCLE_1) | instskip(NEXT) | instid1(VALU_DEP_1)
	s_lshl_b64 s[0:1], s[0:1], 2
	v_cndmask_b32_e64 v4, 0x7f800000, v3, s8
	s_add_u32 s4, s15, s0
	s_addc_u32 s1, s16, s1
	v_add_co_u32 v9, vcc_lo, s4, v9
	s_delay_alu instid0(VALU_DEP_2) | instskip(SKIP_2) | instid1(VALU_DEP_3)
	v_cvt_f16_f32_e32 v3, v4
	v_add_co_ci_u32_e32 v10, vcc_lo, s1, v10, vcc_lo
	s_sub_i32 s5, s19, 32
	v_add_co_u32 v9, s0, v9, v45
	s_delay_alu instid0(VALU_DEP_3)
	v_pk_mul_f16 v51, v3, v51 op_sel_hi:[0,1]
	v_pk_mul_f16 v85, v3, v50 op_sel_hi:[0,1]
	;; [unrolled: 1-line block ×3, first 2 shown]
	v_cvt_f16_f32_e32 v49, v17
	v_cmp_gt_i32_e32 vcc_lo, s5, v43
	v_add_co_ci_u32_e64 v10, s0, 0, v10, s0
	s_delay_alu instid0(VALU_DEP_3) | instskip(SKIP_1) | instid1(VALU_DEP_3)
	v_pk_mul_f16 v56, v49, v56 op_sel_hi:[0,1]
	v_pk_mul_f16 v89, v49, v55 op_sel_hi:[0,1]
	v_cndmask_b32_e32 v10, s9, v10, vcc_lo
	v_cndmask_b32_e32 v9, v62, v9, vcc_lo
	s_waitcnt vmcnt(0) lgkmcnt(0)
	ds_store_b128 v79, v[80:83]
	v_pk_mul_f16 v80, v3, v52 op_sel_hi:[0,1]
	s_waitcnt lgkmcnt(0)
	s_barrier
	buffer_gl0_inv
	ds_load_2addr_b64 v[81:84], v44 offset1:32
	ds_load_b128 v[0:3], v41 offset:33792
	v_pk_mul_f16 v52, v87, v65 op_sel_hi:[0,1]
	v_pk_mul_f16 v65, v88, v59 op_sel_hi:[0,1]
	;; [unrolled: 1-line block ×3, first 2 shown]
	s_waitcnt lgkmcnt(0)
	v_pk_fma_f16 v50, v81, v1, v51 op_sel:[0,1,0]
	v_pk_fma_f16 v51, v82, v0, v52 op_sel_hi:[1,0,1]
	v_pk_fma_f16 v52, v82, v0, v61 op_sel:[0,1,0]
	v_pk_fma_f16 v54, v82, v1, v56 op_sel_hi:[1,0,1]
	;; [unrolled: 2-line block ×4, first 2 shown]
	v_pk_fma_f16 v61, v83, v1, v85 op_sel:[0,1,0]
	v_pk_mul_f16 v82, v81, v0 op_sel_hi:[1,0]
	v_pk_mul_f16 v83, v81, v0 op_sel:[0,1]
	v_pk_fma_f16 v63, v84, v0, v64 op_sel_hi:[1,0,1]
	v_pk_fma_f16 v64, v84, v0, v65 op_sel:[0,1,0]
	v_pk_fma_f16 v65, v84, v1, v89 op_sel_hi:[1,0,1]
	v_pk_fma_f16 v80, v84, v1, v86 op_sel:[0,1,0]
	v_pk_mul_f16 v0, v81, v1 op_sel_hi:[1,0]
	v_pk_fma_f16 v1, v87, v57, v82 op_sel_hi:[0,1,1]
	v_pk_fma_f16 v53, v88, v53, v83 op_sel_hi:[0,1,1]
	ds_load_2addr_b64 v[81:84], v44 offset0:64 offset1:96
	v_pk_fma_f16 v0, v49, v46, v0 op_sel_hi:[0,1,1]
	s_waitcnt lgkmcnt(0)
	v_pk_fma_f16 v46, v81, v3, v50 op_sel:[0,1,0]
	v_pk_fma_f16 v57, v82, v2, v51 op_sel_hi:[1,0,1]
	v_pk_fma_f16 v85, v82, v2, v52 op_sel:[0,1,0]
	v_pk_fma_f16 v54, v82, v3, v54 op_sel_hi:[1,0,1]
	v_pk_fma_f16 v55, v82, v3, v55 op_sel:[0,1,0]
	v_pk_fma_f16 v56, v83, v2, v56 op_sel_hi:[1,0,1]
	v_pk_fma_f16 v58, v83, v2, v58 op_sel:[0,1,0]
	v_pk_fma_f16 v59, v83, v3, v59 op_sel_hi:[1,0,1]
	v_pk_fma_f16 v61, v83, v3, v61 op_sel:[0,1,0]
	v_pk_fma_f16 v63, v84, v2, v63 op_sel_hi:[1,0,1]
	v_pk_fma_f16 v64, v84, v2, v64 op_sel:[0,1,0]
	v_pk_fma_f16 v65, v84, v3, v65 op_sel_hi:[1,0,1]
	v_pk_fma_f16 v80, v84, v3, v80 op_sel:[0,1,0]
	v_pk_fma_f16 v82, v81, v2, v1 op_sel_hi:[1,0,1]
	v_pk_fma_f16 v53, v81, v2, v53 op_sel:[0,1,0]
	v_pk_fma_f16 v81, v81, v3, v0 op_sel_hi:[1,0,1]
	ds_load_b128 v[0:3], v41 offset:33808
	ds_load_2addr_b64 v[49:52], v44 offset0:128 offset1:160
	s_waitcnt lgkmcnt(0)
	v_pk_fma_f16 v46, v49, v1, v46 op_sel:[0,1,0]
	v_pk_fma_f16 v57, v50, v0, v57 op_sel_hi:[1,0,1]
	v_pk_fma_f16 v83, v50, v0, v85 op_sel:[0,1,0]
	v_pk_fma_f16 v54, v50, v1, v54 op_sel_hi:[1,0,1]
	;; [unrolled: 2-line block ×8, first 2 shown]
	ds_load_2addr_b64 v[49:52], v44 offset0:192 offset1:224
	s_waitcnt lgkmcnt(0)
	v_pk_fma_f16 v57, v50, v2, v57 op_sel_hi:[1,0,1]
	v_pk_fma_f16 v81, v50, v2, v83 op_sel:[0,1,0]
	v_pk_fma_f16 v85, v51, v2, v56 op_sel_hi:[1,0,1]
	v_pk_fma_f16 v58, v51, v2, v58 op_sel:[0,1,0]
	;; [unrolled: 2-line block ×4, first 2 shown]
	v_add_nc_u32_e32 v0, 0x800, v44
	v_pk_fma_f16 v46, v49, v3, v46 op_sel:[0,1,0]
	v_pk_fma_f16 v83, v50, v3, v54 op_sel_hi:[1,0,1]
	v_pk_fma_f16 v84, v50, v3, v55 op_sel:[0,1,0]
	v_pk_fma_f16 v59, v51, v3, v59 op_sel_hi:[1,0,1]
	;; [unrolled: 2-line block ×4, first 2 shown]
	ds_load_b128 v[49:52], v41 offset:33824
	ds_load_2addr_b64 v[53:56], v0 offset1:32
	s_waitcnt lgkmcnt(0)
	v_pk_fma_f16 v3, v53, v50, v46 op_sel:[0,1,0]
	v_pk_fma_f16 v46, v54, v49, v57 op_sel_hi:[1,0,1]
	v_pk_fma_f16 v57, v54, v49, v81 op_sel:[0,1,0]
	v_pk_fma_f16 v81, v54, v50, v83 op_sel_hi:[1,0,1]
	;; [unrolled: 2-line block ×8, first 2 shown]
	ds_load_2addr_b64 v[53:56], v0 offset0:64 offset1:96
	s_waitcnt lgkmcnt(0)
	v_pk_fma_f16 v3, v53, v52, v3 op_sel:[0,1,0]
	v_pk_fma_f16 v46, v54, v51, v46 op_sel_hi:[1,0,1]
	v_pk_fma_f16 v57, v54, v51, v57 op_sel:[0,1,0]
	v_pk_fma_f16 v81, v54, v52, v81 op_sel_hi:[1,0,1]
	;; [unrolled: 2-line block ×8, first 2 shown]
	ds_load_b128 v[49:52], v41 offset:33840
	ds_load_2addr_b64 v[53:56], v0 offset0:128 offset1:160
	s_waitcnt lgkmcnt(0)
	v_pk_fma_f16 v3, v53, v50, v3 op_sel:[0,1,0]
	v_pk_fma_f16 v46, v54, v49, v46 op_sel_hi:[1,0,1]
	v_pk_fma_f16 v57, v54, v49, v57 op_sel:[0,1,0]
	v_pk_fma_f16 v81, v54, v50, v81 op_sel_hi:[1,0,1]
	;; [unrolled: 2-line block ×8, first 2 shown]
	ds_load_2addr_b64 v[53:56], v0 offset0:192 offset1:224
	s_waitcnt lgkmcnt(0)
	v_pk_fma_f16 v85, v53, v52, v1 op_sel_hi:[1,0,1]
	v_add_nc_u32_e32 v1, 0x1000, v44
	v_pk_fma_f16 v3, v53, v52, v3 op_sel:[0,1,0]
	v_pk_fma_f16 v46, v54, v51, v46 op_sel_hi:[1,0,1]
	v_pk_fma_f16 v57, v54, v51, v57 op_sel:[0,1,0]
	v_pk_fma_f16 v81, v54, v52, v81 op_sel_hi:[1,0,1]
	;; [unrolled: 2-line block ×7, first 2 shown]
	v_pk_fma_f16 v2, v53, v51, v2 op_sel:[0,1,0]
	ds_load_2addr_b64 v[49:52], v1 offset1:32
	ds_load_b128 v[53:56], v41 offset:33856
	s_waitcnt lgkmcnt(0)
	v_pk_fma_f16 v3, v49, v54, v3 op_sel:[0,1,0]
	v_pk_fma_f16 v46, v50, v53, v46 op_sel_hi:[1,0,1]
	v_pk_fma_f16 v57, v50, v53, v57 op_sel:[0,1,0]
	v_pk_fma_f16 v81, v50, v54, v81 op_sel_hi:[1,0,1]
	;; [unrolled: 2-line block ×8, first 2 shown]
	ds_load_2addr_b64 v[49:52], v1 offset0:64 offset1:96
	s_waitcnt lgkmcnt(0)
	v_pk_fma_f16 v3, v49, v56, v3 op_sel:[0,1,0]
	v_pk_fma_f16 v46, v50, v55, v46 op_sel_hi:[1,0,1]
	v_pk_fma_f16 v57, v50, v55, v57 op_sel:[0,1,0]
	v_pk_fma_f16 v81, v50, v56, v81 op_sel_hi:[1,0,1]
	;; [unrolled: 2-line block ×8, first 2 shown]
	ds_load_2addr_b64 v[49:52], v1 offset0:128 offset1:160
	ds_load_b128 v[53:56], v41 offset:33872
	s_waitcnt lgkmcnt(0)
	v_pk_fma_f16 v3, v49, v54, v3 op_sel:[0,1,0]
	v_pk_fma_f16 v46, v50, v53, v46 op_sel_hi:[1,0,1]
	v_pk_fma_f16 v57, v50, v53, v57 op_sel:[0,1,0]
	v_pk_fma_f16 v81, v50, v54, v81 op_sel_hi:[1,0,1]
	;; [unrolled: 2-line block ×8, first 2 shown]
	ds_load_2addr_b64 v[49:52], v1 offset0:192 offset1:224
	s_waitcnt lgkmcnt(0)
	v_pk_fma_f16 v85, v49, v55, v2 op_sel:[0,1,0]
	v_add_nc_u32_e32 v2, 0x1800, v44
	v_pk_fma_f16 v3, v49, v56, v3 op_sel:[0,1,0]
	v_pk_fma_f16 v46, v50, v55, v46 op_sel_hi:[1,0,1]
	v_pk_fma_f16 v57, v50, v55, v57 op_sel:[0,1,0]
	v_pk_fma_f16 v81, v50, v56, v81 op_sel_hi:[1,0,1]
	;; [unrolled: 2-line block ×7, first 2 shown]
	v_pk_fma_f16 v86, v49, v56, v53 op_sel_hi:[1,0,1]
	ds_load_2addr_b64 v[49:52], v2 offset1:32
	ds_load_b128 v[53:56], v41 offset:33888
	s_waitcnt lgkmcnt(0)
	v_pk_fma_f16 v3, v49, v54, v3 op_sel:[0,1,0]
	v_pk_fma_f16 v46, v50, v53, v46 op_sel_hi:[1,0,1]
	v_pk_fma_f16 v57, v50, v53, v57 op_sel:[0,1,0]
	v_pk_fma_f16 v81, v50, v54, v81 op_sel_hi:[1,0,1]
	;; [unrolled: 2-line block ×8, first 2 shown]
	ds_load_2addr_b64 v[49:52], v2 offset0:64 offset1:96
	s_waitcnt lgkmcnt(0)
	v_pk_fma_f16 v3, v49, v56, v3 op_sel:[0,1,0]
	v_pk_fma_f16 v46, v50, v55, v46 op_sel_hi:[1,0,1]
	v_pk_fma_f16 v57, v50, v55, v57 op_sel:[0,1,0]
	v_pk_fma_f16 v81, v50, v56, v81 op_sel_hi:[1,0,1]
	;; [unrolled: 2-line block ×8, first 2 shown]
	ds_load_2addr_b64 v[49:52], v2 offset0:128 offset1:160
	ds_load_b128 v[53:56], v41 offset:33904
	s_waitcnt lgkmcnt(0)
	v_pk_fma_f16 v3, v49, v54, v3 op_sel:[0,1,0]
	v_pk_fma_f16 v46, v50, v53, v46 op_sel_hi:[1,0,1]
	v_pk_fma_f16 v57, v50, v53, v57 op_sel:[0,1,0]
	v_pk_fma_f16 v81, v50, v54, v81 op_sel_hi:[1,0,1]
	;; [unrolled: 2-line block ×8, first 2 shown]
	ds_load_2addr_b64 v[49:52], v2 offset0:192 offset1:224
	s_waitcnt lgkmcnt(0)
	v_pk_fma_f16 v85, v49, v56, v3 op_sel:[0,1,0]
	v_add_nc_u32_e32 v3, 0x2000, v44
	v_pk_fma_f16 v46, v50, v55, v46 op_sel_hi:[1,0,1]
	v_pk_fma_f16 v57, v50, v55, v57 op_sel:[0,1,0]
	v_pk_fma_f16 v81, v50, v56, v81 op_sel_hi:[1,0,1]
	v_pk_fma_f16 v83, v50, v56, v83 op_sel:[0,1,0]
	v_pk_fma_f16 v84, v51, v55, v84 op_sel_hi:[1,0,1]
	v_pk_fma_f16 v58, v51, v55, v58 op_sel:[0,1,0]
	v_pk_fma_f16 v59, v51, v56, v59 op_sel_hi:[1,0,1]
	v_pk_fma_f16 v61, v51, v56, v61 op_sel:[0,1,0]
	v_pk_fma_f16 v63, v52, v55, v63 op_sel_hi:[1,0,1]
	v_pk_fma_f16 v64, v52, v55, v64 op_sel:[0,1,0]
	v_pk_fma_f16 v65, v52, v56, v65 op_sel_hi:[1,0,1]
	v_pk_fma_f16 v80, v52, v56, v80 op_sel:[0,1,0]
	v_pk_fma_f16 v82, v49, v55, v82 op_sel_hi:[1,0,1]
	v_pk_fma_f16 v86, v49, v55, v53 op_sel:[0,1,0]
	v_pk_fma_f16 v87, v49, v56, v54 op_sel_hi:[1,0,1]
	ds_load_2addr_b64 v[49:52], v3 offset1:32
	ds_load_b128 v[53:56], v41 offset:33920
	s_waitcnt lgkmcnt(0)
	v_pk_fma_f16 v85, v49, v54, v85 op_sel:[0,1,0]
	v_pk_fma_f16 v46, v50, v53, v46 op_sel_hi:[1,0,1]
	v_pk_fma_f16 v57, v50, v53, v57 op_sel:[0,1,0]
	v_pk_fma_f16 v81, v50, v54, v81 op_sel_hi:[1,0,1]
	;; [unrolled: 2-line block ×8, first 2 shown]
	ds_load_2addr_b64 v[49:52], v3 offset0:64 offset1:96
	s_waitcnt lgkmcnt(0)
	v_pk_fma_f16 v85, v49, v56, v85 op_sel:[0,1,0]
	v_pk_fma_f16 v46, v50, v55, v46 op_sel_hi:[1,0,1]
	v_pk_fma_f16 v57, v50, v55, v57 op_sel:[0,1,0]
	v_pk_fma_f16 v81, v50, v56, v81 op_sel_hi:[1,0,1]
	;; [unrolled: 2-line block ×8, first 2 shown]
	ds_load_2addr_b64 v[49:52], v3 offset0:128 offset1:160
	ds_load_b128 v[53:56], v41 offset:33936
	s_waitcnt lgkmcnt(0)
	v_pk_fma_f16 v85, v49, v54, v85 op_sel:[0,1,0]
	v_pk_fma_f16 v46, v50, v53, v46 op_sel_hi:[1,0,1]
	v_pk_fma_f16 v57, v50, v53, v57 op_sel:[0,1,0]
	v_pk_fma_f16 v81, v50, v54, v81 op_sel_hi:[1,0,1]
	;; [unrolled: 2-line block ×8, first 2 shown]
	ds_load_2addr_b64 v[49:52], v3 offset0:192 offset1:224
	s_waitcnt lgkmcnt(0)
	v_pk_fma_f16 v86, v50, v55, v46 op_sel_hi:[1,0,1]
	v_add_nc_u32_e32 v46, 0x2800, v44
	v_pk_fma_f16 v85, v49, v56, v85 op_sel:[0,1,0]
	v_pk_fma_f16 v57, v50, v55, v57 op_sel:[0,1,0]
	v_pk_fma_f16 v81, v50, v56, v81 op_sel_hi:[1,0,1]
	v_pk_fma_f16 v83, v50, v56, v83 op_sel:[0,1,0]
	v_pk_fma_f16 v84, v51, v55, v84 op_sel_hi:[1,0,1]
	v_pk_fma_f16 v58, v51, v55, v58 op_sel:[0,1,0]
	v_pk_fma_f16 v59, v51, v56, v59 op_sel_hi:[1,0,1]
	v_pk_fma_f16 v61, v51, v56, v61 op_sel:[0,1,0]
	v_pk_fma_f16 v63, v52, v55, v63 op_sel_hi:[1,0,1]
	v_pk_fma_f16 v64, v52, v55, v64 op_sel:[0,1,0]
	v_pk_fma_f16 v65, v52, v56, v65 op_sel_hi:[1,0,1]
	v_pk_fma_f16 v80, v52, v56, v80 op_sel:[0,1,0]
	v_pk_fma_f16 v82, v49, v55, v82 op_sel_hi:[1,0,1]
	v_pk_fma_f16 v87, v49, v55, v53 op_sel:[0,1,0]
	v_pk_fma_f16 v88, v49, v56, v54 op_sel_hi:[1,0,1]
	ds_load_2addr_b64 v[49:52], v46 offset1:32
	ds_load_b128 v[53:56], v41 offset:33952
	s_waitcnt lgkmcnt(0)
	v_pk_fma_f16 v85, v49, v54, v85 op_sel:[0,1,0]
	v_pk_fma_f16 v86, v50, v53, v86 op_sel_hi:[1,0,1]
	v_pk_fma_f16 v57, v50, v53, v57 op_sel:[0,1,0]
	v_pk_fma_f16 v81, v50, v54, v81 op_sel_hi:[1,0,1]
	;; [unrolled: 2-line block ×8, first 2 shown]
	ds_load_2addr_b64 v[49:52], v46 offset0:64 offset1:96
	s_waitcnt lgkmcnt(0)
	v_pk_fma_f16 v85, v49, v56, v85 op_sel:[0,1,0]
	v_pk_fma_f16 v86, v50, v55, v86 op_sel_hi:[1,0,1]
	v_pk_fma_f16 v57, v50, v55, v57 op_sel:[0,1,0]
	v_pk_fma_f16 v81, v50, v56, v81 op_sel_hi:[1,0,1]
	;; [unrolled: 2-line block ×8, first 2 shown]
	ds_load_2addr_b64 v[49:52], v46 offset0:128 offset1:160
	ds_load_b128 v[53:56], v41 offset:33968
	s_waitcnt lgkmcnt(0)
	v_pk_fma_f16 v85, v49, v54, v85 op_sel:[0,1,0]
	v_pk_fma_f16 v86, v50, v53, v86 op_sel_hi:[1,0,1]
	v_pk_fma_f16 v57, v50, v53, v57 op_sel:[0,1,0]
	v_pk_fma_f16 v81, v50, v54, v81 op_sel_hi:[1,0,1]
	;; [unrolled: 2-line block ×8, first 2 shown]
	ds_load_2addr_b64 v[49:52], v46 offset0:192 offset1:224
	s_waitcnt lgkmcnt(0)
	v_pk_fma_f16 v85, v49, v56, v85 op_sel:[0,1,0]
	v_pk_fma_f16 v82, v49, v55, v82 op_sel_hi:[1,0,1]
	v_pk_fma_f16 v88, v49, v55, v53 op_sel:[0,1,0]
	v_pk_fma_f16 v89, v49, v56, v54 op_sel_hi:[1,0,1]
	v_add_nc_u32_e32 v49, 0x3000, v44
	v_pk_fma_f16 v86, v50, v55, v86 op_sel_hi:[1,0,1]
	v_pk_fma_f16 v87, v50, v55, v57 op_sel:[0,1,0]
	v_pk_fma_f16 v81, v50, v56, v81 op_sel_hi:[1,0,1]
	v_pk_fma_f16 v83, v50, v56, v83 op_sel:[0,1,0]
	;; [unrolled: 2-line block ×6, first 2 shown]
	ds_load_2addr_b64 v[50:53], v49 offset1:32
	ds_load_b128 v[54:57], v41 offset:33984
	s_waitcnt lgkmcnt(0)
	v_pk_fma_f16 v85, v50, v55, v85 op_sel:[0,1,0]
	v_pk_fma_f16 v86, v51, v54, v86 op_sel_hi:[1,0,1]
	v_pk_fma_f16 v87, v51, v54, v87 op_sel:[0,1,0]
	v_pk_fma_f16 v81, v51, v55, v81 op_sel_hi:[1,0,1]
	;; [unrolled: 2-line block ×8, first 2 shown]
	ds_load_2addr_b64 v[50:53], v49 offset0:64 offset1:96
	s_waitcnt lgkmcnt(0)
	v_pk_fma_f16 v85, v50, v57, v85 op_sel:[0,1,0]
	v_pk_fma_f16 v86, v51, v56, v86 op_sel_hi:[1,0,1]
	v_pk_fma_f16 v87, v51, v56, v87 op_sel:[0,1,0]
	v_pk_fma_f16 v81, v51, v57, v81 op_sel_hi:[1,0,1]
	;; [unrolled: 2-line block ×8, first 2 shown]
	ds_load_2addr_b64 v[50:53], v49 offset0:128 offset1:160
	ds_load_b128 v[54:57], v41 offset:34000
	s_waitcnt lgkmcnt(0)
	v_pk_fma_f16 v85, v50, v55, v85 op_sel:[0,1,0]
	v_pk_fma_f16 v86, v51, v54, v86 op_sel_hi:[1,0,1]
	v_pk_fma_f16 v87, v51, v54, v87 op_sel:[0,1,0]
	v_pk_fma_f16 v81, v51, v55, v81 op_sel_hi:[1,0,1]
	;; [unrolled: 2-line block ×8, first 2 shown]
	ds_load_2addr_b64 v[50:53], v49 offset0:192 offset1:224
	s_waitcnt lgkmcnt(0)
	v_pk_fma_f16 v85, v50, v57, v85 op_sel:[0,1,0]
	v_pk_fma_f16 v82, v50, v56, v82 op_sel_hi:[1,0,1]
	v_pk_fma_f16 v89, v50, v56, v54 op_sel:[0,1,0]
	v_pk_fma_f16 v90, v50, v57, v55 op_sel_hi:[1,0,1]
	v_add_nc_u32_e32 v50, 0x3800, v44
	v_pk_fma_f16 v86, v51, v56, v86 op_sel_hi:[1,0,1]
	v_pk_fma_f16 v87, v51, v56, v87 op_sel:[0,1,0]
	v_pk_fma_f16 v81, v51, v57, v81 op_sel_hi:[1,0,1]
	v_pk_fma_f16 v83, v51, v57, v83 op_sel:[0,1,0]
	;; [unrolled: 2-line block ×6, first 2 shown]
	ds_load_2addr_b64 v[51:54], v50 offset1:32
	ds_load_b128 v[55:58], v41 offset:34016
	s_waitcnt lgkmcnt(0)
	v_pk_fma_f16 v85, v51, v56, v85 op_sel:[0,1,0]
	v_pk_fma_f16 v86, v52, v55, v86 op_sel_hi:[1,0,1]
	v_pk_fma_f16 v87, v52, v55, v87 op_sel:[0,1,0]
	v_pk_fma_f16 v81, v52, v56, v81 op_sel_hi:[1,0,1]
	v_pk_fma_f16 v83, v52, v56, v83 op_sel:[0,1,0]
	v_pk_fma_f16 v84, v53, v55, v84 op_sel_hi:[1,0,1]
	v_pk_fma_f16 v88, v53, v55, v88 op_sel:[0,1,0]
	v_pk_fma_f16 v59, v53, v56, v59 op_sel_hi:[1,0,1]
	v_pk_fma_f16 v61, v53, v56, v61 op_sel:[0,1,0]
	v_pk_fma_f16 v63, v54, v55, v63 op_sel_hi:[1,0,1]
	v_pk_fma_f16 v64, v54, v55, v64 op_sel:[0,1,0]
	v_pk_fma_f16 v65, v54, v56, v65 op_sel_hi:[1,0,1]
	v_pk_fma_f16 v80, v54, v56, v80 op_sel:[0,1,0]
	v_pk_fma_f16 v82, v51, v55, v82 op_sel_hi:[1,0,1]
	v_pk_fma_f16 v55, v51, v55, v89 op_sel:[0,1,0]
	v_pk_fma_f16 v56, v51, v56, v90 op_sel_hi:[1,0,1]
	ds_load_2addr_b64 v[51:54], v50 offset0:64 offset1:96
	s_waitcnt lgkmcnt(0)
	v_pk_fma_f16 v85, v51, v58, v85 op_sel:[0,1,0]
	v_pk_fma_f16 v86, v52, v57, v86 op_sel_hi:[1,0,1]
	v_pk_fma_f16 v87, v52, v57, v87 op_sel:[0,1,0]
	v_pk_fma_f16 v81, v52, v58, v81 op_sel_hi:[1,0,1]
	;; [unrolled: 2-line block ×8, first 2 shown]
	ds_load_2addr_b64 v[51:54], v50 offset0:128 offset1:160
	ds_load_b128 v[55:58], v41 offset:34032
	s_waitcnt lgkmcnt(0)
	v_pk_fma_f16 v85, v51, v56, v85 op_sel:[0,1,0]
	v_pk_fma_f16 v86, v52, v55, v86 op_sel_hi:[1,0,1]
	v_pk_fma_f16 v87, v52, v55, v87 op_sel:[0,1,0]
	v_pk_fma_f16 v81, v52, v56, v81 op_sel_hi:[1,0,1]
	;; [unrolled: 2-line block ×8, first 2 shown]
	ds_load_2addr_b64 v[51:54], v50 offset0:192 offset1:224
	s_waitcnt lgkmcnt(0)
	s_barrier
	buffer_gl0_inv
	ds_store_b32 v47, v66 offset:37888
	ds_store_2addr_b32 v67, v66, v66 offset1:1
	ds_store_b32 v47, v66 offset:37900
	v_pk_fma_f16 v85, v51, v58, v85 op_sel:[0,1,0]
	v_pk_fma_f16 v86, v52, v57, v86 op_sel_hi:[1,0,1]
	v_pk_fma_f16 v87, v52, v57, v87 op_sel:[0,1,0]
	v_pk_fma_f16 v81, v52, v58, v81 op_sel_hi:[1,0,1]
	;; [unrolled: 2-line block ×8, first 2 shown]
	flat_load_b128 v[51:54], v[9:10]
	v_add_co_u32 v9, vcc_lo, s4, v11
	v_add_co_ci_u32_e32 v10, vcc_lo, s1, v12, vcc_lo
	v_cmp_gt_i32_e32 vcc_lo, s5, v73
	s_delay_alu instid0(VALU_DEP_3) | instskip(NEXT) | instid1(VALU_DEP_1)
	v_add_co_u32 v9, s0, v9, v45
	v_add_co_ci_u32_e64 v10, s0, 0, v10, s0
	s_delay_alu instid0(VALU_DEP_2) | instskip(NEXT) | instid1(VALU_DEP_2)
	v_cndmask_b32_e32 v9, v62, v9, vcc_lo
	v_cndmask_b32_e32 v10, s9, v10, vcc_lo
	s_waitcnt vmcnt(0) lgkmcnt(0)
	ds_store_b128 v68, v[51:54]
	ds_store_b32 v47, v66 offset:37888
	ds_store_2addr_b32 v67, v66, v66 offset1:1
	ds_store_b32 v47, v66 offset:37900
	flat_load_b128 v[9:12], v[9:10]
	s_waitcnt vmcnt(0) lgkmcnt(0)
	ds_store_b128 v74, v[9:12]
	v_add_co_u32 v9, vcc_lo, s4, v13
	v_add_co_ci_u32_e32 v10, vcc_lo, s1, v14, vcc_lo
	v_cmp_gt_i32_e32 vcc_lo, s5, v75
	s_delay_alu instid0(VALU_DEP_3) | instskip(NEXT) | instid1(VALU_DEP_1)
	v_add_co_u32 v9, s0, v9, v45
	v_add_co_ci_u32_e64 v10, s0, 0, v10, s0
	ds_store_b32 v47, v66 offset:37888
	ds_store_2addr_b32 v67, v66, v66 offset1:1
	ds_store_b32 v47, v66 offset:37900
	v_cndmask_b32_e32 v9, v62, v9, vcc_lo
	v_cndmask_b32_e32 v10, s9, v10, vcc_lo
	flat_load_b128 v[9:12], v[9:10]
	s_waitcnt vmcnt(0) lgkmcnt(0)
	ds_store_b128 v76, v[9:12]
	ds_store_2addr_b32 v67, v66, v66 offset1:1
	ds_store_b32 v47, v66 offset:37888
	ds_store_b32 v47, v66 offset:37900
	v_add_co_u32 v9, vcc_lo, s4, v15
	v_add_co_ci_u32_e32 v10, vcc_lo, s1, v16, vcc_lo
	v_cmp_gt_i32_e32 vcc_lo, s5, v77
	s_delay_alu instid0(VALU_DEP_3) | instskip(NEXT) | instid1(VALU_DEP_1)
	v_add_co_u32 v9, s0, v9, v45
	v_add_co_ci_u32_e64 v10, s0, 0, v10, s0
	s_delay_alu instid0(VALU_DEP_2) | instskip(NEXT) | instid1(VALU_DEP_2)
	v_cndmask_b32_e32 v9, v62, v9, vcc_lo
	v_cndmask_b32_e32 v10, s9, v10, vcc_lo
	flat_load_b128 v[9:12], v[9:10]
	s_waitcnt vmcnt(0) lgkmcnt(0)
	ds_store_b128 v79, v[9:12]
	s_waitcnt lgkmcnt(0)
	s_barrier
	buffer_gl0_inv
	ds_load_2addr_b64 v[9:12], v44 offset1:32
	ds_load_b128 v[13:16], v41 offset:34048
	s_waitcnt lgkmcnt(0)
	v_pk_fma_f16 v43, v9, v13, v82 op_sel_hi:[1,0,1]
	v_pk_fma_f16 v45, v9, v13, v55 op_sel:[0,1,0]
	v_pk_fma_f16 v47, v9, v14, v56 op_sel_hi:[1,0,1]
	v_pk_fma_f16 v51, v9, v14, v85 op_sel:[0,1,0]
	v_pk_fma_f16 v52, v10, v13, v86 op_sel_hi:[1,0,1]
	v_pk_fma_f16 v53, v10, v13, v87 op_sel:[0,1,0]
	v_pk_fma_f16 v54, v10, v14, v81 op_sel_hi:[1,0,1]
	v_pk_fma_f16 v55, v10, v14, v83 op_sel:[0,1,0]
	v_pk_fma_f16 v56, v11, v13, v84 op_sel_hi:[1,0,1]
	v_pk_fma_f16 v57, v11, v13, v88 op_sel:[0,1,0]
	v_pk_fma_f16 v58, v11, v14, v59 op_sel_hi:[1,0,1]
	v_pk_fma_f16 v59, v11, v14, v61 op_sel:[0,1,0]
	v_pk_fma_f16 v61, v12, v13, v63 op_sel_hi:[1,0,1]
	v_pk_fma_f16 v13, v12, v13, v64 op_sel:[0,1,0]
	v_pk_fma_f16 v62, v12, v14, v65 op_sel_hi:[1,0,1]
	v_pk_fma_f16 v14, v12, v14, v80 op_sel:[0,1,0]
	ds_load_2addr_b64 v[9:12], v44 offset0:64 offset1:96
	s_waitcnt lgkmcnt(0)
	v_pk_fma_f16 v43, v9, v15, v43 op_sel_hi:[1,0,1]
	v_pk_fma_f16 v45, v9, v15, v45 op_sel:[0,1,0]
	v_pk_fma_f16 v47, v9, v16, v47 op_sel_hi:[1,0,1]
	v_pk_fma_f16 v51, v9, v16, v51 op_sel:[0,1,0]
	;; [unrolled: 2-line block ×8, first 2 shown]
	ds_load_b128 v[9:12], v41 offset:34064
	ds_load_2addr_b64 v[13:16], v44 offset0:128 offset1:160
	s_waitcnt lgkmcnt(0)
	v_pk_fma_f16 v43, v13, v9, v43 op_sel_hi:[1,0,1]
	v_pk_fma_f16 v45, v13, v9, v45 op_sel:[0,1,0]
	v_pk_fma_f16 v47, v13, v10, v47 op_sel_hi:[1,0,1]
	v_pk_fma_f16 v51, v13, v10, v51 op_sel:[0,1,0]
	;; [unrolled: 2-line block ×8, first 2 shown]
	ds_load_2addr_b64 v[13:16], v44 offset0:192 offset1:224
	s_waitcnt lgkmcnt(0)
	v_pk_fma_f16 v43, v13, v11, v43 op_sel_hi:[1,0,1]
	v_pk_fma_f16 v44, v13, v11, v45 op_sel:[0,1,0]
	v_pk_fma_f16 v45, v13, v12, v47 op_sel_hi:[1,0,1]
	v_pk_fma_f16 v47, v13, v12, v51 op_sel:[0,1,0]
	;; [unrolled: 2-line block ×8, first 2 shown]
	ds_load_b128 v[9:12], v41 offset:34080
	ds_load_2addr_b64 v[13:16], v0 offset1:32
	s_waitcnt lgkmcnt(0)
	v_pk_fma_f16 v43, v13, v9, v43 op_sel_hi:[1,0,1]
	v_pk_fma_f16 v44, v13, v9, v44 op_sel:[0,1,0]
	v_pk_fma_f16 v45, v13, v10, v45 op_sel_hi:[1,0,1]
	v_pk_fma_f16 v47, v13, v10, v47 op_sel:[0,1,0]
	;; [unrolled: 2-line block ×8, first 2 shown]
	ds_load_2addr_b64 v[13:16], v0 offset0:64 offset1:96
	s_waitcnt lgkmcnt(0)
	v_pk_fma_f16 v43, v13, v11, v43 op_sel_hi:[1,0,1]
	v_pk_fma_f16 v44, v13, v11, v44 op_sel:[0,1,0]
	v_pk_fma_f16 v45, v13, v12, v45 op_sel_hi:[1,0,1]
	v_pk_fma_f16 v47, v13, v12, v47 op_sel:[0,1,0]
	;; [unrolled: 2-line block ×8, first 2 shown]
	ds_load_b128 v[9:12], v41 offset:34096
	ds_load_2addr_b64 v[13:16], v0 offset0:128 offset1:160
	s_waitcnt lgkmcnt(0)
	v_pk_fma_f16 v43, v13, v9, v43 op_sel_hi:[1,0,1]
	v_pk_fma_f16 v44, v13, v9, v44 op_sel:[0,1,0]
	v_pk_fma_f16 v45, v13, v10, v45 op_sel_hi:[1,0,1]
	v_pk_fma_f16 v47, v13, v10, v47 op_sel:[0,1,0]
	;; [unrolled: 2-line block ×8, first 2 shown]
	ds_load_2addr_b64 v[13:16], v0 offset0:192 offset1:224
	s_waitcnt lgkmcnt(0)
	v_pk_fma_f16 v0, v13, v11, v43 op_sel_hi:[1,0,1]
	v_pk_fma_f16 v43, v13, v11, v44 op_sel:[0,1,0]
	v_pk_fma_f16 v44, v13, v12, v45 op_sel_hi:[1,0,1]
	v_pk_fma_f16 v45, v13, v12, v47 op_sel:[0,1,0]
	;; [unrolled: 2-line block ×8, first 2 shown]
	ds_load_2addr_b64 v[9:12], v1 offset1:32
	ds_load_b128 v[13:16], v41 offset:34112
	s_waitcnt lgkmcnt(0)
	v_pk_fma_f16 v0, v9, v13, v0 op_sel_hi:[1,0,1]
	v_pk_fma_f16 v43, v9, v13, v43 op_sel:[0,1,0]
	v_pk_fma_f16 v44, v9, v14, v44 op_sel_hi:[1,0,1]
	v_pk_fma_f16 v45, v9, v14, v45 op_sel:[0,1,0]
	;; [unrolled: 2-line block ×8, first 2 shown]
	ds_load_2addr_b64 v[9:12], v1 offset0:64 offset1:96
	s_waitcnt lgkmcnt(0)
	v_pk_fma_f16 v0, v9, v15, v0 op_sel_hi:[1,0,1]
	v_pk_fma_f16 v43, v9, v15, v43 op_sel:[0,1,0]
	v_pk_fma_f16 v44, v9, v16, v44 op_sel_hi:[1,0,1]
	v_pk_fma_f16 v45, v9, v16, v45 op_sel:[0,1,0]
	;; [unrolled: 2-line block ×8, first 2 shown]
	ds_load_2addr_b64 v[9:12], v1 offset0:128 offset1:160
	ds_load_b128 v[13:16], v41 offset:34128
	s_waitcnt lgkmcnt(0)
	v_pk_fma_f16 v0, v9, v13, v0 op_sel_hi:[1,0,1]
	v_pk_fma_f16 v43, v9, v13, v43 op_sel:[0,1,0]
	v_pk_fma_f16 v44, v9, v14, v44 op_sel_hi:[1,0,1]
	v_pk_fma_f16 v45, v9, v14, v45 op_sel:[0,1,0]
	;; [unrolled: 2-line block ×8, first 2 shown]
	ds_load_2addr_b64 v[9:12], v1 offset0:192 offset1:224
	s_waitcnt lgkmcnt(0)
	v_pk_fma_f16 v0, v9, v15, v0 op_sel_hi:[1,0,1]
	v_pk_fma_f16 v1, v9, v15, v43 op_sel:[0,1,0]
	v_pk_fma_f16 v43, v9, v16, v44 op_sel_hi:[1,0,1]
	v_pk_fma_f16 v44, v9, v16, v45 op_sel:[0,1,0]
	;; [unrolled: 2-line block ×8, first 2 shown]
	ds_load_2addr_b64 v[9:12], v2 offset1:32
	ds_load_b128 v[13:16], v41 offset:34144
	s_waitcnt lgkmcnt(0)
	v_pk_fma_f16 v0, v9, v13, v0 op_sel_hi:[1,0,1]
	v_pk_fma_f16 v1, v9, v13, v1 op_sel:[0,1,0]
	v_pk_fma_f16 v43, v9, v14, v43 op_sel_hi:[1,0,1]
	v_pk_fma_f16 v44, v9, v14, v44 op_sel:[0,1,0]
	;; [unrolled: 2-line block ×8, first 2 shown]
	ds_load_2addr_b64 v[9:12], v2 offset0:64 offset1:96
	s_waitcnt lgkmcnt(0)
	v_pk_fma_f16 v0, v9, v15, v0 op_sel_hi:[1,0,1]
	v_pk_fma_f16 v1, v9, v15, v1 op_sel:[0,1,0]
	v_pk_fma_f16 v43, v9, v16, v43 op_sel_hi:[1,0,1]
	v_pk_fma_f16 v44, v9, v16, v44 op_sel:[0,1,0]
	;; [unrolled: 2-line block ×8, first 2 shown]
	ds_load_2addr_b64 v[9:12], v2 offset0:128 offset1:160
	ds_load_b128 v[13:16], v41 offset:34160
	s_waitcnt lgkmcnt(0)
	v_pk_fma_f16 v0, v9, v13, v0 op_sel_hi:[1,0,1]
	v_pk_fma_f16 v1, v9, v13, v1 op_sel:[0,1,0]
	v_pk_fma_f16 v43, v9, v14, v43 op_sel_hi:[1,0,1]
	v_pk_fma_f16 v44, v9, v14, v44 op_sel:[0,1,0]
	;; [unrolled: 2-line block ×8, first 2 shown]
	ds_load_2addr_b64 v[9:12], v2 offset0:192 offset1:224
	s_waitcnt lgkmcnt(0)
	v_pk_fma_f16 v0, v9, v15, v0 op_sel_hi:[1,0,1]
	v_pk_fma_f16 v1, v9, v15, v1 op_sel:[0,1,0]
	v_pk_fma_f16 v2, v9, v16, v43 op_sel_hi:[1,0,1]
	v_pk_fma_f16 v43, v9, v16, v44 op_sel:[0,1,0]
	v_pk_fma_f16 v44, v10, v15, v45 op_sel_hi:[1,0,1]
	v_pk_fma_f16 v45, v10, v15, v47 op_sel:[0,1,0]
	v_pk_fma_f16 v47, v10, v16, v51 op_sel_hi:[1,0,1]
	v_pk_fma_f16 v51, v10, v16, v52 op_sel:[0,1,0]
	v_pk_fma_f16 v52, v11, v15, v53 op_sel_hi:[1,0,1]
	v_pk_fma_f16 v53, v11, v15, v54 op_sel:[0,1,0]
	v_pk_fma_f16 v54, v11, v16, v55 op_sel_hi:[1,0,1]
	v_pk_fma_f16 v55, v11, v16, v56 op_sel:[0,1,0]
	v_pk_fma_f16 v56, v12, v15, v57 op_sel_hi:[1,0,1]
	v_pk_fma_f16 v57, v12, v15, v13 op_sel:[0,1,0]
	v_pk_fma_f16 v58, v12, v16, v58 op_sel_hi:[1,0,1]
	v_pk_fma_f16 v59, v12, v16, v14 op_sel:[0,1,0]
	ds_load_2addr_b64 v[9:12], v3 offset1:32
	ds_load_b128 v[13:16], v41 offset:34176
	s_waitcnt lgkmcnt(0)
	v_pk_fma_f16 v0, v9, v13, v0 op_sel_hi:[1,0,1]
	v_pk_fma_f16 v1, v9, v13, v1 op_sel:[0,1,0]
	v_pk_fma_f16 v2, v9, v14, v2 op_sel_hi:[1,0,1]
	v_pk_fma_f16 v43, v9, v14, v43 op_sel:[0,1,0]
	;; [unrolled: 2-line block ×8, first 2 shown]
	ds_load_2addr_b64 v[9:12], v3 offset0:64 offset1:96
	s_waitcnt lgkmcnt(0)
	v_pk_fma_f16 v0, v9, v15, v0 op_sel_hi:[1,0,1]
	v_pk_fma_f16 v1, v9, v15, v1 op_sel:[0,1,0]
	v_pk_fma_f16 v2, v9, v16, v2 op_sel_hi:[1,0,1]
	v_pk_fma_f16 v43, v9, v16, v43 op_sel:[0,1,0]
	v_pk_fma_f16 v44, v10, v15, v44 op_sel_hi:[1,0,1]
	v_pk_fma_f16 v45, v10, v15, v45 op_sel:[0,1,0]
	v_pk_fma_f16 v47, v10, v16, v47 op_sel_hi:[1,0,1]
	v_pk_fma_f16 v51, v10, v16, v51 op_sel:[0,1,0]
	v_pk_fma_f16 v52, v11, v15, v52 op_sel_hi:[1,0,1]
	v_pk_fma_f16 v53, v11, v15, v53 op_sel:[0,1,0]
	v_pk_fma_f16 v54, v11, v16, v54 op_sel_hi:[1,0,1]
	v_pk_fma_f16 v55, v11, v16, v55 op_sel:[0,1,0]
	v_pk_fma_f16 v56, v12, v15, v56 op_sel_hi:[1,0,1]
	v_pk_fma_f16 v58, v12, v15, v13 op_sel:[0,1,0]
	v_pk_fma_f16 v57, v12, v16, v57 op_sel_hi:[1,0,1]
	v_pk_fma_f16 v59, v12, v16, v14 op_sel:[0,1,0]
	ds_load_2addr_b64 v[9:12], v3 offset0:128 offset1:160
	ds_load_b128 v[13:16], v41 offset:34192
	s_waitcnt lgkmcnt(0)
	v_pk_fma_f16 v61, v9, v13, v0 op_sel_hi:[1,0,1]
	v_pk_fma_f16 v62, v9, v13, v1 op_sel:[0,1,0]
	v_pk_fma_f16 v63, v9, v14, v2 op_sel_hi:[1,0,1]
	ds_load_2addr_b64 v[0:3], v3 offset0:192 offset1:224
	v_pk_fma_f16 v9, v9, v14, v43 op_sel:[0,1,0]
	v_pk_fma_f16 v43, v10, v13, v44 op_sel_hi:[1,0,1]
	v_pk_fma_f16 v44, v10, v13, v45 op_sel:[0,1,0]
	v_pk_fma_f16 v45, v10, v14, v47 op_sel_hi:[1,0,1]
	;; [unrolled: 2-line block ×6, first 2 shown]
	v_pk_fma_f16 v12, v12, v14, v59 op_sel:[0,1,0]
	s_waitcnt lgkmcnt(0)
	v_pk_fma_f16 v14, v0, v15, v61 op_sel_hi:[1,0,1]
	v_pk_fma_f16 v55, v0, v15, v62 op_sel:[0,1,0]
	v_pk_fma_f16 v56, v0, v16, v63 op_sel_hi:[1,0,1]
	v_pk_fma_f16 v57, v0, v16, v9 op_sel:[0,1,0]
	v_pk_fma_f16 v43, v1, v15, v43 op_sel_hi:[1,0,1]
	v_pk_fma_f16 v44, v1, v15, v44 op_sel:[0,1,0]
	v_pk_fma_f16 v45, v1, v16, v45 op_sel_hi:[1,0,1]
	v_pk_fma_f16 v58, v1, v16, v10 op_sel:[0,1,0]
	v_pk_fma_f16 v47, v2, v15, v47 op_sel_hi:[1,0,1]
	v_pk_fma_f16 v51, v2, v15, v51 op_sel:[0,1,0]
	v_pk_fma_f16 v52, v2, v16, v52 op_sel_hi:[1,0,1]
	v_pk_fma_f16 v59, v2, v16, v11 op_sel:[0,1,0]
	v_pk_fma_f16 v53, v3, v15, v53 op_sel_hi:[1,0,1]
	v_pk_fma_f16 v13, v3, v15, v13 op_sel:[0,1,0]
	v_pk_fma_f16 v15, v3, v16, v54 op_sel_hi:[1,0,1]
	v_pk_fma_f16 v16, v3, v16, v12 op_sel:[0,1,0]
	ds_load_2addr_b64 v[0:3], v46 offset1:32
	ds_load_b128 v[9:12], v41 offset:34208
	s_waitcnt lgkmcnt(0)
	v_pk_fma_f16 v14, v0, v9, v14 op_sel_hi:[1,0,1]
	v_pk_fma_f16 v54, v0, v9, v55 op_sel:[0,1,0]
	v_pk_fma_f16 v55, v0, v10, v56 op_sel_hi:[1,0,1]
	v_pk_fma_f16 v56, v0, v10, v57 op_sel:[0,1,0]
	;; [unrolled: 2-line block ×8, first 2 shown]
	ds_load_2addr_b64 v[0:3], v46 offset0:64 offset1:96
	s_waitcnt lgkmcnt(0)
	v_pk_fma_f16 v14, v0, v11, v14 op_sel_hi:[1,0,1]
	v_pk_fma_f16 v15, v0, v11, v54 op_sel:[0,1,0]
	v_pk_fma_f16 v16, v0, v12, v55 op_sel_hi:[1,0,1]
	v_pk_fma_f16 v54, v0, v12, v56 op_sel:[0,1,0]
	;; [unrolled: 2-line block ×8, first 2 shown]
	ds_load_2addr_b64 v[0:3], v46 offset0:128 offset1:160
	ds_load_b128 v[9:12], v41 offset:34224
	s_waitcnt lgkmcnt(0)
	v_pk_fma_f16 v14, v0, v9, v14 op_sel_hi:[1,0,1]
	v_pk_fma_f16 v15, v0, v9, v15 op_sel:[0,1,0]
	v_pk_fma_f16 v16, v0, v10, v16 op_sel_hi:[1,0,1]
	v_pk_fma_f16 v54, v0, v10, v54 op_sel:[0,1,0]
	;; [unrolled: 2-line block ×8, first 2 shown]
	ds_load_2addr_b64 v[0:3], v46 offset0:192 offset1:224
	s_waitcnt lgkmcnt(0)
	v_pk_fma_f16 v14, v0, v11, v14 op_sel_hi:[1,0,1]
	v_pk_fma_f16 v15, v0, v11, v15 op_sel:[0,1,0]
	v_pk_fma_f16 v16, v0, v12, v16 op_sel_hi:[1,0,1]
	v_pk_fma_f16 v46, v0, v12, v54 op_sel:[0,1,0]
	;; [unrolled: 2-line block ×8, first 2 shown]
	ds_load_2addr_b64 v[0:3], v49 offset1:32
	ds_load_b128 v[9:12], v41 offset:34240
	s_waitcnt lgkmcnt(0)
	v_pk_fma_f16 v14, v0, v9, v14 op_sel_hi:[1,0,1]
	v_pk_fma_f16 v15, v0, v9, v15 op_sel:[0,1,0]
	v_pk_fma_f16 v16, v0, v10, v16 op_sel_hi:[1,0,1]
	v_pk_fma_f16 v46, v0, v10, v46 op_sel:[0,1,0]
	;; [unrolled: 2-line block ×8, first 2 shown]
	ds_load_2addr_b64 v[0:3], v49 offset0:64 offset1:96
	s_waitcnt lgkmcnt(0)
	v_pk_fma_f16 v14, v0, v11, v14 op_sel_hi:[1,0,1]
	v_pk_fma_f16 v15, v0, v11, v15 op_sel:[0,1,0]
	v_pk_fma_f16 v16, v0, v12, v16 op_sel_hi:[1,0,1]
	v_pk_fma_f16 v46, v0, v12, v46 op_sel:[0,1,0]
	;; [unrolled: 2-line block ×8, first 2 shown]
	ds_load_2addr_b64 v[0:3], v49 offset0:128 offset1:160
	ds_load_b128 v[9:12], v41 offset:34256
	s_waitcnt lgkmcnt(0)
	v_pk_fma_f16 v14, v0, v9, v14 op_sel_hi:[1,0,1]
	v_pk_fma_f16 v15, v0, v9, v15 op_sel:[0,1,0]
	v_pk_fma_f16 v16, v0, v10, v16 op_sel_hi:[1,0,1]
	v_pk_fma_f16 v46, v0, v10, v46 op_sel:[0,1,0]
	;; [unrolled: 2-line block ×8, first 2 shown]
	ds_load_2addr_b64 v[0:3], v49 offset0:192 offset1:224
	s_waitcnt lgkmcnt(0)
	v_pk_fma_f16 v14, v0, v11, v14 op_sel_hi:[1,0,1]
	v_pk_fma_f16 v15, v0, v11, v15 op_sel:[0,1,0]
	v_pk_fma_f16 v16, v0, v12, v16 op_sel_hi:[1,0,1]
	v_pk_fma_f16 v46, v0, v12, v46 op_sel:[0,1,0]
	;; [unrolled: 2-line block ×8, first 2 shown]
	ds_load_2addr_b64 v[0:3], v50 offset1:32
	ds_load_b128 v[9:12], v41 offset:34272
	s_waitcnt lgkmcnt(0)
	v_pk_fma_f16 v14, v0, v9, v14 op_sel_hi:[1,0,1]
	v_pk_fma_f16 v15, v0, v9, v15 op_sel:[0,1,0]
	v_pk_fma_f16 v16, v0, v10, v16 op_sel_hi:[1,0,1]
	v_pk_fma_f16 v46, v0, v10, v46 op_sel:[0,1,0]
	;; [unrolled: 2-line block ×8, first 2 shown]
	ds_load_2addr_b64 v[0:3], v50 offset0:64 offset1:96
	s_waitcnt lgkmcnt(0)
	v_pk_fma_f16 v14, v0, v11, v14 op_sel_hi:[1,0,1]
	v_pk_fma_f16 v15, v0, v11, v15 op_sel:[0,1,0]
	v_pk_fma_f16 v16, v0, v12, v16 op_sel_hi:[1,0,1]
	v_pk_fma_f16 v46, v0, v12, v46 op_sel:[0,1,0]
	;; [unrolled: 2-line block ×8, first 2 shown]
	ds_load_b128 v[0:3], v41 offset:34288
	ds_load_2addr_b64 v[9:12], v50 offset0:128 offset1:160
	s_waitcnt lgkmcnt(0)
	v_pk_fma_f16 v14, v9, v0, v14 op_sel_hi:[1,0,1]
	v_pk_fma_f16 v15, v9, v0, v15 op_sel:[0,1,0]
	v_pk_fma_f16 v16, v9, v1, v16 op_sel_hi:[1,0,1]
	v_pk_fma_f16 v41, v9, v1, v46 op_sel:[0,1,0]
	;; [unrolled: 2-line block ×8, first 2 shown]
	ds_load_2addr_b64 v[9:12], v50 offset0:192 offset1:224
	s_waitcnt lgkmcnt(0)
	s_barrier
	buffer_gl0_inv
	v_pk_fma_f16 v57, v9, v2, v14 op_sel_hi:[1,0,1]
	v_pk_fma_f16 v53, v9, v2, v15 op_sel:[0,1,0]
	v_pk_fma_f16 v65, v10, v2, v43 op_sel_hi:[1,0,1]
	v_pk_fma_f16 v61, v10, v2, v44 op_sel:[0,1,0]
	v_pk_fma_f16 v52, v10, v3, v49 op_sel:[0,1,0]
	v_pk_fma_f16 v63, v11, v2, v47 op_sel_hi:[1,0,1]
	v_pk_fma_f16 v58, v11, v2, v58 op_sel:[0,1,0]
	v_pk_fma_f16 v54, v11, v3, v59 op_sel_hi:[1,0,1]
	v_pk_fma_f16 v64, v12, v2, v64 op_sel_hi:[1,0,1]
	v_pk_fma_f16 v59, v12, v2, v0 op_sel:[0,1,0]
	v_pk_fma_f16 v49, v12, v3, v1 op_sel:[0,1,0]
	v_dual_add_f32 v1, v20, v48 :: v_dual_add_f32 v2, v19, v30
	v_pk_fma_f16 v46, v9, v3, v16 op_sel_hi:[1,0,1]
	v_pk_fma_f16 v51, v9, v3, v41 op_sel:[0,1,0]
	s_delay_alu instid0(VALU_DEP_3) | instskip(NEXT) | instid1(VALU_DEP_4)
	v_dual_add_f32 v0, v27, v60 :: v_dual_fmac_f32 v1, v70, v18
	v_fmac_f32_e32 v2, v69, v17
	v_add_f32_e32 v9, v28, v29
	v_pk_fma_f16 v56, v10, v3, v45 op_sel_hi:[1,0,1]
	v_pk_fma_f16 v50, v11, v3, v62 op_sel:[0,1,0]
	v_pk_fma_f16 v55, v12, v3, v13 op_sel_hi:[1,0,1]
	v_mov_b32_e32 v69, v2
	v_dual_fmac_f32 v9, v72, v4 :: v_dual_mov_b32 v70, v1
	v_dual_mov_b32 v1, v5 :: v_dual_fmac_f32 v0, v71, v78
	v_dual_mov_b32 v2, v6 :: v_dual_mov_b32 v3, v7
	v_dual_mov_b32 v4, v8 :: v_dual_mov_b32 v5, v42
	s_delay_alu instid0(VALU_DEP_3)
	v_dual_mov_b32 v71, v0 :: v_dual_mov_b32 v72, v9
.LBB42_71:
	v_cmp_lt_i32_e32 vcc_lo, v26, v25
	s_cmp_eq_u64 s[24:25], 0
	s_cselect_b32 s0, -1, 0
	s_cmp_lg_u32 s14, 0
	v_cndmask_b32_e32 v0, v5, v26, vcc_lo
	v_cmp_lt_i32_e32 vcc_lo, v24, v25
	s_cselect_b32 s1, -1, 0
	s_delay_alu instid0(SALU_CYCLE_1) | instskip(SKIP_2) | instid1(VALU_DEP_2)
	s_or_b32 s0, s1, s0
	v_cndmask_b32_e32 v9, v5, v24, vcc_lo
	v_cmp_lt_i32_e32 vcc_lo, v23, v25
	v_lshlrev_b32_e32 v9, 2, v9
	v_dual_cndmask_b32 v13, v5, v23 :: v_dual_lshlrev_b32 v0, 2, v0
	v_cmp_lt_i32_e32 vcc_lo, v22, v25
	ds_bpermute_b32 v7, v0, v70
	v_lshlrev_b32_e32 v13, 2, v13
	s_waitcnt lgkmcnt(0)
	v_add_f32_e32 v7, v70, v7
	ds_bpermute_b32 v6, v0, v71
	ds_bpermute_b32 v8, v0, v69
	ds_bpermute_b32 v0, v0, v72
	ds_bpermute_b32 v11, v9, v7
	s_waitcnt lgkmcnt(3)
	v_add_f32_e32 v6, v71, v6
	s_waitcnt lgkmcnt(2)
	v_add_f32_e32 v8, v69, v8
	s_waitcnt lgkmcnt(0)
	v_dual_add_f32 v0, v72, v0 :: v_dual_add_f32 v7, v7, v11
	ds_bpermute_b32 v10, v9, v6
	ds_bpermute_b32 v12, v9, v8
	;; [unrolled: 1-line block ×3, first 2 shown]
	s_waitcnt lgkmcnt(2)
	v_add_f32_e32 v6, v6, v10
	s_waitcnt lgkmcnt(1)
	v_add_f32_e32 v8, v8, v12
	ds_bpermute_b32 v10, v13, v7
	s_waitcnt lgkmcnt(1)
	v_add_f32_e32 v0, v0, v9
	ds_bpermute_b32 v9, v13, v6
	ds_bpermute_b32 v11, v13, v8
	s_waitcnt lgkmcnt(2)
	v_add_f32_e32 v7, v7, v10
	ds_bpermute_b32 v12, v13, v0
	v_cndmask_b32_e32 v13, v5, v22, vcc_lo
	v_cmp_lt_i32_e32 vcc_lo, v21, v25
	s_waitcnt lgkmcnt(1)
	s_delay_alu instid0(VALU_DEP_2)
	v_dual_add_f32 v8, v8, v11 :: v_dual_lshlrev_b32 v13, 2, v13
	v_cndmask_b32_e32 v5, v5, v21, vcc_lo
	s_and_b32 vcc_lo, exec_lo, s0
	ds_bpermute_b32 v10, v13, v7
	v_add_f32_e32 v6, v6, v9
	ds_bpermute_b32 v11, v13, v8
	s_waitcnt lgkmcnt(2)
	v_dual_add_f32 v0, v0, v12 :: v_dual_lshlrev_b32 v5, 2, v5
	ds_bpermute_b32 v12, v13, v0
	s_waitcnt lgkmcnt(2)
	v_add_f32_e32 v7, v7, v10
	ds_bpermute_b32 v9, v13, v6
	s_waitcnt lgkmcnt(2)
	v_add_f32_e32 v8, v8, v11
	ds_bpermute_b32 v10, v5, v7
	ds_bpermute_b32 v11, v5, v8
	s_waitcnt lgkmcnt(2)
	v_add_f32_e32 v6, v6, v9
	ds_bpermute_b32 v9, v5, v6
	v_add_f32_e32 v0, v0, v12
	ds_bpermute_b32 v12, v5, v0
	s_waitcnt lgkmcnt(1)
	v_dual_add_f32 v5, v6, v9 :: v_dual_add_f32 v6, v7, v10
	v_add_f32_e32 v7, v8, v11
	s_waitcnt lgkmcnt(0)
	v_add_f32_e32 v8, v0, v12
	s_cbranch_vccnz .LBB42_74
; %bb.72:
	s_lshl_b64 s[0:1], s[34:35], 2
	v_dual_mov_b32 v0, 0 :: v_dual_max_f32 v9, v1, v1
	s_add_u32 s0, s24, s0
	s_addc_u32 s1, s25, s1
	v_max_f32_e32 v11, v2, v2
	global_load_b32 v0, v0, s[0:1]
	s_waitcnt vmcnt(0)
	v_max_f32_e32 v10, v0, v0
	s_delay_alu instid0(VALU_DEP_1) | instskip(SKIP_1) | instid1(VALU_DEP_2)
	v_dual_max_f32 v12, v3, v3 :: v_dual_max_f32 v13, v9, v10
	v_max_f32_e32 v16, v4, v4
	v_dual_max_f32 v14, v11, v10 :: v_dual_sub_f32 v9, v0, v13
	v_sub_f32_e32 v1, v1, v13
	s_delay_alu instid0(VALU_DEP_4) | instskip(NEXT) | instid1(VALU_DEP_3)
	v_max_f32_e32 v15, v12, v10
	v_mul_f32_e32 v17, 0x3fb8aa3b, v9
	s_delay_alu instid0(VALU_DEP_3) | instskip(NEXT) | instid1(VALU_DEP_3)
	v_mul_f32_e32 v12, 0x3fb8aa3b, v1
	v_dual_max_f32 v16, v16, v10 :: v_dual_sub_f32 v3, v3, v15
	v_dual_sub_f32 v2, v2, v14 :: v_dual_sub_f32 v11, v0, v15
	v_sub_f32_e32 v10, v0, v14
	s_delay_alu instid0(VALU_DEP_3) | instskip(SKIP_4) | instid1(VALU_DEP_4)
	v_sub_f32_e32 v4, v4, v16
	v_sub_f32_e32 v0, v0, v16
	v_fma_f32 v24, 0x3fb8aa3b, v1, -v12
	v_dual_mul_f32 v21, 0x3fb8aa3b, v11 :: v_dual_mul_f32 v18, 0x3fb8aa3b, v2
	v_mul_f32_e32 v19, 0x3fb8aa3b, v10
	v_mul_f32_e32 v23, 0x3fb8aa3b, v0
	v_rndne_f32_e32 v25, v12
	v_rndne_f32_e32 v27, v17
	v_mul_f32_e32 v22, 0x3fb8aa3b, v4
	v_fma_f32 v28, 0x3fb8aa3b, v2, -v18
	v_fma_f32 v44, 0x3fb8aa3b, v11, -v21
	v_rndne_f32_e32 v45, v21
	v_fma_f32 v26, 0x3fb8aa3b, v9, -v17
	v_sub_f32_e32 v17, v17, v27
	v_fma_f32 v30, 0x3fb8aa3b, v10, -v19
	v_rndne_f32_e32 v41, v19
	v_fma_f32 v47, 0x3fb8aa3b, v4, -v22
	v_rndne_f32_e32 v62, v23
	v_fmac_f32_e32 v24, 0x32a5705f, v1
	v_sub_f32_e32 v12, v12, v25
	v_dual_fmac_f32 v28, 0x32a5705f, v2 :: v_dual_sub_f32 v21, v21, v45
	v_fmac_f32_e32 v44, 0x32a5705f, v11
	v_dual_mul_f32 v20, 0x3fb8aa3b, v3 :: v_dual_sub_f32 v19, v19, v41
	v_rndne_f32_e32 v29, v18
	v_fma_f32 v60, 0x3fb8aa3b, v0, -v23
	s_delay_alu instid0(VALU_DEP_4) | instskip(SKIP_2) | instid1(VALU_DEP_3)
	v_dual_fmac_f32 v30, 0x32a5705f, v10 :: v_dual_add_f32 v21, v21, v44
	v_dual_fmac_f32 v26, 0x32a5705f, v9 :: v_dual_fmac_f32 v47, 0x32a5705f, v4
	v_sub_f32_e32 v23, v23, v62
	v_dual_add_f32 v19, v19, v30 :: v_dual_add_f32 v12, v12, v24
	s_delay_alu instid0(VALU_DEP_3) | instskip(SKIP_2) | instid1(VALU_DEP_4)
	v_dual_sub_f32 v18, v18, v29 :: v_dual_add_f32 v17, v17, v26
	v_cvt_i32_f32_e32 v25, v25
	v_fma_f32 v42, 0x3fb8aa3b, v3, -v20
	v_exp_f32_e32 v12, v12
	v_rndne_f32_e32 v43, v20
	v_exp_f32_e32 v17, v17
	v_cvt_i32_f32_e32 v27, v27
	v_add_f32_e32 v18, v18, v28
	v_cmp_ngt_f32_e32 vcc_lo, 0xc2ce8ed0, v1
	v_fmac_f32_e32 v60, 0x32a5705f, v0
	v_fmac_f32_e32 v42, 0x32a5705f, v3
	v_cvt_i32_f32_e32 v29, v29
	v_exp_f32_e32 v18, v18
	v_ldexp_f32 v12, v12, v25
	v_add_f32_e32 v23, v23, v60
	v_ldexp_f32 v17, v17, v27
	v_exp_f32_e32 v19, v19
	v_cvt_i32_f32_e32 v41, v41
	v_cndmask_b32_e32 v12, 0, v12, vcc_lo
	v_cmp_ngt_f32_e32 vcc_lo, 0xc2ce8ed0, v9
	v_sub_f32_e32 v20, v20, v43
	v_rndne_f32_e32 v48, v22
	v_ldexp_f32 v18, v18, v29
	v_cvt_i32_f32_e32 v43, v43
	s_delay_alu instid0(VALU_DEP_4)
	v_dual_cndmask_b32 v17, 0, v17 :: v_dual_add_f32 v20, v20, v42
	v_cmp_ngt_f32_e32 vcc_lo, 0xc2ce8ed0, v2
	v_ldexp_f32 v19, v19, v41
	v_exp_f32_e32 v21, v21
	v_cvt_i32_f32_e32 v45, v45
	v_exp_f32_e32 v20, v20
	v_cndmask_b32_e32 v18, 0, v18, vcc_lo
	v_cmp_ngt_f32_e32 vcc_lo, 0xc2ce8ed0, v10
	v_sub_f32_e32 v22, v22, v48
	v_exp_f32_e32 v23, v23
	v_cvt_i32_f32_e32 v24, v48
	v_cvt_i32_f32_e32 v26, v62
	v_cndmask_b32_e32 v19, 0, v19, vcc_lo
	v_cmp_ngt_f32_e32 vcc_lo, 0xc2ce8ed0, v3
	v_ldexp_f32 v21, v21, v45
	v_ldexp_f32 v20, v20, v43
	s_delay_alu instid0(TRANS32_DEP_1) | instskip(NEXT) | instid1(VALU_DEP_2)
	v_ldexp_f32 v23, v23, v26
	v_cndmask_b32_e32 v20, 0, v20, vcc_lo
	v_add_f32_e32 v22, v22, v47
	v_cmp_ngt_f32_e32 vcc_lo, 0xc2ce8ed0, v11
	s_delay_alu instid0(VALU_DEP_2) | instskip(SKIP_4) | instid1(VALU_DEP_1)
	v_exp_f32_e32 v22, v22
	v_cndmask_b32_e32 v21, 0, v21, vcc_lo
	v_cmp_ngt_f32_e32 vcc_lo, 0xc2ce8ed0, v4
	s_waitcnt_depctr 0xfff
	v_ldexp_f32 v22, v22, v24
	v_cndmask_b32_e32 v22, 0, v22, vcc_lo
	v_cmp_ngt_f32_e32 vcc_lo, 0xc2ce8ed0, v0
	v_cndmask_b32_e32 v23, 0, v23, vcc_lo
	v_cmp_nlt_f32_e32 vcc_lo, 0x42b17218, v1
	v_cndmask_b32_e32 v1, 0x7f800000, v12, vcc_lo
	v_cmp_nlt_f32_e32 vcc_lo, 0x42b17218, v9
	;; [unrolled: 2-line block ×3, first 2 shown]
	s_delay_alu instid0(VALU_DEP_2) | instskip(SKIP_3) | instid1(VALU_DEP_2)
	v_dual_fmac_f32 v9, v5, v1 :: v_dual_cndmask_b32 v2, 0x7f800000, v18
	v_cmp_nlt_f32_e32 vcc_lo, 0x42b17218, v10
	v_cndmask_b32_e32 v10, 0x7f800000, v19, vcc_lo
	v_cmp_nlt_f32_e32 vcc_lo, 0x42b17218, v3
	v_dual_fmac_f32 v10, v6, v2 :: v_dual_cndmask_b32 v3, 0x7f800000, v20
	v_cmp_nlt_f32_e32 vcc_lo, 0x42b17218, v11
	v_cndmask_b32_e32 v11, 0x7f800000, v21, vcc_lo
	v_cmp_nlt_f32_e32 vcc_lo, 0x42b17218, v4
	s_delay_alu instid0(VALU_DEP_2)
	v_dual_fmac_f32 v11, v7, v3 :: v_dual_cndmask_b32 v4, 0x7f800000, v22
	v_cmp_nlt_f32_e32 vcc_lo, 0x42b17218, v0
	v_cvt_f16_f32_e32 v0, v1
	v_cvt_f16_f32_e32 v1, v2
	;; [unrolled: 1-line block ×4, first 2 shown]
	v_cndmask_b32_e32 v12, 0x7f800000, v23, vcc_lo
	v_pk_mul_f16 v57, v0, v57 op_sel_hi:[0,1]
	v_pk_mul_f16 v53, v1, v53 op_sel_hi:[0,1]
	;; [unrolled: 1-line block ×4, first 2 shown]
	v_fmac_f32_e32 v12, v8, v4
	v_pk_mul_f16 v59, v1, v59 op_sel_hi:[0,1]
	v_pk_mul_f16 v46, v2, v46 op_sel_hi:[0,1]
	;; [unrolled: 1-line block ×9, first 2 shown]
	v_mov_b32_e32 v1, v13
	v_mov_b32_e32 v5, v9
	v_pk_mul_f16 v65, v0, v65 op_sel_hi:[0,1]
	v_pk_mul_f16 v63, v0, v63 op_sel_hi:[0,1]
	;; [unrolled: 1-line block ×3, first 2 shown]
	v_dual_mov_b32 v6, v10 :: v_dual_mov_b32 v7, v11
	v_mov_b32_e32 v8, v12
	v_dual_mov_b32 v2, v14 :: v_dual_mov_b32 v3, v15
	v_mov_b32_e32 v4, v16
	s_mov_b32 s0, exec_lo
	v_cmpx_gt_i32_e64 s38, v39
	s_cbranch_execnz .LBB42_75
.LBB42_73:
	s_nop 0
	s_sendmsg sendmsg(MSG_DEALLOC_VGPRS)
	s_endpgm
.LBB42_74:
	v_dual_mov_b32 v9, v5 :: v_dual_mov_b32 v10, v6
	s_delay_alu instid0(VALU_DEP_2)
	v_dual_mov_b32 v11, v7 :: v_dual_mov_b32 v12, v8
	s_mov_b32 s0, exec_lo
	v_cmpx_gt_i32_e64 s38, v39
	s_cbranch_execz .LBB42_73
.LBB42_75:
	s_load_b32 s1, s[2:3], 0xd4
	v_mov_b32_e32 v0, 1.0
	s_waitcnt lgkmcnt(0)
	s_cmp_lg_u32 s1, 1
	s_cselect_b32 s4, -1, 0
	s_cmp_eq_u32 s1, 1
	s_cselect_b32 s3, -1, 0
	s_and_b32 vcc_lo, exec_lo, s4
	s_cbranch_vccnz .LBB42_77
; %bb.76:
	v_div_scale_f32 v0, null, v9, v9, 1.0
	s_delay_alu instid0(VALU_DEP_1) | instskip(SKIP_2) | instid1(VALU_DEP_1)
	v_rcp_f32_e32 v13, v0
	s_waitcnt_depctr 0xfff
	v_fma_f32 v14, -v0, v13, 1.0
	v_fmac_f32_e32 v13, v14, v13
	v_div_scale_f32 v14, vcc_lo, 1.0, v9, 1.0
	s_delay_alu instid0(VALU_DEP_1) | instskip(NEXT) | instid1(VALU_DEP_1)
	v_mul_f32_e32 v15, v14, v13
	v_fma_f32 v16, -v0, v15, v14
	s_delay_alu instid0(VALU_DEP_1) | instskip(NEXT) | instid1(VALU_DEP_1)
	v_fmac_f32_e32 v15, v16, v13
	v_fma_f32 v0, -v0, v15, v14
	s_delay_alu instid0(VALU_DEP_1) | instskip(NEXT) | instid1(VALU_DEP_1)
	v_div_fmas_f32 v0, v0, v13, v15
	v_div_fixup_f32 v0, v0, v9, 1.0
.LBB42_77:
	s_mul_i32 s2, s33, s38
	v_cvt_f32_f16_e32 v18, v57
	s_add_i32 s2, s2, s11
	v_mov_b32_e32 v23, 0
	v_add_nc_u32_e32 v9, s2, v37
	v_cvt_f32_f16_e32 v24, v63
	v_lshrrev_b32_e32 v17, 16, v57
	v_lshrrev_b32_e32 v19, 16, v64
	v_lshrrev_b32_e32 v21, 16, v63
	v_mad_u64_u32 v[15:16], null, v9, s39, s[34:35]
	v_lshrrev_b32_e32 v9, 16, v65
	v_cvt_f32_f16_e32 v26, v17
	v_cvt_f32_f16_e32 v16, v65
	v_cvt_f32_f16_e32 v19, v19
	v_cvt_f32_f16_e32 v27, v21
	v_cvt_f32_f16_e32 v9, v9
	v_mad_u64_u32 v[13:14], null, s1, v15, s[14:15]
	v_mul_f32_e32 v16, v0, v16
	v_mul_f32_e32 v14, v0, v18
	;; [unrolled: 1-line block ×3, first 2 shown]
	v_cvt_f32_f16_e32 v15, v64
	v_cmp_eq_u32_e32 vcc_lo, 0, v40
	v_mul_f32_e32 v21, v0, v19
	v_lshl_add_u32 v22, v13, 8, v33
	v_mul_f32_e32 v19, v0, v27
	v_mul_f32_e32 v20, v0, v15
	;; [unrolled: 1-line block ×4, first 2 shown]
	v_lshlrev_b64 v[24:25], 2, v[22:23]
	v_add_nc_u32_e32 v22, 0x80, v22
	s_delay_alu instid0(VALU_DEP_1) | instskip(NEXT) | instid1(VALU_DEP_3)
	v_lshlrev_b64 v[22:23], 2, v[22:23]
	v_add_co_u32 v24, s0, s28, v24
	s_delay_alu instid0(VALU_DEP_1) | instskip(NEXT) | instid1(VALU_DEP_3)
	v_add_co_ci_u32_e64 v25, s0, s29, v25, s0
	v_add_co_u32 v22, s0, s28, v22
	s_delay_alu instid0(VALU_DEP_1)
	v_add_co_ci_u32_e64 v23, s0, s29, v23, s0
	s_and_b32 s0, vcc_lo, s4
	s_clause 0x1
	global_store_b128 v[24:25], v[14:17], off
	global_store_b128 v[22:23], v[18:21], off
	s_and_saveexec_b32 s4, s0
	s_cbranch_execz .LBB42_79
; %bb.78:
	v_ashrrev_i32_e32 v14, 31, v13
	v_mov_b32_e32 v0, v1
	v_mov_b32_e32 v1, v5
	s_delay_alu instid0(VALU_DEP_3) | instskip(NEXT) | instid1(VALU_DEP_1)
	v_lshlrev_b64 v[13:14], 3, v[13:14]
	v_add_co_u32 v13, vcc_lo, s30, v13
	s_delay_alu instid0(VALU_DEP_2)
	v_add_co_ci_u32_e32 v14, vcc_lo, s31, v14, vcc_lo
	global_store_b64 v[13:14], v[0:1], off
.LBB42_79:
	s_or_b32 exec_lo, exec_lo, s4
	v_cmp_gt_i32_e32 vcc_lo, s38, v38
	s_and_b32 exec_lo, exec_lo, vcc_lo
	s_cbranch_execz .LBB42_73
; %bb.80:
	v_cndmask_b32_e64 v9, 0, 1, s3
	v_mov_b32_e32 v5, 1.0
	s_and_not1_b32 vcc_lo, exec_lo, s3
	s_cbranch_vccnz .LBB42_82
; %bb.81:
	v_div_scale_f32 v0, null, v10, v10, 1.0
	s_delay_alu instid0(VALU_DEP_1) | instskip(SKIP_2) | instid1(VALU_DEP_1)
	v_rcp_f32_e32 v1, v0
	s_waitcnt_depctr 0xfff
	v_fma_f32 v5, -v0, v1, 1.0
	v_fmac_f32_e32 v1, v5, v1
	v_div_scale_f32 v5, vcc_lo, 1.0, v10, 1.0
	s_delay_alu instid0(VALU_DEP_1) | instskip(NEXT) | instid1(VALU_DEP_1)
	v_mul_f32_e32 v13, v5, v1
	v_fma_f32 v14, -v0, v13, v5
	s_delay_alu instid0(VALU_DEP_1) | instskip(NEXT) | instid1(VALU_DEP_1)
	v_fmac_f32_e32 v13, v14, v1
	v_fma_f32 v0, -v0, v13, v5
	s_delay_alu instid0(VALU_DEP_1) | instskip(NEXT) | instid1(VALU_DEP_1)
	v_div_fmas_f32 v0, v0, v1, v13
	v_div_fixup_f32 v5, v0, v10, 1.0
.LBB42_82:
	v_add_nc_u32_e32 v0, s2, v36
	v_lshrrev_b32_e32 v10, 16, v61
	v_cvt_f32_f16_e32 v17, v53
	v_mov_b32_e32 v22, 0
	v_cvt_f32_f16_e32 v23, v58
	v_mad_u64_u32 v[13:14], null, v0, s39, s[34:35]
	v_cvt_f32_f16_e32 v14, v61
	v_lshrrev_b32_e32 v16, 16, v53
	v_cvt_f32_f16_e32 v10, v10
	v_lshrrev_b32_e32 v18, 16, v59
	v_lshrrev_b32_e32 v20, 16, v58
	v_mul_f32_e32 v15, v5, v14
	v_mad_u64_u32 v[0:1], null, s1, v13, s[14:15]
	v_mul_f32_e32 v13, v5, v17
	v_mul_f32_e32 v17, v5, v23
	v_cvt_f32_f16_e32 v1, v59
	v_cvt_f32_f16_e32 v14, v16
	;; [unrolled: 1-line block ×3, first 2 shown]
	v_mul_f32_e32 v16, v5, v10
	v_lshl_add_u32 v21, v0, 8, v33
	v_mul_f32_e32 v19, v5, v1
	v_cvt_f32_f16_e32 v1, v20
	v_mul_f32_e32 v14, v5, v14
	v_mul_f32_e32 v20, v5, v18
	v_lshlrev_b64 v[23:24], 2, v[21:22]
	v_add_nc_u32_e32 v21, 0x80, v21
	v_mul_f32_e32 v18, v5, v1
	s_delay_alu instid0(VALU_DEP_2) | instskip(NEXT) | instid1(VALU_DEP_4)
	v_lshlrev_b64 v[21:22], 2, v[21:22]
	v_add_co_u32 v23, vcc_lo, s28, v23
	v_add_co_ci_u32_e32 v24, vcc_lo, s29, v24, vcc_lo
	s_delay_alu instid0(VALU_DEP_3) | instskip(NEXT) | instid1(VALU_DEP_4)
	v_add_co_u32 v21, vcc_lo, s28, v21
	v_add_co_ci_u32_e32 v22, vcc_lo, s29, v22, vcc_lo
	s_clause 0x1
	global_store_b128 v[23:24], v[13:16], off
	global_store_b128 v[21:22], v[17:20], off
	s_and_saveexec_b32 s3, s0
	s_cbranch_execz .LBB42_84
; %bb.83:
	v_ashrrev_i32_e32 v1, 31, v0
	v_mov_b32_e32 v5, v2
	s_delay_alu instid0(VALU_DEP_2) | instskip(NEXT) | instid1(VALU_DEP_1)
	v_lshlrev_b64 v[0:1], 3, v[0:1]
	v_add_co_u32 v0, vcc_lo, s30, v0
	s_delay_alu instid0(VALU_DEP_2)
	v_add_co_ci_u32_e32 v1, vcc_lo, s31, v1, vcc_lo
	global_store_b64 v[0:1], v[5:6], off
.LBB42_84:
	s_or_b32 exec_lo, exec_lo, s3
	v_cmp_gt_i32_e32 vcc_lo, s38, v35
	s_and_b32 exec_lo, exec_lo, vcc_lo
	s_cbranch_execz .LBB42_73
; %bb.85:
	v_cmp_ne_u32_e32 vcc_lo, 1, v9
	v_mov_b32_e32 v2, 1.0
	s_cbranch_vccnz .LBB42_87
; %bb.86:
	v_div_scale_f32 v0, null, v11, v11, 1.0
	s_delay_alu instid0(VALU_DEP_1) | instskip(SKIP_2) | instid1(VALU_DEP_1)
	v_rcp_f32_e32 v1, v0
	s_waitcnt_depctr 0xfff
	v_fma_f32 v2, -v0, v1, 1.0
	v_fmac_f32_e32 v1, v2, v1
	v_div_scale_f32 v2, vcc_lo, 1.0, v11, 1.0
	s_delay_alu instid0(VALU_DEP_1) | instskip(NEXT) | instid1(VALU_DEP_1)
	v_mul_f32_e32 v5, v2, v1
	v_fma_f32 v6, -v0, v5, v2
	s_delay_alu instid0(VALU_DEP_1) | instskip(NEXT) | instid1(VALU_DEP_1)
	v_fmac_f32_e32 v5, v6, v1
	v_fma_f32 v0, -v0, v5, v2
	s_delay_alu instid0(VALU_DEP_1) | instskip(NEXT) | instid1(VALU_DEP_1)
	v_div_fmas_f32 v0, v0, v1, v5
	v_div_fixup_f32 v2, v0, v11, 1.0
.LBB42_87:
	v_cvt_f32_f16_e32 v11, v56
	v_add_nc_u32_e32 v0, s2, v34
	v_lshrrev_b32_e32 v10, 16, v56
	v_lshrrev_b32_e32 v13, 16, v46
	v_cvt_f32_f16_e32 v14, v46
	v_mul_f32_e32 v15, v2, v11
	v_mad_u64_u32 v[5:6], null, v0, s39, s[34:35]
	v_mov_b32_e32 v6, 0
	v_lshrrev_b32_e32 v16, 16, v55
	v_lshrrev_b32_e32 v17, 16, v54
	v_cvt_f32_f16_e32 v18, v54
	v_cvt_f32_f16_e32 v20, v10
	v_cvt_f32_f16_e32 v21, v13
	v_mul_f32_e32 v13, v2, v14
	v_mad_u64_u32 v[0:1], null, s1, v5, s[14:15]
	v_cvt_f32_f16_e32 v1, v55
	v_cvt_f32_f16_e32 v22, v16
	v_mul_f32_e32 v14, v2, v21
	v_mul_f32_e32 v16, v2, v20
	s_delay_alu instid0(VALU_DEP_4) | instskip(SKIP_4) | instid1(VALU_DEP_4)
	v_mul_f32_e32 v19, v2, v1
	v_lshl_add_u32 v5, v0, 8, v33
	v_cvt_f32_f16_e32 v1, v17
	v_mul_f32_e32 v17, v2, v18
	v_mul_f32_e32 v20, v2, v22
	v_lshlrev_b64 v[10:11], 2, v[5:6]
	v_add_nc_u32_e32 v5, 0x80, v5
	v_mul_f32_e32 v18, v2, v1
	s_delay_alu instid0(VALU_DEP_2) | instskip(NEXT) | instid1(VALU_DEP_4)
	v_lshlrev_b64 v[1:2], 2, v[5:6]
	v_add_co_u32 v5, vcc_lo, s28, v10
	v_add_co_ci_u32_e32 v6, vcc_lo, s29, v11, vcc_lo
	s_delay_alu instid0(VALU_DEP_3) | instskip(NEXT) | instid1(VALU_DEP_4)
	v_add_co_u32 v1, vcc_lo, s28, v1
	v_add_co_ci_u32_e32 v2, vcc_lo, s29, v2, vcc_lo
	s_clause 0x1
	global_store_b128 v[5:6], v[13:16], off
	global_store_b128 v[1:2], v[17:20], off
	s_and_saveexec_b32 s3, s0
	s_cbranch_execz .LBB42_89
; %bb.88:
	v_ashrrev_i32_e32 v1, 31, v0
	v_mov_b32_e32 v6, v3
	s_delay_alu instid0(VALU_DEP_2) | instskip(NEXT) | instid1(VALU_DEP_1)
	v_lshlrev_b64 v[0:1], 3, v[0:1]
	v_add_co_u32 v0, vcc_lo, s30, v0
	s_delay_alu instid0(VALU_DEP_2)
	v_add_co_ci_u32_e32 v1, vcc_lo, s31, v1, vcc_lo
	global_store_b64 v[0:1], v[6:7], off
.LBB42_89:
	s_or_b32 exec_lo, exec_lo, s3
	v_cmp_gt_i32_e32 vcc_lo, s38, v32
	s_and_b32 exec_lo, exec_lo, vcc_lo
	s_cbranch_execz .LBB42_73
; %bb.90:
	v_cmp_ne_u32_e32 vcc_lo, 1, v9
	v_mov_b32_e32 v2, 1.0
	s_cbranch_vccnz .LBB42_92
; %bb.91:
	v_div_scale_f32 v0, null, v12, v12, 1.0
	s_delay_alu instid0(VALU_DEP_1) | instskip(SKIP_2) | instid1(VALU_DEP_1)
	v_rcp_f32_e32 v1, v0
	s_waitcnt_depctr 0xfff
	v_fma_f32 v2, -v0, v1, 1.0
	v_fmac_f32_e32 v1, v2, v1
	v_div_scale_f32 v2, vcc_lo, 1.0, v12, 1.0
	s_delay_alu instid0(VALU_DEP_1) | instskip(NEXT) | instid1(VALU_DEP_1)
	v_mul_f32_e32 v3, v2, v1
	v_fma_f32 v5, -v0, v3, v2
	s_delay_alu instid0(VALU_DEP_1) | instskip(NEXT) | instid1(VALU_DEP_1)
	v_fmac_f32_e32 v3, v5, v1
	v_fma_f32 v0, -v0, v3, v2
	s_delay_alu instid0(VALU_DEP_1) | instskip(NEXT) | instid1(VALU_DEP_1)
	v_div_fmas_f32 v0, v0, v1, v3
	v_div_fixup_f32 v2, v0, v12, 1.0
.LBB42_92:
	v_cvt_f32_f16_e32 v7, v52
	v_lshrrev_b32_e32 v9, 16, v51
	v_cvt_f32_f16_e32 v10, v51
	v_add_nc_u32_e32 v0, s2, v31
	v_lshrrev_b32_e32 v3, 16, v52
	v_mul_f32_e32 v11, v2, v7
	v_cvt_f32_f16_e32 v7, v9
	v_mul_f32_e32 v9, v2, v10
	v_mad_u64_u32 v[5:6], null, v0, s39, s[34:35]
	v_lshrrev_b32_e32 v12, 16, v49
	v_lshrrev_b32_e32 v13, 16, v50
	v_cvt_f32_f16_e32 v14, v50
	v_cvt_f32_f16_e32 v3, v3
	v_mul_f32_e32 v10, v2, v7
	v_cvt_f32_f16_e32 v16, v12
	v_mad_u64_u32 v[0:1], null, s1, v5, s[14:15]
	v_cvt_f32_f16_e32 v1, v49
	v_mov_b32_e32 v6, 0
	s_delay_alu instid0(VALU_DEP_4) | instskip(SKIP_1) | instid1(VALU_DEP_4)
	v_mul_f32_e32 v16, v2, v16
	v_mul_f32_e32 v12, v2, v3
	;; [unrolled: 1-line block ×3, first 2 shown]
	v_lshl_add_u32 v5, v0, 8, v33
	v_cvt_f32_f16_e32 v1, v13
	v_mul_f32_e32 v13, v2, v14
	s_delay_alu instid0(VALU_DEP_3) | instskip(SKIP_1) | instid1(VALU_DEP_4)
	v_lshlrev_b64 v[17:18], 2, v[5:6]
	v_add_nc_u32_e32 v5, 0x80, v5
	v_mul_f32_e32 v14, v2, v1
	s_delay_alu instid0(VALU_DEP_2) | instskip(NEXT) | instid1(VALU_DEP_4)
	v_lshlrev_b64 v[1:2], 2, v[5:6]
	v_add_co_u32 v5, vcc_lo, s28, v17
	v_add_co_ci_u32_e32 v6, vcc_lo, s29, v18, vcc_lo
	s_delay_alu instid0(VALU_DEP_3) | instskip(NEXT) | instid1(VALU_DEP_4)
	v_add_co_u32 v1, vcc_lo, s28, v1
	v_add_co_ci_u32_e32 v2, vcc_lo, s29, v2, vcc_lo
	s_clause 0x1
	global_store_b128 v[5:6], v[9:12], off
	global_store_b128 v[1:2], v[13:16], off
	s_and_b32 exec_lo, exec_lo, s0
	s_cbranch_execz .LBB42_73
; %bb.93:
	v_ashrrev_i32_e32 v1, 31, v0
	v_mov_b32_e32 v7, v4
	s_delay_alu instid0(VALU_DEP_2) | instskip(NEXT) | instid1(VALU_DEP_1)
	v_lshlrev_b64 v[0:1], 3, v[0:1]
	v_add_co_u32 v0, vcc_lo, s30, v0
	s_delay_alu instid0(VALU_DEP_2)
	v_add_co_ci_u32_e32 v1, vcc_lo, s31, v1, vcc_lo
	global_store_b64 v[0:1], v[7:8], off
	s_nop 0
	s_sendmsg sendmsg(MSG_DEALLOC_VGPRS)
	s_endpgm
	.section	.rodata,"a",@progbits
	.p2align	6, 0x0
	.amdhsa_kernel _ZL15flash_attn_tileILi256ELi256ELi32ELi1ELb0EEvPKcS1_S1_S1_S1_PKiPfP15HIP_vector_typeIfLj2EEffffjfiS5_IjLj3EEiiiiiiiiiiiliiliiiiil
		.amdhsa_group_segment_fixed_size 41984
		.amdhsa_private_segment_fixed_size 32
		.amdhsa_kernarg_size 464
		.amdhsa_user_sgpr_count 13
		.amdhsa_user_sgpr_dispatch_ptr 1
		.amdhsa_user_sgpr_queue_ptr 0
		.amdhsa_user_sgpr_kernarg_segment_ptr 1
		.amdhsa_user_sgpr_dispatch_id 0
		.amdhsa_user_sgpr_private_segment_size 0
		.amdhsa_wavefront_size32 1
		.amdhsa_uses_dynamic_stack 0
		.amdhsa_enable_private_segment 1
		.amdhsa_system_sgpr_workgroup_id_x 1
		.amdhsa_system_sgpr_workgroup_id_y 1
		.amdhsa_system_sgpr_workgroup_id_z 1
		.amdhsa_system_sgpr_workgroup_info 0
		.amdhsa_system_vgpr_workitem_id 2
		.amdhsa_next_free_vgpr 232
		.amdhsa_next_free_sgpr 50
		.amdhsa_reserve_vcc 1
		.amdhsa_float_round_mode_32 0
		.amdhsa_float_round_mode_16_64 0
		.amdhsa_float_denorm_mode_32 3
		.amdhsa_float_denorm_mode_16_64 3
		.amdhsa_dx10_clamp 1
		.amdhsa_ieee_mode 1
		.amdhsa_fp16_overflow 0
		.amdhsa_workgroup_processor_mode 1
		.amdhsa_memory_ordered 1
		.amdhsa_forward_progress 0
		.amdhsa_shared_vgpr_count 0
		.amdhsa_exception_fp_ieee_invalid_op 0
		.amdhsa_exception_fp_denorm_src 0
		.amdhsa_exception_fp_ieee_div_zero 0
		.amdhsa_exception_fp_ieee_overflow 0
		.amdhsa_exception_fp_ieee_underflow 0
		.amdhsa_exception_fp_ieee_inexact 0
		.amdhsa_exception_int_div_zero 0
	.end_amdhsa_kernel
	.section	.text._ZL15flash_attn_tileILi256ELi256ELi32ELi1ELb0EEvPKcS1_S1_S1_S1_PKiPfP15HIP_vector_typeIfLj2EEffffjfiS5_IjLj3EEiiiiiiiiiiiliiliiiiil,"axG",@progbits,_ZL15flash_attn_tileILi256ELi256ELi32ELi1ELb0EEvPKcS1_S1_S1_S1_PKiPfP15HIP_vector_typeIfLj2EEffffjfiS5_IjLj3EEiiiiiiiiiiiliiliiiiil,comdat
.Lfunc_end42:
	.size	_ZL15flash_attn_tileILi256ELi256ELi32ELi1ELb0EEvPKcS1_S1_S1_S1_PKiPfP15HIP_vector_typeIfLj2EEffffjfiS5_IjLj3EEiiiiiiiiiiiliiliiiiil, .Lfunc_end42-_ZL15flash_attn_tileILi256ELi256ELi32ELi1ELb0EEvPKcS1_S1_S1_S1_PKiPfP15HIP_vector_typeIfLj2EEffffjfiS5_IjLj3EEiiiiiiiiiiiliiliiiiil
                                        ; -- End function
	.section	.AMDGPU.csdata,"",@progbits
; Kernel info:
; codeLenInByte = 79640
; NumSgprs: 52
; NumVgprs: 232
; ScratchSize: 32
; MemoryBound: 0
; FloatMode: 240
; IeeeMode: 1
; LDSByteSize: 41984 bytes/workgroup (compile time only)
; SGPRBlocks: 6
; VGPRBlocks: 28
; NumSGPRsForWavesPerEU: 52
; NumVGPRsForWavesPerEU: 232
; Occupancy: 6
; WaveLimiterHint : 1
; COMPUTE_PGM_RSRC2:SCRATCH_EN: 1
; COMPUTE_PGM_RSRC2:USER_SGPR: 13
; COMPUTE_PGM_RSRC2:TRAP_HANDLER: 0
; COMPUTE_PGM_RSRC2:TGID_X_EN: 1
; COMPUTE_PGM_RSRC2:TGID_Y_EN: 1
; COMPUTE_PGM_RSRC2:TGID_Z_EN: 1
; COMPUTE_PGM_RSRC2:TIDIG_COMP_CNT: 2
	.section	.text._ZL25flash_attn_mask_to_KV_maxILi32EEvPK7__half2Piiii,"axG",@progbits,_ZL25flash_attn_mask_to_KV_maxILi32EEvPK7__half2Piiii,comdat
	.globl	_ZL25flash_attn_mask_to_KV_maxILi32EEvPK7__half2Piiii ; -- Begin function _ZL25flash_attn_mask_to_KV_maxILi32EEvPK7__half2Piiii
	.p2align	8
	.type	_ZL25flash_attn_mask_to_KV_maxILi32EEvPK7__half2Piiii,@function
_ZL25flash_attn_mask_to_KV_maxILi32EEvPK7__half2Piiii: ; @_ZL25flash_attn_mask_to_KV_maxILi32EEvPK7__half2Piiii
; %bb.0:
	s_load_b128 s[4:7], s[0:1], 0x0
	s_mov_b32 s2, exec_lo
	v_cmpx_gt_u32_e32 32, v0
	s_cbranch_execz .LBB43_2
; %bb.1:
	v_dual_mov_b32 v2, 1 :: v_dual_lshlrev_b32 v1, 2, v0
	ds_store_b32 v1, v2
.LBB43_2:
	s_or_b32 exec_lo, exec_lo, s2
	s_clause 0x1
	s_load_b128 s[8:11], s[0:1], 0x10
	s_load_b32 s1, s[0:1], 0x20
	v_dual_mov_b32 v2, 0 :: v_dual_and_b32 v1, 31, v0
	v_lshrrev_b32_e32 v5, 3, v0
	s_waitcnt lgkmcnt(0)
	s_barrier
	s_delay_alu instid0(VALU_DEP_2) | instskip(SKIP_4) | instid1(SALU_CYCLE_1)
	v_lshlrev_b32_e32 v6, 2, v1
	buffer_gl0_inv
	s_mul_i32 s0, s14, s9
	s_mul_i32 s2, s15, s10
	s_lshl_b32 s0, s0, 5
	s_add_i32 s2, s2, s0
	v_cmp_eq_u32_e64 s0, 0, v1
	s_ashr_i32 s3, s2, 31
	s_delay_alu instid0(SALU_CYCLE_1) | instskip(NEXT) | instid1(SALU_CYCLE_1)
	s_lshl_b64 s[10:11], s[2:3], 2
	s_add_u32 s3, s4, s10
	s_addc_u32 s4, s5, s11
	s_lshl_b32 s5, s8, 8
	s_branch .LBB43_4
.LBB43_3:                               ;   in Loop: Header=BB43_4 Depth=1
	s_or_b32 exec_lo, exec_lo, s10
	s_waitcnt lgkmcnt(0)
	s_barrier
	buffer_gl0_inv
	ds_load_b32 v1, v6
	s_waitcnt lgkmcnt(0)
	s_barrier
	buffer_gl0_inv
	;;#ASMSTART
	;;#ASMEND
	v_cmp_ne_u32_e32 vcc_lo, 0, v1
	s_cmp_lg_u32 vcc_lo, exec_lo
	s_cselect_b32 s8, -1, 0
	s_delay_alu instid0(SALU_CYCLE_1)
	s_and_b32 vcc_lo, exec_lo, s8
	s_cbranch_vccnz .LBB43_132
.LBB43_4:                               ; =>This Inner Loop Header: Depth=1
	s_mov_b32 s2, s5
	s_addk_i32 s5, 0xff00
	s_delay_alu instid0(SALU_CYCLE_1)
	s_cmp_lt_i32 s5, 0
	s_cbranch_scc1 .LBB43_131
; %bb.5:                                ;   in Loop: Header=BB43_4 Depth=1
	s_lshr_b32 s8, s5, 1
	s_mov_b32 s10, 0
	v_add_nc_u32_e32 v1, s8, v0
	s_delay_alu instid0(VALU_DEP_1) | instskip(NEXT) | instid1(VALU_DEP_1)
	v_lshlrev_b64 v[3:4], 2, v[1:2]
	v_add_co_u32 v3, vcc_lo, s3, v3
	s_delay_alu instid0(VALU_DEP_2) | instskip(SKIP_4) | instid1(VALU_DEP_2)
	v_add_co_ci_u32_e32 v4, vcc_lo, s4, v4, vcc_lo
	global_load_b32 v3, v[3:4], off
	s_waitcnt vmcnt(0)
	v_lshrrev_b32_e32 v4, 16, v3
	v_cmp_class_f16_e64 s8, v3, 0x204
	v_and_b32_e32 v4, 0x7fff, v4
	s_delay_alu instid0(VALU_DEP_1) | instskip(NEXT) | instid1(VALU_DEP_3)
	v_cmp_eq_f16_e32 vcc_lo, 0x7c00, v4
	s_and_b32 s11, s8, vcc_lo
	s_delay_alu instid0(SALU_CYCLE_1)
	s_and_saveexec_b32 s8, s11
	s_cbranch_execz .LBB43_129
; %bb.6:                                ;   in Loop: Header=BB43_4 Depth=1
	v_add_nc_u32_e32 v3, s9, v1
	s_mov_b32 s11, 0
	s_delay_alu instid0(VALU_DEP_1) | instskip(NEXT) | instid1(VALU_DEP_1)
	v_ashrrev_i32_e32 v4, 31, v3
	v_lshlrev_b64 v[7:8], 2, v[3:4]
	s_delay_alu instid0(VALU_DEP_1) | instskip(NEXT) | instid1(VALU_DEP_2)
	v_add_co_u32 v7, vcc_lo, s3, v7
	v_add_co_ci_u32_e32 v8, vcc_lo, s4, v8, vcc_lo
	global_load_b32 v1, v[7:8], off
	s_waitcnt vmcnt(0)
	v_cmp_class_f16_e64 s12, v1, 0x204
	s_delay_alu instid0(VALU_DEP_1)
	s_and_saveexec_b32 s10, s12
	s_cbranch_execz .LBB43_128
; %bb.7:                                ;   in Loop: Header=BB43_4 Depth=1
	v_lshrrev_b32_e32 v1, 16, v1
	s_mov_b32 s12, 0
	s_delay_alu instid0(VALU_DEP_1) | instskip(NEXT) | instid1(VALU_DEP_1)
	v_cmp_class_f16_e64 s13, v1, 0x204
	s_and_saveexec_b32 s11, s13
	s_cbranch_execz .LBB43_127
; %bb.8:                                ;   in Loop: Header=BB43_4 Depth=1
	v_add_nc_u32_e32 v3, s9, v3
	s_mov_b32 s13, 0
	s_delay_alu instid0(VALU_DEP_1) | instskip(NEXT) | instid1(VALU_DEP_1)
	v_ashrrev_i32_e32 v4, 31, v3
	v_lshlrev_b64 v[7:8], 2, v[3:4]
	s_delay_alu instid0(VALU_DEP_1) | instskip(NEXT) | instid1(VALU_DEP_2)
	v_add_co_u32 v7, vcc_lo, s3, v7
	v_add_co_ci_u32_e32 v8, vcc_lo, s4, v8, vcc_lo
	global_load_b32 v1, v[7:8], off
	s_waitcnt vmcnt(0)
	v_cmp_class_f16_e64 s16, v1, 0x204
	s_delay_alu instid0(VALU_DEP_1)
	s_and_saveexec_b32 s12, s16
	s_cbranch_execz .LBB43_126
; %bb.9:                                ;   in Loop: Header=BB43_4 Depth=1
	v_lshrrev_b32_e32 v1, 16, v1
	s_mov_b32 s16, 0
	s_delay_alu instid0(VALU_DEP_1) | instskip(NEXT) | instid1(VALU_DEP_1)
	v_cmp_class_f16_e64 s17, v1, 0x204
	s_and_saveexec_b32 s13, s17
	s_cbranch_execz .LBB43_125
; %bb.10:                               ;   in Loop: Header=BB43_4 Depth=1
	v_add_nc_u32_e32 v3, s9, v3
	s_mov_b32 s17, 0
	s_delay_alu instid0(VALU_DEP_1) | instskip(NEXT) | instid1(VALU_DEP_1)
	v_ashrrev_i32_e32 v4, 31, v3
	v_lshlrev_b64 v[7:8], 2, v[3:4]
	s_delay_alu instid0(VALU_DEP_1) | instskip(NEXT) | instid1(VALU_DEP_2)
	v_add_co_u32 v7, vcc_lo, s3, v7
	v_add_co_ci_u32_e32 v8, vcc_lo, s4, v8, vcc_lo
	global_load_b32 v1, v[7:8], off
	s_waitcnt vmcnt(0)
	v_cmp_class_f16_e64 s18, v1, 0x204
	s_delay_alu instid0(VALU_DEP_1)
	s_and_saveexec_b32 s16, s18
	s_cbranch_execz .LBB43_124
; %bb.11:                               ;   in Loop: Header=BB43_4 Depth=1
	v_lshrrev_b32_e32 v1, 16, v1
	s_mov_b32 s18, 0
	s_delay_alu instid0(VALU_DEP_1) | instskip(NEXT) | instid1(VALU_DEP_1)
	v_cmp_class_f16_e64 s19, v1, 0x204
	s_and_saveexec_b32 s17, s19
	s_cbranch_execz .LBB43_123
; %bb.12:                               ;   in Loop: Header=BB43_4 Depth=1
	v_add_nc_u32_e32 v3, s9, v3
	s_mov_b32 s19, 0
	s_delay_alu instid0(VALU_DEP_1) | instskip(NEXT) | instid1(VALU_DEP_1)
	v_ashrrev_i32_e32 v4, 31, v3
	v_lshlrev_b64 v[7:8], 2, v[3:4]
	s_delay_alu instid0(VALU_DEP_1) | instskip(NEXT) | instid1(VALU_DEP_2)
	v_add_co_u32 v7, vcc_lo, s3, v7
	v_add_co_ci_u32_e32 v8, vcc_lo, s4, v8, vcc_lo
	global_load_b32 v1, v[7:8], off
	s_waitcnt vmcnt(0)
	v_cmp_class_f16_e64 s20, v1, 0x204
	s_delay_alu instid0(VALU_DEP_1)
	s_and_saveexec_b32 s18, s20
	s_cbranch_execz .LBB43_122
; %bb.13:                               ;   in Loop: Header=BB43_4 Depth=1
	;; [unrolled: 22-line block ×28, first 2 shown]
	v_lshrrev_b32_e32 v1, 16, v1
	s_mov_b32 s73, 0
	s_delay_alu instid0(VALU_DEP_1) | instskip(NEXT) | instid1(VALU_DEP_1)
	v_cmp_class_f16_e64 s74, v1, 0x204
	s_and_saveexec_b32 s72, s74
	s_cbranch_execz .LBB43_69
; %bb.66:                               ;   in Loop: Header=BB43_4 Depth=1
	v_add_nc_u32_e32 v3, s9, v3
	s_delay_alu instid0(VALU_DEP_1) | instskip(NEXT) | instid1(VALU_DEP_1)
	v_ashrrev_i32_e32 v4, 31, v3
	v_lshlrev_b64 v[3:4], 2, v[3:4]
	s_delay_alu instid0(VALU_DEP_1) | instskip(NEXT) | instid1(VALU_DEP_2)
	v_add_co_u32 v3, vcc_lo, s3, v3
	v_add_co_ci_u32_e32 v4, vcc_lo, s4, v4, vcc_lo
	global_load_b32 v1, v[3:4], off
	s_waitcnt vmcnt(0)
	v_cmp_class_f16_e64 s75, v1, 0x204
	s_delay_alu instid0(VALU_DEP_1)
	s_and_saveexec_b32 s74, s75
; %bb.67:                               ;   in Loop: Header=BB43_4 Depth=1
	v_lshrrev_b32_e32 v1, 16, v1
	s_delay_alu instid0(VALU_DEP_1) | instskip(NEXT) | instid1(VALU_DEP_1)
	v_cmp_class_f16_e64 s73, v1, 0x204
	s_and_b32 s73, s73, exec_lo
; %bb.68:                               ;   in Loop: Header=BB43_4 Depth=1
	s_or_b32 exec_lo, exec_lo, s74
	s_delay_alu instid0(SALU_CYCLE_1)
	s_and_b32 s73, s73, exec_lo
.LBB43_69:                              ;   in Loop: Header=BB43_4 Depth=1
	s_or_b32 exec_lo, exec_lo, s72
	s_delay_alu instid0(SALU_CYCLE_1)
	s_and_b32 s72, s73, exec_lo
.LBB43_70:                              ;   in Loop: Header=BB43_4 Depth=1
	s_or_b32 exec_lo, exec_lo, s71
	s_delay_alu instid0(SALU_CYCLE_1)
	s_and_b32 s71, s72, exec_lo
.LBB43_71:                              ;   in Loop: Header=BB43_4 Depth=1
	s_or_b32 exec_lo, exec_lo, s70
	s_delay_alu instid0(SALU_CYCLE_1)
	s_and_b32 s70, s71, exec_lo
.LBB43_72:                              ;   in Loop: Header=BB43_4 Depth=1
	s_or_b32 exec_lo, exec_lo, s69
	s_delay_alu instid0(SALU_CYCLE_1)
	s_and_b32 s69, s70, exec_lo
.LBB43_73:                              ;   in Loop: Header=BB43_4 Depth=1
	s_or_b32 exec_lo, exec_lo, s68
	s_delay_alu instid0(SALU_CYCLE_1)
	s_and_b32 s68, s69, exec_lo
.LBB43_74:                              ;   in Loop: Header=BB43_4 Depth=1
	s_or_b32 exec_lo, exec_lo, s67
	s_delay_alu instid0(SALU_CYCLE_1)
	s_and_b32 s67, s68, exec_lo
.LBB43_75:                              ;   in Loop: Header=BB43_4 Depth=1
	s_or_b32 exec_lo, exec_lo, s66
	s_delay_alu instid0(SALU_CYCLE_1)
	s_and_b32 s66, s67, exec_lo
.LBB43_76:                              ;   in Loop: Header=BB43_4 Depth=1
	s_or_b32 exec_lo, exec_lo, s65
	s_delay_alu instid0(SALU_CYCLE_1)
	s_and_b32 s65, s66, exec_lo
.LBB43_77:                              ;   in Loop: Header=BB43_4 Depth=1
	s_or_b32 exec_lo, exec_lo, s64
	s_delay_alu instid0(SALU_CYCLE_1)
	s_and_b32 s64, s65, exec_lo
.LBB43_78:                              ;   in Loop: Header=BB43_4 Depth=1
	s_or_b32 exec_lo, exec_lo, s63
	s_delay_alu instid0(SALU_CYCLE_1)
	s_and_b32 s63, s64, exec_lo
.LBB43_79:                              ;   in Loop: Header=BB43_4 Depth=1
	s_or_b32 exec_lo, exec_lo, s62
	s_delay_alu instid0(SALU_CYCLE_1)
	s_and_b32 s62, s63, exec_lo
.LBB43_80:                              ;   in Loop: Header=BB43_4 Depth=1
	s_or_b32 exec_lo, exec_lo, s61
	s_delay_alu instid0(SALU_CYCLE_1)
	s_and_b32 s61, s62, exec_lo
.LBB43_81:                              ;   in Loop: Header=BB43_4 Depth=1
	s_or_b32 exec_lo, exec_lo, s60
	s_delay_alu instid0(SALU_CYCLE_1)
	s_and_b32 s60, s61, exec_lo
.LBB43_82:                              ;   in Loop: Header=BB43_4 Depth=1
	s_or_b32 exec_lo, exec_lo, s59
	s_delay_alu instid0(SALU_CYCLE_1)
	s_and_b32 s59, s60, exec_lo
.LBB43_83:                              ;   in Loop: Header=BB43_4 Depth=1
	s_or_b32 exec_lo, exec_lo, s58
	s_delay_alu instid0(SALU_CYCLE_1)
	s_and_b32 s58, s59, exec_lo
.LBB43_84:                              ;   in Loop: Header=BB43_4 Depth=1
	s_or_b32 exec_lo, exec_lo, s57
	s_delay_alu instid0(SALU_CYCLE_1)
	s_and_b32 s57, s58, exec_lo
.LBB43_85:                              ;   in Loop: Header=BB43_4 Depth=1
	s_or_b32 exec_lo, exec_lo, s56
	s_delay_alu instid0(SALU_CYCLE_1)
	s_and_b32 s56, s57, exec_lo
.LBB43_86:                              ;   in Loop: Header=BB43_4 Depth=1
	s_or_b32 exec_lo, exec_lo, s55
	s_delay_alu instid0(SALU_CYCLE_1)
	s_and_b32 s55, s56, exec_lo
.LBB43_87:                              ;   in Loop: Header=BB43_4 Depth=1
	s_or_b32 exec_lo, exec_lo, s54
	s_delay_alu instid0(SALU_CYCLE_1)
	s_and_b32 s54, s55, exec_lo
.LBB43_88:                              ;   in Loop: Header=BB43_4 Depth=1
	s_or_b32 exec_lo, exec_lo, s53
	s_delay_alu instid0(SALU_CYCLE_1)
	s_and_b32 s53, s54, exec_lo
.LBB43_89:                              ;   in Loop: Header=BB43_4 Depth=1
	s_or_b32 exec_lo, exec_lo, s52
	s_delay_alu instid0(SALU_CYCLE_1)
	s_and_b32 s52, s53, exec_lo
.LBB43_90:                              ;   in Loop: Header=BB43_4 Depth=1
	s_or_b32 exec_lo, exec_lo, s51
	s_delay_alu instid0(SALU_CYCLE_1)
	s_and_b32 s51, s52, exec_lo
.LBB43_91:                              ;   in Loop: Header=BB43_4 Depth=1
	s_or_b32 exec_lo, exec_lo, s50
	s_delay_alu instid0(SALU_CYCLE_1)
	s_and_b32 s50, s51, exec_lo
.LBB43_92:                              ;   in Loop: Header=BB43_4 Depth=1
	s_or_b32 exec_lo, exec_lo, s49
	s_delay_alu instid0(SALU_CYCLE_1)
	s_and_b32 s49, s50, exec_lo
.LBB43_93:                              ;   in Loop: Header=BB43_4 Depth=1
	s_or_b32 exec_lo, exec_lo, s48
	s_delay_alu instid0(SALU_CYCLE_1)
	s_and_b32 s48, s49, exec_lo
.LBB43_94:                              ;   in Loop: Header=BB43_4 Depth=1
	s_or_b32 exec_lo, exec_lo, s47
	s_delay_alu instid0(SALU_CYCLE_1)
	s_and_b32 s47, s48, exec_lo
.LBB43_95:                              ;   in Loop: Header=BB43_4 Depth=1
	s_or_b32 exec_lo, exec_lo, s46
	s_delay_alu instid0(SALU_CYCLE_1)
	s_and_b32 s46, s47, exec_lo
.LBB43_96:                              ;   in Loop: Header=BB43_4 Depth=1
	s_or_b32 exec_lo, exec_lo, s45
	s_delay_alu instid0(SALU_CYCLE_1)
	s_and_b32 s45, s46, exec_lo
.LBB43_97:                              ;   in Loop: Header=BB43_4 Depth=1
	s_or_b32 exec_lo, exec_lo, s44
	s_delay_alu instid0(SALU_CYCLE_1)
	s_and_b32 s44, s45, exec_lo
.LBB43_98:                              ;   in Loop: Header=BB43_4 Depth=1
	s_or_b32 exec_lo, exec_lo, s43
	s_delay_alu instid0(SALU_CYCLE_1)
	s_and_b32 s43, s44, exec_lo
.LBB43_99:                              ;   in Loop: Header=BB43_4 Depth=1
	s_or_b32 exec_lo, exec_lo, s42
	s_delay_alu instid0(SALU_CYCLE_1)
	s_and_b32 s42, s43, exec_lo
.LBB43_100:                             ;   in Loop: Header=BB43_4 Depth=1
	s_or_b32 exec_lo, exec_lo, s41
	s_delay_alu instid0(SALU_CYCLE_1)
	s_and_b32 s41, s42, exec_lo
.LBB43_101:                             ;   in Loop: Header=BB43_4 Depth=1
	s_or_b32 exec_lo, exec_lo, s40
	s_delay_alu instid0(SALU_CYCLE_1)
	s_and_b32 s40, s41, exec_lo
.LBB43_102:                             ;   in Loop: Header=BB43_4 Depth=1
	s_or_b32 exec_lo, exec_lo, s39
	s_delay_alu instid0(SALU_CYCLE_1)
	s_and_b32 s39, s40, exec_lo
.LBB43_103:                             ;   in Loop: Header=BB43_4 Depth=1
	s_or_b32 exec_lo, exec_lo, s38
	s_delay_alu instid0(SALU_CYCLE_1)
	s_and_b32 s38, s39, exec_lo
.LBB43_104:                             ;   in Loop: Header=BB43_4 Depth=1
	s_or_b32 exec_lo, exec_lo, s37
	s_delay_alu instid0(SALU_CYCLE_1)
	s_and_b32 s37, s38, exec_lo
.LBB43_105:                             ;   in Loop: Header=BB43_4 Depth=1
	s_or_b32 exec_lo, exec_lo, s36
	s_delay_alu instid0(SALU_CYCLE_1)
	s_and_b32 s36, s37, exec_lo
.LBB43_106:                             ;   in Loop: Header=BB43_4 Depth=1
	s_or_b32 exec_lo, exec_lo, s35
	s_delay_alu instid0(SALU_CYCLE_1)
	s_and_b32 s35, s36, exec_lo
.LBB43_107:                             ;   in Loop: Header=BB43_4 Depth=1
	s_or_b32 exec_lo, exec_lo, s34
	s_delay_alu instid0(SALU_CYCLE_1)
	s_and_b32 s34, s35, exec_lo
.LBB43_108:                             ;   in Loop: Header=BB43_4 Depth=1
	s_or_b32 exec_lo, exec_lo, s33
	s_delay_alu instid0(SALU_CYCLE_1)
	s_and_b32 s33, s34, exec_lo
.LBB43_109:                             ;   in Loop: Header=BB43_4 Depth=1
	s_or_b32 exec_lo, exec_lo, s31
	s_delay_alu instid0(SALU_CYCLE_1)
	s_and_b32 s31, s33, exec_lo
.LBB43_110:                             ;   in Loop: Header=BB43_4 Depth=1
	s_or_b32 exec_lo, exec_lo, s30
	s_delay_alu instid0(SALU_CYCLE_1)
	s_and_b32 s30, s31, exec_lo
.LBB43_111:                             ;   in Loop: Header=BB43_4 Depth=1
	s_or_b32 exec_lo, exec_lo, s29
	s_delay_alu instid0(SALU_CYCLE_1)
	s_and_b32 s29, s30, exec_lo
.LBB43_112:                             ;   in Loop: Header=BB43_4 Depth=1
	s_or_b32 exec_lo, exec_lo, s28
	s_delay_alu instid0(SALU_CYCLE_1)
	s_and_b32 s28, s29, exec_lo
.LBB43_113:                             ;   in Loop: Header=BB43_4 Depth=1
	s_or_b32 exec_lo, exec_lo, s27
	s_delay_alu instid0(SALU_CYCLE_1)
	s_and_b32 s27, s28, exec_lo
.LBB43_114:                             ;   in Loop: Header=BB43_4 Depth=1
	s_or_b32 exec_lo, exec_lo, s26
	s_delay_alu instid0(SALU_CYCLE_1)
	s_and_b32 s26, s27, exec_lo
.LBB43_115:                             ;   in Loop: Header=BB43_4 Depth=1
	s_or_b32 exec_lo, exec_lo, s25
	s_delay_alu instid0(SALU_CYCLE_1)
	s_and_b32 s25, s26, exec_lo
.LBB43_116:                             ;   in Loop: Header=BB43_4 Depth=1
	s_or_b32 exec_lo, exec_lo, s24
	s_delay_alu instid0(SALU_CYCLE_1)
	s_and_b32 s24, s25, exec_lo
.LBB43_117:                             ;   in Loop: Header=BB43_4 Depth=1
	s_or_b32 exec_lo, exec_lo, s23
	s_delay_alu instid0(SALU_CYCLE_1)
	s_and_b32 s23, s24, exec_lo
.LBB43_118:                             ;   in Loop: Header=BB43_4 Depth=1
	s_or_b32 exec_lo, exec_lo, s22
	s_delay_alu instid0(SALU_CYCLE_1)
	s_and_b32 s22, s23, exec_lo
.LBB43_119:                             ;   in Loop: Header=BB43_4 Depth=1
	s_or_b32 exec_lo, exec_lo, s21
	s_delay_alu instid0(SALU_CYCLE_1)
	s_and_b32 s21, s22, exec_lo
.LBB43_120:                             ;   in Loop: Header=BB43_4 Depth=1
	s_or_b32 exec_lo, exec_lo, s20
	s_delay_alu instid0(SALU_CYCLE_1)
	s_and_b32 s20, s21, exec_lo
.LBB43_121:                             ;   in Loop: Header=BB43_4 Depth=1
	s_or_b32 exec_lo, exec_lo, s19
	s_delay_alu instid0(SALU_CYCLE_1)
	s_and_b32 s19, s20, exec_lo
.LBB43_122:                             ;   in Loop: Header=BB43_4 Depth=1
	s_or_b32 exec_lo, exec_lo, s18
	s_delay_alu instid0(SALU_CYCLE_1)
	s_and_b32 s18, s19, exec_lo
.LBB43_123:                             ;   in Loop: Header=BB43_4 Depth=1
	s_or_b32 exec_lo, exec_lo, s17
	s_delay_alu instid0(SALU_CYCLE_1)
	s_and_b32 s17, s18, exec_lo
.LBB43_124:                             ;   in Loop: Header=BB43_4 Depth=1
	s_or_b32 exec_lo, exec_lo, s16
	s_delay_alu instid0(SALU_CYCLE_1)
	s_and_b32 s16, s17, exec_lo
.LBB43_125:                             ;   in Loop: Header=BB43_4 Depth=1
	s_or_b32 exec_lo, exec_lo, s13
	s_delay_alu instid0(SALU_CYCLE_1)
	s_and_b32 s13, s16, exec_lo
.LBB43_126:                             ;   in Loop: Header=BB43_4 Depth=1
	s_or_b32 exec_lo, exec_lo, s12
	s_delay_alu instid0(SALU_CYCLE_1)
	s_and_b32 s12, s13, exec_lo
.LBB43_127:                             ;   in Loop: Header=BB43_4 Depth=1
	s_or_b32 exec_lo, exec_lo, s11
	s_delay_alu instid0(SALU_CYCLE_1)
	s_and_b32 s11, s12, exec_lo
.LBB43_128:                             ;   in Loop: Header=BB43_4 Depth=1
	s_or_b32 exec_lo, exec_lo, s10
	s_delay_alu instid0(SALU_CYCLE_1)
	s_and_b32 s10, s11, exec_lo
.LBB43_129:                             ;   in Loop: Header=BB43_4 Depth=1
	s_or_b32 exec_lo, exec_lo, s8
	v_cndmask_b32_e64 v1, 0, 1, s10
	;;#ASMSTART
	;;#ASMEND
	s_delay_alu instid0(VALU_DEP_1)
	v_cmp_ne_u32_e32 vcc_lo, 0, v1
	s_mov_b32 s8, exec_lo
	s_and_saveexec_b32 s10, s0
	s_cbranch_execz .LBB43_3
; %bb.130:                              ;   in Loop: Header=BB43_4 Depth=1
	s_cmp_eq_u32 vcc_lo, s8
	s_cselect_b32 s8, -1, 0
	s_delay_alu instid0(SALU_CYCLE_1)
	v_cndmask_b32_e64 v1, 0, 1, s8
	ds_store_b32 v5, v1
	s_branch .LBB43_3
.LBB43_131:                             ;   in Loop: Header=BB43_4 Depth=1
                                        ; implicit-def: $sgpr5
	s_cbranch_execz .LBB43_4
.LBB43_132:
	s_mov_b32 s0, exec_lo
	v_cmpx_eq_u32_e32 0, v0
	s_cbranch_execz .LBB43_134
; %bb.133:
	s_mul_i32 s0, s1, s15
	v_dual_mov_b32 v0, 0 :: v_dual_mov_b32 v1, s2
	s_add_i32 s0, s0, s14
	s_delay_alu instid0(SALU_CYCLE_1) | instskip(NEXT) | instid1(SALU_CYCLE_1)
	s_ashr_i32 s1, s0, 31
	s_lshl_b64 s[0:1], s[0:1], 2
	s_delay_alu instid0(SALU_CYCLE_1)
	s_add_u32 s0, s6, s0
	s_addc_u32 s1, s7, s1
	global_store_b32 v0, v1, s[0:1]
.LBB43_134:
	s_nop 0
	s_sendmsg sendmsg(MSG_DEALLOC_VGPRS)
	s_endpgm
	.section	.rodata,"a",@progbits
	.p2align	6, 0x0
	.amdhsa_kernel _ZL25flash_attn_mask_to_KV_maxILi32EEvPK7__half2Piiii
		.amdhsa_group_segment_fixed_size 128
		.amdhsa_private_segment_fixed_size 0
		.amdhsa_kernarg_size 288
		.amdhsa_user_sgpr_count 14
		.amdhsa_user_sgpr_dispatch_ptr 0
		.amdhsa_user_sgpr_queue_ptr 0
		.amdhsa_user_sgpr_kernarg_segment_ptr 1
		.amdhsa_user_sgpr_dispatch_id 0
		.amdhsa_user_sgpr_private_segment_size 0
		.amdhsa_wavefront_size32 1
		.amdhsa_uses_dynamic_stack 0
		.amdhsa_enable_private_segment 0
		.amdhsa_system_sgpr_workgroup_id_x 1
		.amdhsa_system_sgpr_workgroup_id_y 1
		.amdhsa_system_sgpr_workgroup_id_z 0
		.amdhsa_system_sgpr_workgroup_info 0
		.amdhsa_system_vgpr_workitem_id 0
		.amdhsa_next_free_vgpr 9
		.amdhsa_next_free_sgpr 76
		.amdhsa_reserve_vcc 1
		.amdhsa_float_round_mode_32 0
		.amdhsa_float_round_mode_16_64 0
		.amdhsa_float_denorm_mode_32 3
		.amdhsa_float_denorm_mode_16_64 3
		.amdhsa_dx10_clamp 1
		.amdhsa_ieee_mode 1
		.amdhsa_fp16_overflow 0
		.amdhsa_workgroup_processor_mode 1
		.amdhsa_memory_ordered 1
		.amdhsa_forward_progress 0
		.amdhsa_shared_vgpr_count 0
		.amdhsa_exception_fp_ieee_invalid_op 0
		.amdhsa_exception_fp_denorm_src 0
		.amdhsa_exception_fp_ieee_div_zero 0
		.amdhsa_exception_fp_ieee_overflow 0
		.amdhsa_exception_fp_ieee_underflow 0
		.amdhsa_exception_fp_ieee_inexact 0
		.amdhsa_exception_int_div_zero 0
	.end_amdhsa_kernel
	.section	.text._ZL25flash_attn_mask_to_KV_maxILi32EEvPK7__half2Piiii,"axG",@progbits,_ZL25flash_attn_mask_to_KV_maxILi32EEvPK7__half2Piiii,comdat
.Lfunc_end43:
	.size	_ZL25flash_attn_mask_to_KV_maxILi32EEvPK7__half2Piiii, .Lfunc_end43-_ZL25flash_attn_mask_to_KV_maxILi32EEvPK7__half2Piiii
                                        ; -- End function
	.section	.AMDGPU.csdata,"",@progbits
; Kernel info:
; codeLenInByte = 4544
; NumSgprs: 78
; NumVgprs: 9
; ScratchSize: 0
; MemoryBound: 0
; FloatMode: 240
; IeeeMode: 1
; LDSByteSize: 128 bytes/workgroup (compile time only)
; SGPRBlocks: 9
; VGPRBlocks: 1
; NumSGPRsForWavesPerEU: 78
; NumVGPRsForWavesPerEU: 9
; Occupancy: 16
; WaveLimiterHint : 0
; COMPUTE_PGM_RSRC2:SCRATCH_EN: 0
; COMPUTE_PGM_RSRC2:USER_SGPR: 14
; COMPUTE_PGM_RSRC2:TRAP_HANDLER: 0
; COMPUTE_PGM_RSRC2:TGID_X_EN: 1
; COMPUTE_PGM_RSRC2:TGID_Y_EN: 1
; COMPUTE_PGM_RSRC2:TGID_Z_EN: 0
; COMPUTE_PGM_RSRC2:TIDIG_COMP_CNT: 0
	.section	.text._ZL33flash_attn_stream_k_fixup_uniformILi256ELi32ELi1EEvPfPK15HIP_vector_typeIfLj2EEiiiiiiS1_IjLj3EES5_S5_,"axG",@progbits,_ZL33flash_attn_stream_k_fixup_uniformILi256ELi32ELi1EEvPfPK15HIP_vector_typeIfLj2EEiiiiiiS1_IjLj3EES5_S5_,comdat
	.globl	_ZL33flash_attn_stream_k_fixup_uniformILi256ELi32ELi1EEvPfPK15HIP_vector_typeIfLj2EEiiiiiiS1_IjLj3EES5_S5_ ; -- Begin function _ZL33flash_attn_stream_k_fixup_uniformILi256ELi32ELi1EEvPfPK15HIP_vector_typeIfLj2EEiiiiiiS1_IjLj3EES5_S5_
	.p2align	8
	.type	_ZL33flash_attn_stream_k_fixup_uniformILi256ELi32ELi1EEvPfPK15HIP_vector_typeIfLj2EEiiiiiiS1_IjLj3EES5_S5_,@function
_ZL33flash_attn_stream_k_fixup_uniformILi256ELi32ELi1EEvPfPK15HIP_vector_typeIfLj2EEiiiiiiS1_IjLj3EES5_S5_: ; @_ZL33flash_attn_stream_k_fixup_uniformILi256ELi32ELi1EEvPfPK15HIP_vector_typeIfLj2EEiiiiiiS1_IjLj3EES5_S5_
; %bb.0:
	s_clause 0x1
	s_load_b256 s[4:11], s[0:1], 0x1c
	s_load_b128 s[16:19], s[0:1], 0x3c
	s_waitcnt lgkmcnt(0)
	s_mul_hi_u32 s2, s7, s13
	s_delay_alu instid0(SALU_CYCLE_1) | instskip(NEXT) | instid1(SALU_CYCLE_1)
	s_add_i32 s2, s13, s2
	s_lshr_b32 s2, s2, s8
	s_delay_alu instid0(SALU_CYCLE_1) | instskip(SKIP_2) | instid1(SALU_CYCLE_1)
	s_mul_i32 s3, s2, s9
	s_load_b64 s[8:9], s[0:1], 0x10
	s_sub_i32 s7, s13, s3
	s_mul_hi_u32 s3, s7, s10
	s_delay_alu instid0(SALU_CYCLE_1) | instskip(NEXT) | instid1(SALU_CYCLE_1)
	s_add_i32 s3, s7, s3
	s_lshr_b32 s3, s3, s11
	s_delay_alu instid0(SALU_CYCLE_1) | instskip(NEXT) | instid1(SALU_CYCLE_1)
	s_mul_i32 s10, s3, s16
	s_sub_i32 s10, s7, s10
	s_delay_alu instid0(SALU_CYCLE_1) | instskip(NEXT) | instid1(SALU_CYCLE_1)
	s_mul_hi_u32 s7, s10, s17
	s_add_i32 s7, s10, s7
	s_delay_alu instid0(SALU_CYCLE_1) | instskip(NEXT) | instid1(SALU_CYCLE_1)
	s_lshr_b32 s7, s7, s18
	s_mul_i32 s11, s7, s19
	s_delay_alu instid0(SALU_CYCLE_1) | instskip(NEXT) | instid1(SALU_CYCLE_1)
	s_sub_i32 s10, s10, s11
	s_lshl_b32 s11, s10, 5
	s_delay_alu instid0(SALU_CYCLE_1) | instskip(SKIP_4) | instid1(SALU_CYCLE_1)
	s_add_i32 s11, s11, s14
	s_waitcnt lgkmcnt(0)
	s_cmp_lt_i32 s11, s8
	s_cselect_b32 s11, -1, 0
	s_add_i32 s12, s7, s15
	s_cmp_lt_i32 s12, s5
	s_cselect_b32 s12, -1, 0
	s_delay_alu instid0(SALU_CYCLE_1) | instskip(NEXT) | instid1(SALU_CYCLE_1)
	s_and_b32 s11, s11, s12
	s_and_not1_b32 vcc_lo, exec_lo, s11
	s_cbranch_vccnz .LBB44_6
; %bb.1:
	s_mul_i32 s2, s2, s8
	s_mul_i32 s5, s3, s5
	s_add_i32 s2, s2, s14
	s_delay_alu instid0(SALU_CYCLE_1) | instskip(NEXT) | instid1(SALU_CYCLE_1)
	s_mul_i32 s2, s2, s9
	s_add_i32 s8, s2, s15
	s_load_b128 s[0:3], s[0:1], 0x0
	s_add_i32 s5, s8, s5
	s_mul_i32 s8, s9, s10
	s_add_i32 s5, s5, s7
	s_lshl_b32 s7, s8, 13
	s_lshl_b32 s5, s5, 8
	s_add_i32 s10, s14, s15
	s_add_i32 s7, s7, s5
	s_mul_i32 s5, s13, s6
	v_or_b32_e32 v1, s7, v0
	s_add_i32 s9, s5, s6
	s_delay_alu instid0(VALU_DEP_1) | instskip(NEXT) | instid1(VALU_DEP_1)
	v_ashrrev_i32_e32 v2, 31, v1
	v_lshlrev_b64 v[1:2], 2, v[1:2]
	s_waitcnt lgkmcnt(0)
	s_delay_alu instid0(VALU_DEP_1) | instskip(NEXT) | instid1(VALU_DEP_2)
	v_add_co_u32 v1, vcc_lo, s0, v1
	v_add_co_ci_u32_e32 v2, vcc_lo, s1, v2, vcc_lo
	s_lshl_b32 s0, s9, 5
	s_delay_alu instid0(SALU_CYCLE_1) | instskip(SKIP_2) | instid1(SALU_CYCLE_1)
	s_add_i32 s0, s10, s0
	global_load_b32 v5, v[1:2], off
	s_sub_i32 s0, s0, 32
	s_ashr_i32 s1, s0, 31
	s_delay_alu instid0(SALU_CYCLE_1) | instskip(NEXT) | instid1(SALU_CYCLE_1)
	s_lshl_b64 s[0:1], s[0:1], 3
	s_add_u32 s0, s2, s0
	s_addc_u32 s1, s3, s1
	s_add_i32 s7, s9, -2
	s_load_b32 s11, s[0:1], 0x4
	s_cmp_lt_i32 s7, s5
	s_cbranch_scc1 .LBB44_4
; %bb.2:
	s_lshl_b32 s14, s4, 7
	s_load_b32 s12, s[0:1], 0x0
	s_ashr_i32 s15, s14, 31
	s_delay_alu instid0(SALU_CYCLE_1) | instskip(NEXT) | instid1(SALU_CYCLE_1)
	s_lshl_b64 s[0:1], s[14:15], 2
	s_add_u32 s7, s2, s0
	s_addc_u32 s8, s3, s1
	s_add_i32 s13, s13, 1
	s_lshl_b32 s1, s10, 8
	s_mul_i32 s0, s6, s13
	s_delay_alu instid0(SALU_CYCLE_1)
	s_lshl_b32 s6, s0, 13
	s_lshl_b32 s0, s0, 5
	s_add_i32 s1, s1, s6
	s_add_i32 s0, s10, s0
	v_or_b32_e32 v0, s1, v0
	s_lshl_b32 s1, s4, 5
	s_waitcnt lgkmcnt(0)
	v_mov_b32_e32 v6, s11
	s_add_i32 s0, s0, s1
	s_add_i32 s4, s9, -1
	v_dual_mov_b32 v0, s12 :: v_dual_add_nc_u32 v3, 0xffffc000, v0
	s_sub_i32 s0, s0, 64
.LBB44_3:                               ; =>This Inner Loop Header: Depth=1
	s_delay_alu instid0(VALU_DEP_1) | instskip(SKIP_1) | instid1(SALU_CYCLE_1)
	v_ashrrev_i32_e32 v4, 31, v3
	s_ashr_i32 s1, s0, 31
	s_lshl_b64 s[10:11], s[0:1], 3
	s_delay_alu instid0(SALU_CYCLE_1) | instskip(NEXT) | instid1(VALU_DEP_1)
	s_add_u32 s10, s2, s10
	v_lshlrev_b64 v[7:8], 2, v[3:4]
	s_addc_u32 s11, s3, s11
	s_add_i32 s4, s4, -1
	s_sub_i32 s0, s0, 32
	s_cmp_le_i32 s4, s5
	s_load_b64 s[10:11], s[10:11], 0x0
	v_add_co_u32 v7, vcc_lo, s7, v7
	v_add_co_ci_u32_e32 v8, vcc_lo, s8, v8, vcc_lo
	global_load_b32 v4, v[7:8], off
	v_max_f32_e32 v7, v0, v0
	s_waitcnt lgkmcnt(0)
	v_max_f32_e64 v8, s10, s10
	s_delay_alu instid0(VALU_DEP_1) | instskip(NEXT) | instid1(VALU_DEP_1)
	v_max_f32_e32 v7, v7, v8
	v_sub_f32_e32 v8, s10, v7
	s_delay_alu instid0(VALU_DEP_1) | instskip(NEXT) | instid1(VALU_DEP_1)
	v_dual_sub_f32 v0, v0, v7 :: v_dual_mul_f32 v9, 0x3fb8aa3b, v8
	v_fma_f32 v10, 0x3fb8aa3b, v8, -v9
	v_rndne_f32_e32 v11, v9
	s_delay_alu instid0(VALU_DEP_3) | instskip(NEXT) | instid1(VALU_DEP_2)
	v_mul_f32_e32 v12, 0x3fb8aa3b, v0
	v_dual_fmac_f32 v10, 0x32a5705f, v8 :: v_dual_sub_f32 v9, v9, v11
	v_cvt_i32_f32_e32 v11, v11
	s_delay_alu instid0(VALU_DEP_3) | instskip(SKIP_1) | instid1(VALU_DEP_4)
	v_fma_f32 v13, 0x3fb8aa3b, v0, -v12
	v_rndne_f32_e32 v14, v12
	v_add_f32_e32 v9, v9, v10
	v_cmp_ngt_f32_e32 vcc_lo, 0xc2ce8ed0, v8
	s_delay_alu instid0(VALU_DEP_3) | instskip(NEXT) | instid1(VALU_DEP_3)
	v_sub_f32_e32 v10, v12, v14
	v_exp_f32_e32 v9, v9
	s_waitcnt_depctr 0xfff
	v_ldexp_f32 v9, v9, v11
	v_cvt_i32_f32_e32 v11, v14
	s_delay_alu instid0(VALU_DEP_2) | instskip(SKIP_1) | instid1(VALU_DEP_2)
	v_cndmask_b32_e32 v9, 0, v9, vcc_lo
	v_cmp_nlt_f32_e32 vcc_lo, 0x42b17218, v8
	v_cndmask_b32_e32 v9, 0x7f800000, v9, vcc_lo
	v_cmp_ngt_f32_e32 vcc_lo, 0xc2ce8ed0, v0
	v_fmac_f32_e32 v13, 0x32a5705f, v0
	s_delay_alu instid0(VALU_DEP_1) | instskip(NEXT) | instid1(VALU_DEP_1)
	v_add_f32_e32 v10, v10, v13
	v_exp_f32_e32 v10, v10
	s_waitcnt_depctr 0xfff
	v_ldexp_f32 v10, v10, v11
	s_delay_alu instid0(VALU_DEP_1)
	v_dual_mov_b32 v11, v6 :: v_dual_cndmask_b32 v10, 0, v10
	v_cmp_le_f32_e32 vcc_lo, 0xc1a00000, v8
	s_waitcnt vmcnt(1)
	v_dual_cndmask_b32 v8, 0, v9 :: v_dual_mov_b32 v9, v5
	v_cmp_nlt_f32_e32 vcc_lo, 0x42b17218, v0
	v_cndmask_b32_e32 v5, 0x7f800000, v10, vcc_lo
	s_delay_alu instid0(VALU_DEP_3) | instskip(SKIP_2) | instid1(VALU_DEP_3)
	v_mul_f32_e32 v10, s11, v8
	v_cmp_le_f32_e32 vcc_lo, 0xc1a00000, v0
	v_mov_b32_e32 v0, v7
	v_mov_b32_e32 v6, v10
	s_waitcnt vmcnt(0)
	v_dual_cndmask_b32 v12, 0, v5 :: v_dual_mul_f32 v5, v4, v8
	s_delay_alu instid0(VALU_DEP_1) | instskip(NEXT) | instid1(VALU_DEP_2)
	v_dual_fmac_f32 v6, v11, v12 :: v_dual_add_nc_u32 v3, 0xffffe000, v3
	v_fmac_f32_e32 v5, v9, v12
	s_cbranch_scc0 .LBB44_3
	s_branch .LBB44_5
.LBB44_4:
	s_waitcnt lgkmcnt(0)
	v_mov_b32_e32 v6, s11
.LBB44_5:
	s_waitcnt vmcnt(0)
	s_delay_alu instid0(VALU_DEP_1) | instskip(NEXT) | instid1(VALU_DEP_1)
	v_div_scale_f32 v0, null, v6, v6, v5
	v_rcp_f32_e32 v3, v0
	s_waitcnt_depctr 0xfff
	v_fma_f32 v4, -v0, v3, 1.0
	s_delay_alu instid0(VALU_DEP_1) | instskip(SKIP_1) | instid1(VALU_DEP_1)
	v_fmac_f32_e32 v3, v4, v3
	v_div_scale_f32 v4, vcc_lo, v5, v6, v5
	v_mul_f32_e32 v7, v4, v3
	s_delay_alu instid0(VALU_DEP_1) | instskip(NEXT) | instid1(VALU_DEP_1)
	v_fma_f32 v8, -v0, v7, v4
	v_fmac_f32_e32 v7, v8, v3
	s_delay_alu instid0(VALU_DEP_1) | instskip(NEXT) | instid1(VALU_DEP_1)
	v_fma_f32 v0, -v0, v7, v4
	v_div_fmas_f32 v0, v0, v3, v7
	s_delay_alu instid0(VALU_DEP_1)
	v_div_fixup_f32 v0, v0, v6, v5
	global_store_b32 v[1:2], v0, off
.LBB44_6:
	s_nop 0
	s_sendmsg sendmsg(MSG_DEALLOC_VGPRS)
	s_endpgm
	.section	.rodata,"a",@progbits
	.p2align	6, 0x0
	.amdhsa_kernel _ZL33flash_attn_stream_k_fixup_uniformILi256ELi32ELi1EEvPfPK15HIP_vector_typeIfLj2EEiiiiiiS1_IjLj3EES5_S5_
		.amdhsa_group_segment_fixed_size 0
		.amdhsa_private_segment_fixed_size 0
		.amdhsa_kernarg_size 76
		.amdhsa_user_sgpr_count 13
		.amdhsa_user_sgpr_dispatch_ptr 0
		.amdhsa_user_sgpr_queue_ptr 0
		.amdhsa_user_sgpr_kernarg_segment_ptr 1
		.amdhsa_user_sgpr_dispatch_id 0
		.amdhsa_user_sgpr_private_segment_size 0
		.amdhsa_wavefront_size32 1
		.amdhsa_uses_dynamic_stack 0
		.amdhsa_enable_private_segment 0
		.amdhsa_system_sgpr_workgroup_id_x 1
		.amdhsa_system_sgpr_workgroup_id_y 1
		.amdhsa_system_sgpr_workgroup_id_z 1
		.amdhsa_system_sgpr_workgroup_info 0
		.amdhsa_system_vgpr_workitem_id 0
		.amdhsa_next_free_vgpr 15
		.amdhsa_next_free_sgpr 20
		.amdhsa_reserve_vcc 1
		.amdhsa_float_round_mode_32 0
		.amdhsa_float_round_mode_16_64 0
		.amdhsa_float_denorm_mode_32 3
		.amdhsa_float_denorm_mode_16_64 3
		.amdhsa_dx10_clamp 1
		.amdhsa_ieee_mode 1
		.amdhsa_fp16_overflow 0
		.amdhsa_workgroup_processor_mode 1
		.amdhsa_memory_ordered 1
		.amdhsa_forward_progress 0
		.amdhsa_shared_vgpr_count 0
		.amdhsa_exception_fp_ieee_invalid_op 0
		.amdhsa_exception_fp_denorm_src 0
		.amdhsa_exception_fp_ieee_div_zero 0
		.amdhsa_exception_fp_ieee_overflow 0
		.amdhsa_exception_fp_ieee_underflow 0
		.amdhsa_exception_fp_ieee_inexact 0
		.amdhsa_exception_int_div_zero 0
	.end_amdhsa_kernel
	.section	.text._ZL33flash_attn_stream_k_fixup_uniformILi256ELi32ELi1EEvPfPK15HIP_vector_typeIfLj2EEiiiiiiS1_IjLj3EES5_S5_,"axG",@progbits,_ZL33flash_attn_stream_k_fixup_uniformILi256ELi32ELi1EEvPfPK15HIP_vector_typeIfLj2EEiiiiiiS1_IjLj3EES5_S5_,comdat
.Lfunc_end44:
	.size	_ZL33flash_attn_stream_k_fixup_uniformILi256ELi32ELi1EEvPfPK15HIP_vector_typeIfLj2EEiiiiiiS1_IjLj3EES5_S5_, .Lfunc_end44-_ZL33flash_attn_stream_k_fixup_uniformILi256ELi32ELi1EEvPfPK15HIP_vector_typeIfLj2EEiiiiiiS1_IjLj3EES5_S5_
                                        ; -- End function
	.section	.AMDGPU.csdata,"",@progbits
; Kernel info:
; codeLenInByte = 976
; NumSgprs: 22
; NumVgprs: 15
; ScratchSize: 0
; MemoryBound: 0
; FloatMode: 240
; IeeeMode: 1
; LDSByteSize: 0 bytes/workgroup (compile time only)
; SGPRBlocks: 2
; VGPRBlocks: 1
; NumSGPRsForWavesPerEU: 22
; NumVGPRsForWavesPerEU: 15
; Occupancy: 16
; WaveLimiterHint : 0
; COMPUTE_PGM_RSRC2:SCRATCH_EN: 0
; COMPUTE_PGM_RSRC2:USER_SGPR: 13
; COMPUTE_PGM_RSRC2:TRAP_HANDLER: 0
; COMPUTE_PGM_RSRC2:TGID_X_EN: 1
; COMPUTE_PGM_RSRC2:TGID_Y_EN: 1
; COMPUTE_PGM_RSRC2:TGID_Z_EN: 1
; COMPUTE_PGM_RSRC2:TIDIG_COMP_CNT: 0
	.section	.text._ZL33flash_attn_stream_k_fixup_generalILi256ELi32ELi1EEvPfPK15HIP_vector_typeIfLj2EEiiiiS1_IjLj3EES5_S5_S5_,"axG",@progbits,_ZL33flash_attn_stream_k_fixup_generalILi256ELi32ELi1EEvPfPK15HIP_vector_typeIfLj2EEiiiiS1_IjLj3EES5_S5_S5_,comdat
	.globl	_ZL33flash_attn_stream_k_fixup_generalILi256ELi32ELi1EEvPfPK15HIP_vector_typeIfLj2EEiiiiS1_IjLj3EES5_S5_S5_ ; -- Begin function _ZL33flash_attn_stream_k_fixup_generalILi256ELi32ELi1EEvPfPK15HIP_vector_typeIfLj2EEiiiiS1_IjLj3EES5_S5_S5_
	.p2align	8
	.type	_ZL33flash_attn_stream_k_fixup_generalILi256ELi32ELi1EEvPfPK15HIP_vector_typeIfLj2EEiiiiS1_IjLj3EES5_S5_S5_,@function
_ZL33flash_attn_stream_k_fixup_generalILi256ELi32ELi1EEvPfPK15HIP_vector_typeIfLj2EEiiiiS1_IjLj3EES5_S5_S5_: ; @_ZL33flash_attn_stream_k_fixup_generalILi256ELi32ELi1EEvPfPK15HIP_vector_typeIfLj2EEiiiiS1_IjLj3EES5_S5_S5_
; %bb.0:
	s_clause 0x1
	s_load_b128 s[4:7], s[0:1], 0x10
	s_load_b32 s20, s[0:1], 0x50
	s_mov_b32 s2, 0
	s_waitcnt lgkmcnt(0)
	s_mul_hi_i32 s3, s7, s13
	s_mul_i32 s12, s7, s13
	s_cmp_lg_u64 s[2:3], 0
	s_cbranch_scc0 .LBB45_21
; %bb.1:
	v_cvt_f32_ubyte0_e32 v1, 0
	v_cvt_f32_u32_e32 v2, s20
	s_sub_u32 s10, 0, s20
	s_subb_u32 s11, 0, 0
	s_delay_alu instid0(VALU_DEP_1) | instskip(NEXT) | instid1(VALU_DEP_1)
	v_fmamk_f32 v1, v1, 0x4f800000, v2
	v_rcp_f32_e32 v1, v1
	s_waitcnt_depctr 0xfff
	v_mul_f32_e32 v1, 0x5f7ffffc, v1
	s_delay_alu instid0(VALU_DEP_1) | instskip(NEXT) | instid1(VALU_DEP_1)
	v_mul_f32_e32 v2, 0x2f800000, v1
	v_trunc_f32_e32 v2, v2
	s_delay_alu instid0(VALU_DEP_1) | instskip(SKIP_1) | instid1(VALU_DEP_2)
	v_fmamk_f32 v1, v2, 0xcf800000, v1
	v_cvt_u32_f32_e32 v2, v2
	v_cvt_u32_f32_e32 v1, v1
	s_delay_alu instid0(VALU_DEP_2) | instskip(NEXT) | instid1(VALU_DEP_2)
	v_readfirstlane_b32 s8, v2
	v_readfirstlane_b32 s9, v1
	s_delay_alu instid0(VALU_DEP_2) | instskip(NEXT) | instid1(VALU_DEP_1)
	s_mul_i32 s16, s10, s8
	s_mul_hi_u32 s18, s10, s9
	s_mul_i32 s17, s11, s9
	s_add_i32 s16, s18, s16
	s_mul_i32 s19, s10, s9
	s_add_i32 s16, s16, s17
	s_mul_hi_u32 s18, s9, s19
	s_mul_hi_u32 s21, s8, s19
	s_mul_i32 s17, s8, s19
	s_mul_hi_u32 s19, s9, s16
	s_mul_i32 s9, s9, s16
	s_mul_hi_u32 s22, s8, s16
	s_add_u32 s9, s18, s9
	s_addc_u32 s18, 0, s19
	s_add_u32 s9, s9, s17
	s_mul_i32 s16, s8, s16
	s_addc_u32 s9, s18, s21
	s_addc_u32 s17, s22, 0
	s_add_u32 s9, s9, s16
	s_addc_u32 s16, 0, s17
	v_add_co_u32 v1, s9, v1, s9
	s_delay_alu instid0(VALU_DEP_1) | instskip(SKIP_1) | instid1(VALU_DEP_1)
	s_cmp_lg_u32 s9, 0
	s_addc_u32 s8, s8, s16
	v_readfirstlane_b32 s9, v1
	s_mul_i32 s16, s10, s8
	s_delay_alu instid0(VALU_DEP_1)
	s_mul_hi_u32 s17, s10, s9
	s_mul_i32 s11, s11, s9
	s_add_i32 s16, s17, s16
	s_mul_i32 s10, s10, s9
	s_add_i32 s16, s16, s11
	s_mul_hi_u32 s17, s8, s10
	s_mul_i32 s18, s8, s10
	s_mul_hi_u32 s10, s9, s10
	s_mul_hi_u32 s19, s9, s16
	s_mul_i32 s9, s9, s16
	s_mul_hi_u32 s11, s8, s16
	s_add_u32 s9, s10, s9
	s_addc_u32 s10, 0, s19
	s_add_u32 s9, s9, s18
	s_mul_i32 s16, s8, s16
	s_addc_u32 s9, s10, s17
	s_addc_u32 s10, s11, 0
	s_add_u32 s9, s9, s16
	s_addc_u32 s10, 0, s10
	v_add_co_u32 v1, s9, v1, s9
	s_delay_alu instid0(VALU_DEP_1) | instskip(SKIP_2) | instid1(SALU_CYCLE_1)
	s_cmp_lg_u32 s9, 0
	s_addc_u32 s16, s8, s10
	s_ashr_i32 s8, s3, 31
	s_add_u32 s10, s12, s8
	s_addc_u32 s11, s3, s8
	v_readfirstlane_b32 s3, v1
	s_mov_b32 s9, s8
	s_delay_alu instid0(SALU_CYCLE_1) | instskip(NEXT) | instid1(SALU_CYCLE_1)
	s_xor_b64 s[10:11], s[10:11], s[8:9]
	s_mul_i32 s18, s10, s16
	s_delay_alu instid0(VALU_DEP_1)
	s_mul_hi_u32 s19, s10, s3
	s_mul_hi_u32 s17, s10, s16
	;; [unrolled: 1-line block ×3, first 2 shown]
	s_mul_i32 s3, s11, s3
	s_add_u32 s18, s19, s18
	s_addc_u32 s17, 0, s17
	s_mul_hi_u32 s21, s11, s16
	s_add_u32 s3, s18, s3
	s_mul_i32 s16, s11, s16
	s_addc_u32 s3, s17, s22
	s_addc_u32 s17, s21, 0
	s_add_u32 s3, s3, s16
	s_addc_u32 s16, 0, s17
	s_mul_i32 s18, s20, s3
	s_add_u32 s17, s3, 1
	v_sub_co_u32 v1, s10, s10, s18
	s_mul_hi_u32 s18, s20, s3
	s_addc_u32 s19, s16, 0
	s_mul_i32 s21, s20, s16
	s_delay_alu instid0(VALU_DEP_1)
	v_sub_co_u32 v2, s22, v1, s20
	s_add_u32 s23, s3, 2
	s_addc_u32 s24, s16, 0
	s_add_i32 s18, s18, s21
	s_cmp_lg_u32 s10, 0
	v_readfirstlane_b32 s10, v2
	s_subb_u32 s11, s11, s18
	s_cmp_lg_u32 s22, 0
	s_subb_u32 s18, s11, 0
	s_delay_alu instid0(VALU_DEP_1) | instskip(SKIP_4) | instid1(SALU_CYCLE_1)
	s_cmp_ge_u32 s10, s20
	s_cselect_b32 s10, -1, 0
	s_cmp_eq_u32 s18, 0
	v_readfirstlane_b32 s18, v1
	s_cselect_b32 s10, s10, -1
	s_cmp_lg_u32 s10, 0
	s_cselect_b32 s10, s23, s17
	s_cselect_b32 s17, s24, s19
	s_cmp_ge_u32 s18, s20
	s_cselect_b32 s18, -1, 0
	s_cmp_eq_u32 s11, 0
	s_cselect_b32 s11, s18, -1
	s_delay_alu instid0(SALU_CYCLE_1) | instskip(SKIP_2) | instid1(SALU_CYCLE_1)
	s_cmp_lg_u32 s11, 0
	s_cselect_b32 s11, s17, s16
	s_cselect_b32 s10, s10, s3
	s_xor_b64 s[10:11], s[10:11], s[8:9]
	s_delay_alu instid0(SALU_CYCLE_1)
	s_sub_u32 s16, s10, s8
	s_load_b128 s[8:11], s[0:1], 0x44
	s_and_not1_b32 vcc_lo, exec_lo, s2
	s_cbranch_vccnz .LBB45_3
.LBB45_2:
	v_cvt_f32_u32_e32 v1, s20
	s_sub_i32 s3, 0, s20
	s_delay_alu instid0(VALU_DEP_1) | instskip(SKIP_2) | instid1(VALU_DEP_1)
	v_rcp_iflag_f32_e32 v1, v1
	s_waitcnt_depctr 0xfff
	v_mul_f32_e32 v1, 0x4f7ffffe, v1
	v_cvt_u32_f32_e32 v1, v1
	s_delay_alu instid0(VALU_DEP_1) | instskip(NEXT) | instid1(VALU_DEP_1)
	v_readfirstlane_b32 s2, v1
	s_mul_i32 s3, s3, s2
	s_delay_alu instid0(SALU_CYCLE_1) | instskip(NEXT) | instid1(SALU_CYCLE_1)
	s_mul_hi_u32 s3, s2, s3
	s_add_i32 s2, s2, s3
	s_delay_alu instid0(SALU_CYCLE_1) | instskip(NEXT) | instid1(SALU_CYCLE_1)
	s_mul_hi_u32 s2, s12, s2
	s_mul_i32 s3, s2, s20
	s_waitcnt lgkmcnt(0)
	s_add_i32 s11, s2, 1
	s_sub_i32 s3, s12, s3
	s_delay_alu instid0(SALU_CYCLE_1)
	s_sub_i32 s12, s3, s20
	s_cmp_ge_u32 s3, s20
	s_cselect_b32 s2, s11, s2
	s_cselect_b32 s3, s12, s3
	s_add_i32 s11, s2, 1
	s_cmp_ge_u32 s3, s20
	s_cselect_b32 s16, s11, s2
.LBB45_3:
	s_waitcnt lgkmcnt(0)
	s_add_i32 s11, s13, 1
	s_mov_b32 s2, 0
	s_mul_hi_i32 s3, s7, s11
	s_mul_i32 s11, s7, s11
	s_cmp_lg_u64 s[2:3], 0
	s_cbranch_scc0 .LBB45_22
; %bb.4:
	v_cvt_f32_ubyte0_e32 v1, 0
	v_cvt_f32_u32_e32 v2, s20
	s_sub_u32 s18, 0, s20
	s_subb_u32 s19, 0, 0
	s_delay_alu instid0(VALU_DEP_1) | instskip(NEXT) | instid1(VALU_DEP_1)
	v_fmamk_f32 v1, v1, 0x4f800000, v2
	v_rcp_f32_e32 v1, v1
	s_waitcnt_depctr 0xfff
	v_mul_f32_e32 v1, 0x5f7ffffc, v1
	s_delay_alu instid0(VALU_DEP_1) | instskip(NEXT) | instid1(VALU_DEP_1)
	v_mul_f32_e32 v2, 0x2f800000, v1
	v_trunc_f32_e32 v2, v2
	s_delay_alu instid0(VALU_DEP_1) | instskip(SKIP_1) | instid1(VALU_DEP_2)
	v_fmamk_f32 v1, v2, 0xcf800000, v1
	v_cvt_u32_f32_e32 v2, v2
	v_cvt_u32_f32_e32 v1, v1
	s_delay_alu instid0(VALU_DEP_2) | instskip(NEXT) | instid1(VALU_DEP_2)
	v_readfirstlane_b32 s12, v2
	v_readfirstlane_b32 s17, v1
	s_delay_alu instid0(VALU_DEP_2) | instskip(NEXT) | instid1(VALU_DEP_1)
	s_mul_i32 s21, s18, s12
	s_mul_hi_u32 s23, s18, s17
	s_mul_i32 s22, s19, s17
	s_add_i32 s21, s23, s21
	s_mul_i32 s24, s18, s17
	s_add_i32 s21, s21, s22
	s_mul_hi_u32 s23, s17, s24
	s_mul_hi_u32 s25, s12, s24
	s_mul_i32 s22, s12, s24
	s_mul_hi_u32 s24, s17, s21
	s_mul_i32 s17, s17, s21
	s_mul_hi_u32 s26, s12, s21
	s_add_u32 s17, s23, s17
	s_addc_u32 s23, 0, s24
	s_add_u32 s17, s17, s22
	s_mul_i32 s21, s12, s21
	s_addc_u32 s17, s23, s25
	s_addc_u32 s22, s26, 0
	s_add_u32 s17, s17, s21
	s_addc_u32 s21, 0, s22
	v_add_co_u32 v1, s17, v1, s17
	s_delay_alu instid0(VALU_DEP_1) | instskip(SKIP_1) | instid1(VALU_DEP_1)
	s_cmp_lg_u32 s17, 0
	s_addc_u32 s12, s12, s21
	v_readfirstlane_b32 s17, v1
	s_mul_i32 s21, s18, s12
	s_delay_alu instid0(VALU_DEP_1)
	s_mul_hi_u32 s22, s18, s17
	s_mul_i32 s19, s19, s17
	s_add_i32 s21, s22, s21
	s_mul_i32 s18, s18, s17
	s_add_i32 s21, s21, s19
	s_mul_hi_u32 s22, s12, s18
	s_mul_i32 s23, s12, s18
	s_mul_hi_u32 s18, s17, s18
	s_mul_hi_u32 s24, s17, s21
	s_mul_i32 s17, s17, s21
	s_mul_hi_u32 s19, s12, s21
	s_add_u32 s17, s18, s17
	s_addc_u32 s18, 0, s24
	s_add_u32 s17, s17, s23
	s_mul_i32 s21, s12, s21
	s_addc_u32 s17, s18, s22
	s_addc_u32 s18, s19, 0
	s_add_u32 s17, s17, s21
	s_addc_u32 s18, 0, s18
	v_add_co_u32 v1, s17, v1, s17
	s_delay_alu instid0(VALU_DEP_1) | instskip(SKIP_2) | instid1(SALU_CYCLE_1)
	s_cmp_lg_u32 s17, 0
	s_addc_u32 s12, s12, s18
	s_ashr_i32 s18, s3, 31
	s_add_u32 s22, s11, s18
	s_addc_u32 s23, s3, s18
	v_readfirstlane_b32 s3, v1
	s_mov_b32 s19, s18
	s_delay_alu instid0(SALU_CYCLE_1) | instskip(NEXT) | instid1(SALU_CYCLE_1)
	s_xor_b64 s[22:23], s[22:23], s[18:19]
	s_mul_i32 s21, s22, s12
	s_delay_alu instid0(VALU_DEP_1)
	s_mul_hi_u32 s24, s22, s3
	s_mul_hi_u32 s17, s22, s12
	;; [unrolled: 1-line block ×3, first 2 shown]
	s_mul_i32 s3, s23, s3
	s_add_u32 s21, s24, s21
	s_addc_u32 s17, 0, s17
	s_mul_hi_u32 s25, s23, s12
	s_add_u32 s3, s21, s3
	s_mul_i32 s12, s23, s12
	s_addc_u32 s3, s17, s26
	s_addc_u32 s17, s25, 0
	s_add_u32 s3, s3, s12
	s_addc_u32 s12, 0, s17
	s_mul_i32 s21, s20, s3
	s_add_u32 s17, s3, 1
	v_sub_co_u32 v1, s21, s22, s21
	s_mul_hi_u32 s22, s20, s3
	s_addc_u32 s24, s12, 0
	s_mul_i32 s25, s20, s12
	s_delay_alu instid0(VALU_DEP_1)
	v_sub_co_u32 v2, s26, v1, s20
	s_add_u32 s27, s3, 2
	s_addc_u32 s28, s12, 0
	s_add_i32 s22, s22, s25
	s_cmp_lg_u32 s21, 0
	v_readfirstlane_b32 s21, v2
	s_subb_u32 s22, s23, s22
	s_cmp_lg_u32 s26, 0
	s_subb_u32 s23, s22, 0
	s_delay_alu instid0(VALU_DEP_1) | instskip(SKIP_4) | instid1(SALU_CYCLE_1)
	s_cmp_ge_u32 s21, s20
	s_cselect_b32 s21, -1, 0
	s_cmp_eq_u32 s23, 0
	v_readfirstlane_b32 s23, v1
	s_cselect_b32 s21, s21, -1
	s_cmp_lg_u32 s21, 0
	s_cselect_b32 s17, s27, s17
	s_cselect_b32 s21, s28, s24
	s_cmp_ge_u32 s23, s20
	s_cselect_b32 s23, -1, 0
	s_cmp_eq_u32 s22, 0
	s_cselect_b32 s22, s23, -1
	s_delay_alu instid0(SALU_CYCLE_1) | instskip(SKIP_2) | instid1(SALU_CYCLE_1)
	s_cmp_lg_u32 s22, 0
	s_cselect_b32 s23, s21, s12
	s_cselect_b32 s22, s17, s3
	s_xor_b64 s[22:23], s[22:23], s[18:19]
	s_delay_alu instid0(SALU_CYCLE_1)
	s_sub_u32 s18, s22, s18
	s_and_not1_b32 vcc_lo, exec_lo, s2
	s_cbranch_vccnz .LBB45_6
.LBB45_5:
	v_cvt_f32_u32_e32 v1, s20
	s_sub_i32 s3, 0, s20
	s_delay_alu instid0(VALU_DEP_1) | instskip(SKIP_2) | instid1(VALU_DEP_1)
	v_rcp_iflag_f32_e32 v1, v1
	s_waitcnt_depctr 0xfff
	v_mul_f32_e32 v1, 0x4f7ffffe, v1
	v_cvt_u32_f32_e32 v1, v1
	s_delay_alu instid0(VALU_DEP_1) | instskip(NEXT) | instid1(VALU_DEP_1)
	v_readfirstlane_b32 s2, v1
	s_mul_i32 s3, s3, s2
	s_delay_alu instid0(SALU_CYCLE_1) | instskip(NEXT) | instid1(SALU_CYCLE_1)
	s_mul_hi_u32 s3, s2, s3
	s_add_i32 s2, s2, s3
	s_delay_alu instid0(SALU_CYCLE_1) | instskip(NEXT) | instid1(SALU_CYCLE_1)
	s_mul_hi_u32 s2, s11, s2
	s_mul_i32 s3, s2, s20
	s_delay_alu instid0(SALU_CYCLE_1)
	s_sub_i32 s3, s11, s3
	s_add_i32 s11, s2, 1
	s_sub_i32 s12, s3, s20
	s_cmp_ge_u32 s3, s20
	s_cselect_b32 s2, s11, s2
	s_cselect_b32 s3, s12, s3
	s_add_i32 s11, s2, 1
	s_cmp_ge_u32 s3, s20
	s_cselect_b32 s18, s11, s2
.LBB45_6:
	s_delay_alu instid0(SALU_CYCLE_1) | instskip(SKIP_3) | instid1(SALU_CYCLE_1)
	s_cmp_eq_u32 s16, s18
	s_mul_hi_u32 s2, s16, s8
	s_cselect_b32 s3, -1, 0
	s_add_i32 s2, s2, s16
	s_lshr_b32 s11, s2, s9
	s_delay_alu instid0(SALU_CYCLE_1) | instskip(NEXT) | instid1(SALU_CYCLE_1)
	s_mul_i32 s2, s11, s10
	s_cmp_eq_u32 s2, s16
	s_mul_hi_u32 s2, s18, s8
	s_cselect_b32 s12, -1, 0
	s_add_i32 s2, s2, s18
	s_delay_alu instid0(SALU_CYCLE_1) | instskip(NEXT) | instid1(SALU_CYCLE_1)
	s_lshr_b32 s2, s2, s9
	s_cmp_eq_u32 s11, s2
	s_mul_i32 s2, s2, s10
	s_cselect_b32 s17, -1, 0
	s_cmp_lg_u32 s2, s18
	s_cselect_b32 s2, -1, 0
	s_or_b32 s3, s3, s12
	s_and_b32 s2, s17, s2
	s_delay_alu instid0(SALU_CYCLE_1) | instskip(NEXT) | instid1(SALU_CYCLE_1)
	s_or_b32 s2, s3, s2
	s_and_b32 vcc_lo, exec_lo, s2
	s_cbranch_vccnz .LBB45_24
; %bb.7:
	s_load_b256 s[24:31], s[0:1], 0x20
	s_waitcnt lgkmcnt(0)
	s_mul_hi_u32 s2, s16, s24
	s_delay_alu instid0(SALU_CYCLE_1) | instskip(NEXT) | instid1(SALU_CYCLE_1)
	s_add_i32 s2, s2, s16
	s_lshr_b32 s18, s2, s25
	s_load_b32 s2, s[0:1], 0x40
	s_mul_i32 s3, s18, s26
	s_delay_alu instid0(SALU_CYCLE_1) | instskip(NEXT) | instid1(SALU_CYCLE_1)
	s_sub_i32 s3, s16, s3
	s_mul_hi_u32 s12, s3, s27
	s_delay_alu instid0(SALU_CYCLE_1) | instskip(NEXT) | instid1(SALU_CYCLE_1)
	s_add_i32 s12, s3, s12
	s_lshr_b32 s21, s12, s28
	s_delay_alu instid0(SALU_CYCLE_1) | instskip(NEXT) | instid1(SALU_CYCLE_1)
	s_mul_i32 s12, s21, s29
	s_sub_i32 s3, s3, s12
	s_delay_alu instid0(SALU_CYCLE_1) | instskip(NEXT) | instid1(SALU_CYCLE_1)
	s_mul_hi_u32 s12, s3, s30
	s_add_i32 s12, s3, s12
	s_delay_alu instid0(SALU_CYCLE_1) | instskip(SKIP_3) | instid1(SALU_CYCLE_1)
	s_lshr_b32 s22, s12, s31
	s_mov_b32 s12, 0
	s_waitcnt lgkmcnt(0)
	s_mul_i32 s2, s22, s2
	s_sub_i32 s2, s3, s2
	s_delay_alu instid0(SALU_CYCLE_1) | instskip(NEXT) | instid1(SALU_CYCLE_1)
	s_mul_hi_u32 s3, s2, s8
	s_add_i32 s2, s2, s3
	s_delay_alu instid0(SALU_CYCLE_1) | instskip(NEXT) | instid1(SALU_CYCLE_1)
	s_lshr_b32 s23, s2, s9
	s_lshl_b32 s2, s23, 5
	s_delay_alu instid0(SALU_CYCLE_1) | instskip(NEXT) | instid1(SALU_CYCLE_1)
	s_add_i32 s2, s2, s14
	s_cmp_lt_i32 s2, s4
	s_cselect_b32 s2, -1, 0
	s_add_i32 s3, s22, s15
	s_delay_alu instid0(SALU_CYCLE_1) | instskip(SKIP_1) | instid1(SALU_CYCLE_1)
	s_cmp_lt_i32 s3, s6
	s_cselect_b32 s3, -1, 0
	s_and_b32 s2, s2, s3
	s_delay_alu instid0(SALU_CYCLE_1)
	s_and_not1_b32 vcc_lo, exec_lo, s2
	s_cbranch_vccnz .LBB45_24
; %bb.8:
	s_load_b128 s[0:3], s[0:1], 0x0
	s_lshl_b32 s24, s20, 7
	s_mov_b32 s25, s12
	s_add_i32 s17, s14, s15
	s_lshl_b64 s[24:25], s[24:25], 2
	s_mul_i32 s4, s18, s4
	s_mul_i32 s21, s21, s6
	v_cvt_f32_ubyte0_e32 v4, 0
	v_cvt_f32_u32_e32 v5, s20
	s_waitcnt lgkmcnt(0)
	s_add_u32 s18, s2, s24
	s_addc_u32 s19, s3, s25
	s_add_i32 s4, s4, s14
	s_delay_alu instid0(SALU_CYCLE_1) | instskip(SKIP_4) | instid1(SALU_CYCLE_1)
	s_mul_i32 s4, s4, s5
	s_mul_i32 s5, s5, s23
	s_add_i32 s4, s4, s15
	s_lshl_b32 s5, s5, 13
	s_add_i32 s4, s4, s21
	s_add_i32 s4, s4, s22
	s_delay_alu instid0(SALU_CYCLE_1) | instskip(NEXT) | instid1(SALU_CYCLE_1)
	s_lshl_b32 s4, s4, 8
	s_add_i32 s5, s5, s4
	s_delay_alu instid0(SALU_CYCLE_1) | instskip(SKIP_1) | instid1(VALU_DEP_2)
	v_or_b32_e32 v1, s5, v0
	v_lshl_or_b32 v0, s17, 8, v0
	v_ashrrev_i32_e32 v2, 31, v1
	s_delay_alu instid0(VALU_DEP_1) | instskip(NEXT) | instid1(VALU_DEP_1)
	v_lshlrev_b64 v[1:2], 2, v[1:2]
	v_add_co_u32 v1, vcc_lo, s0, v1
	s_delay_alu instid0(VALU_DEP_2) | instskip(SKIP_1) | instid1(SALU_CYCLE_1)
	v_add_co_ci_u32_e32 v2, vcc_lo, s1, v2, vcc_lo
	s_lshl_b32 s0, s13, 5
	s_add_i32 s0, s0, s17
	global_load_b32 v3, v[1:2], off
	s_ashr_i32 s1, s0, 31
	s_delay_alu instid0(SALU_CYCLE_1) | instskip(NEXT) | instid1(SALU_CYCLE_1)
	s_lshl_b64 s[0:1], s[0:1], 3
	s_add_u32 s0, s2, s0
	s_addc_u32 s1, s3, s1
	s_add_i32 s14, s13, -1
	s_load_b64 s[0:1], s[0:1], 0x0
	v_fmac_f32_e32 v5, 0x4f800000, v4
	s_sub_i32 s6, 0, s20
	s_waitcnt lgkmcnt(0)
	v_mov_b32_e32 v8, s0
	s_delay_alu instid0(VALU_DEP_2) | instskip(SKIP_2) | instid1(VALU_DEP_2)
	v_rcp_f32_e32 v4, v5
	v_cvt_f32_u32_e32 v5, s20
	v_mov_b32_e32 v7, s1
	v_rcp_iflag_f32_e32 v5, v5
	s_waitcnt_depctr 0xfff
	v_mul_f32_e32 v4, 0x5f7ffffc, v4
	s_delay_alu instid0(VALU_DEP_1) | instskip(SKIP_1) | instid1(VALU_DEP_2)
	v_mul_f32_e32 v6, 0x2f800000, v4
	v_mul_f32_e32 v9, 0x4f7ffffe, v5
	v_trunc_f32_e32 v6, v6
	s_delay_alu instid0(VALU_DEP_1) | instskip(SKIP_1) | instid1(VALU_DEP_4)
	v_fmac_f32_e32 v4, 0xcf800000, v6
	v_cvt_u32_f32_e32 v5, v6
	v_cvt_u32_f32_e32 v6, v9
	s_delay_alu instid0(VALU_DEP_3)
	v_cvt_u32_f32_e32 v4, v4
.LBB45_9:                               ; =>This Inner Loop Header: Depth=1
	s_mul_hi_i32 s13, s14, s7
	s_mul_i32 s4, s14, s7
	s_cmp_lg_u64 s[12:13], 0
	s_mov_b32 s5, -1
                                        ; implicit-def: $sgpr0_sgpr1
	s_cbranch_scc0 .LBB45_11
; %bb.10:                               ;   in Loop: Header=BB45_9 Depth=1
	v_readfirstlane_b32 s0, v4
	v_readfirstlane_b32 s1, v5
	s_sub_u32 s5, 0, s20
	s_subb_u32 s15, 0, 0
	s_delay_alu instid0(VALU_DEP_2) | instskip(NEXT) | instid1(VALU_DEP_1)
	s_mul_hi_u32 s21, s5, s0
	s_mul_i32 s22, s5, s1
	s_mul_i32 s23, s15, s0
	s_add_i32 s21, s21, s22
	s_mul_i32 s22, s5, s0
	s_add_i32 s21, s21, s23
	s_mul_hi_u32 s23, s0, s22
	s_mul_i32 s24, s0, s21
	s_mul_hi_u32 s0, s0, s21
	s_add_u32 s23, s23, s24
	s_mul_i32 s25, s1, s22
	s_addc_u32 s0, 0, s0
	s_mul_hi_u32 s22, s1, s22
	s_mul_hi_u32 s24, s1, s21
	s_add_u32 s23, s23, s25
	s_addc_u32 s0, s0, s22
	s_mul_i32 s21, s1, s21
	s_addc_u32 s22, s24, 0
	s_add_u32 s0, s0, s21
	s_addc_u32 s21, 0, s22
	v_add_co_u32 v9, s0, v4, s0
	s_delay_alu instid0(VALU_DEP_1) | instskip(SKIP_1) | instid1(VALU_DEP_1)
	s_cmp_lg_u32 s0, 0
	s_addc_u32 s1, s1, s21
	v_readfirstlane_b32 s0, v9
	s_mul_i32 s21, s5, s1
	s_delay_alu instid0(VALU_DEP_1)
	s_mul_hi_u32 s22, s5, s0
	s_mul_i32 s15, s15, s0
	s_add_i32 s21, s22, s21
	s_mul_i32 s5, s5, s0
	s_add_i32 s21, s21, s15
	s_mul_hi_u32 s15, s1, s5
	s_mul_i32 s23, s1, s5
	s_mul_i32 s24, s0, s21
	s_mul_hi_u32 s5, s0, s5
	s_mul_hi_u32 s0, s0, s21
	s_add_u32 s5, s5, s24
	s_addc_u32 s0, 0, s0
	s_mul_hi_u32 s22, s1, s21
	s_add_u32 s5, s5, s23
	s_addc_u32 s0, s0, s15
	s_mul_i32 s5, s1, s21
	s_addc_u32 s15, s22, 0
	s_add_u32 s0, s0, s5
	s_addc_u32 s5, 0, s15
	v_add_co_u32 v9, s0, v9, s0
	s_delay_alu instid0(VALU_DEP_1) | instskip(SKIP_2) | instid1(SALU_CYCLE_1)
	s_cmp_lg_u32 s0, 0
	s_addc_u32 s5, s1, s5
	s_ashr_i32 s0, s13, 31
	s_add_u32 s22, s4, s0
	s_addc_u32 s23, s13, s0
	v_readfirstlane_b32 s13, v9
	s_mov_b32 s1, s0
	s_delay_alu instid0(SALU_CYCLE_1) | instskip(NEXT) | instid1(SALU_CYCLE_1)
	s_xor_b64 s[22:23], s[22:23], s[0:1]
	s_mul_i32 s15, s22, s5
	s_delay_alu instid0(VALU_DEP_1)
	s_mul_hi_u32 s21, s22, s13
	s_mul_hi_u32 s24, s22, s5
	s_add_u32 s15, s21, s15
	s_mul_i32 s25, s23, s13
	s_addc_u32 s21, 0, s24
	s_mul_hi_u32 s13, s23, s13
	s_mul_hi_u32 s24, s23, s5
	s_add_u32 s15, s15, s25
	s_addc_u32 s13, s21, s13
	s_mul_i32 s5, s23, s5
	s_addc_u32 s15, s24, 0
	s_add_u32 s5, s13, s5
	s_addc_u32 s13, 0, s15
	s_mul_i32 s21, s20, s5
	s_add_u32 s15, s5, 1
	v_sub_co_u32 v9, s21, s22, s21
	s_addc_u32 s22, s13, 0
	s_mul_i32 s25, s20, s13
	s_mul_hi_u32 s27, s20, s5
	s_delay_alu instid0(VALU_DEP_1)
	v_sub_co_u32 v10, s26, v9, s20
	s_add_u32 s24, s5, 2
	s_addc_u32 s28, s13, 0
	s_add_i32 s27, s27, s25
	s_cmp_lg_u32 s21, 0
	v_readfirstlane_b32 s21, v10
	s_subb_u32 s23, s23, s27
	s_cmp_lg_u32 s26, 0
	s_subb_u32 s25, s23, 0
	s_delay_alu instid0(VALU_DEP_1) | instskip(SKIP_4) | instid1(SALU_CYCLE_1)
	s_cmp_ge_u32 s21, s20
	s_cselect_b32 s21, -1, 0
	s_cmp_eq_u32 s25, 0
	v_readfirstlane_b32 s25, v9
	s_cselect_b32 s21, s21, -1
	s_cmp_lg_u32 s21, 0
	s_cselect_b32 s15, s24, s15
	s_cselect_b32 s21, s28, s22
	s_cmp_ge_u32 s25, s20
	s_cselect_b32 s22, -1, 0
	s_cmp_eq_u32 s23, 0
	s_cselect_b32 s22, s22, -1
	s_delay_alu instid0(SALU_CYCLE_1) | instskip(SKIP_4) | instid1(SALU_CYCLE_1)
	s_cmp_lg_u32 s22, 0
	s_cselect_b32 s23, s21, s13
	s_cselect_b32 s22, s15, s5
	s_mov_b32 s5, 0
	s_xor_b64 s[22:23], s[22:23], s[0:1]
	s_sub_u32 s0, s22, s0
.LBB45_11:                              ;   in Loop: Header=BB45_9 Depth=1
	s_and_not1_b32 vcc_lo, exec_lo, s5
	s_cbranch_vccnz .LBB45_13
; %bb.12:                               ;   in Loop: Header=BB45_9 Depth=1
	v_readfirstlane_b32 s0, v6
	s_delay_alu instid0(VALU_DEP_1) | instskip(NEXT) | instid1(SALU_CYCLE_1)
	s_mul_i32 s1, s6, s0
	s_mul_hi_u32 s1, s0, s1
	s_delay_alu instid0(SALU_CYCLE_1) | instskip(NEXT) | instid1(SALU_CYCLE_1)
	s_add_i32 s0, s0, s1
	s_mul_hi_u32 s0, s4, s0
	s_delay_alu instid0(SALU_CYCLE_1) | instskip(NEXT) | instid1(SALU_CYCLE_1)
	s_mul_i32 s1, s0, s20
	s_sub_i32 s1, s4, s1
	s_add_i32 s4, s0, 1
	s_sub_i32 s5, s1, s20
	s_cmp_ge_u32 s1, s20
	s_cselect_b32 s0, s4, s0
	s_cselect_b32 s1, s5, s1
	s_add_i32 s4, s0, 1
	s_cmp_ge_u32 s1, s20
	s_cselect_b32 s0, s4, s0
.LBB45_13:                              ;   in Loop: Header=BB45_9 Depth=1
	s_delay_alu instid0(SALU_CYCLE_1)
	s_cmp_lg_u32 s16, s0
	s_cbranch_scc0 .LBB45_17
; %bb.14:                               ;   in Loop: Header=BB45_9 Depth=1
	s_add_i32 s1, s14, s20
	s_mov_b32 s5, s12
	s_lshl_b32 s1, s1, 5
	s_mov_b32 s15, s16
	s_add_i32 s4, s1, s17
	s_mul_hi_u32 s1, s0, s8
	s_lshl_b64 s[4:5], s[4:5], 3
	s_delay_alu instid0(SALU_CYCLE_1) | instskip(SKIP_2) | instid1(SALU_CYCLE_1)
	s_add_u32 s4, s2, s4
	s_addc_u32 s5, s3, s5
	s_add_i32 s1, s1, s0
	s_lshr_b32 s1, s1, s9
	s_delay_alu instid0(SALU_CYCLE_1) | instskip(NEXT) | instid1(SALU_CYCLE_1)
	s_mul_i32 s13, s1, s10
	s_cmp_eq_u32 s13, s0
	s_cselect_b32 s13, -1, 0
	s_cmp_lt_u32 s1, s11
	s_cselect_b32 s1, -1, 0
	s_delay_alu instid0(SALU_CYCLE_1)
	s_or_b32 s1, s1, s13
	s_mov_b32 s13, -1
	s_and_b32 vcc_lo, exec_lo, s1
	s_mov_b32 s1, s14
	s_cbranch_vccnz .LBB45_16
; %bb.15:                               ;   in Loop: Header=BB45_9 Depth=1
	s_add_i32 s1, s14, -1
	s_mov_b32 s13, 0
	s_mov_b32 s15, s0
.LBB45_16:                              ;   in Loop: Header=BB45_9 Depth=1
	v_lshl_add_u32 v9, s14, 13, v0
	s_load_b64 s[4:5], s[4:5], 0x0
	s_delay_alu instid0(VALU_DEP_1) | instskip(NEXT) | instid1(VALU_DEP_1)
	v_ashrrev_i32_e32 v10, 31, v9
	v_lshlrev_b64 v[9:10], 2, v[9:10]
	s_delay_alu instid0(VALU_DEP_1) | instskip(NEXT) | instid1(VALU_DEP_2)
	v_add_co_u32 v9, vcc_lo, s18, v9
	v_add_co_ci_u32_e32 v10, vcc_lo, s19, v10, vcc_lo
	s_waitcnt lgkmcnt(0)
	v_max_f32_e64 v11, s4, s4
	global_load_b32 v10, v[9:10], off
	v_max_f32_e32 v9, v8, v8
	s_delay_alu instid0(VALU_DEP_1) | instskip(NEXT) | instid1(VALU_DEP_1)
	v_max_f32_e32 v9, v9, v11
	v_sub_f32_e32 v12, v8, v9
	s_delay_alu instid0(VALU_DEP_1) | instskip(NEXT) | instid1(VALU_DEP_1)
	v_dual_mul_f32 v14, 0x3fb8aa3b, v12 :: v_dual_sub_f32 v11, s4, v9
	v_rndne_f32_e32 v18, v14
	s_delay_alu instid0(VALU_DEP_2) | instskip(SKIP_2) | instid1(VALU_DEP_4)
	v_mul_f32_e32 v13, 0x3fb8aa3b, v11
	v_fma_f32 v17, 0x3fb8aa3b, v12, -v14
	v_cmp_ngt_f32_e32 vcc_lo, 0xc2ce8ed0, v11
	v_sub_f32_e32 v14, v14, v18
	s_delay_alu instid0(VALU_DEP_4) | instskip(SKIP_2) | instid1(VALU_DEP_3)
	v_fma_f32 v15, 0x3fb8aa3b, v11, -v13
	v_rndne_f32_e32 v16, v13
	v_fmac_f32_e32 v17, 0x32a5705f, v12
	v_fmac_f32_e32 v15, 0x32a5705f, v11
	s_delay_alu instid0(VALU_DEP_2) | instskip(NEXT) | instid1(VALU_DEP_1)
	v_dual_sub_f32 v13, v13, v16 :: v_dual_add_f32 v14, v14, v17
	v_add_f32_e32 v13, v13, v15
	s_delay_alu instid0(VALU_DEP_2) | instskip(SKIP_2) | instid1(VALU_DEP_3)
	v_exp_f32_e32 v14, v14
	v_cvt_i32_f32_e32 v15, v16
	v_cvt_i32_f32_e32 v16, v18
	v_exp_f32_e32 v13, v13
	s_waitcnt_depctr 0xfff
	v_ldexp_f32 v14, v14, v16
	v_ldexp_f32 v13, v13, v15
	s_delay_alu instid0(VALU_DEP_1) | instskip(SKIP_1) | instid1(VALU_DEP_4)
	v_cndmask_b32_e32 v13, 0, v13, vcc_lo
	v_cmp_ngt_f32_e32 vcc_lo, 0xc2ce8ed0, v12
	v_cndmask_b32_e32 v14, 0, v14, vcc_lo
	v_cmp_nlt_f32_e32 vcc_lo, 0x42b17218, v11
	s_delay_alu instid0(VALU_DEP_4) | instskip(SKIP_1) | instid1(VALU_DEP_4)
	v_cndmask_b32_e32 v13, 0x7f800000, v13, vcc_lo
	v_cmp_nlt_f32_e32 vcc_lo, 0x42b17218, v12
	v_cndmask_b32_e32 v14, 0x7f800000, v14, vcc_lo
	v_cmp_le_f32_e32 vcc_lo, 0xc1a00000, v11
	s_delay_alu instid0(VALU_DEP_4) | instskip(SKIP_1) | instid1(VALU_DEP_4)
	v_cndmask_b32_e32 v11, 0, v13, vcc_lo
	v_cmp_le_f32_e32 vcc_lo, 0xc1a00000, v12
	v_cndmask_b32_e32 v12, 0, v14, vcc_lo
	s_waitcnt vmcnt(0)
	s_delay_alu instid0(VALU_DEP_3) | instskip(NEXT) | instid1(VALU_DEP_1)
	v_mul_f32_e32 v10, v10, v11
	v_dual_mul_f32 v11, s5, v11 :: v_dual_fmac_f32 v10, v3, v12
	s_delay_alu instid0(VALU_DEP_1)
	v_fmac_f32_e32 v11, v7, v12
	s_cbranch_execz .LBB45_18
	s_branch .LBB45_19
.LBB45_17:                              ;   in Loop: Header=BB45_9 Depth=1
                                        ; implicit-def: $sgpr13
                                        ; implicit-def: $vgpr10
                                        ; implicit-def: $vgpr9
                                        ; implicit-def: $vgpr11
                                        ; implicit-def: $sgpr1
                                        ; implicit-def: $sgpr15
.LBB45_18:                              ;   in Loop: Header=BB45_9 Depth=1
	v_mov_b32_e32 v11, v7
	s_waitcnt vmcnt(0)
	v_dual_mov_b32 v9, v8 :: v_dual_mov_b32 v10, v3
	s_add_i32 s1, s14, -1
	s_mov_b32 s13, 0
	s_mov_b32 s15, s16
.LBB45_19:                              ;   in Loop: Header=BB45_9 Depth=1
	s_and_not1_b32 vcc_lo, exec_lo, s13
	s_cbranch_vccz .LBB45_23
; %bb.20:                               ;   in Loop: Header=BB45_9 Depth=1
	v_dual_mov_b32 v7, v11 :: v_dual_mov_b32 v8, v9
	s_waitcnt vmcnt(0)
	v_mov_b32_e32 v3, v10
	s_mov_b32 s16, s15
	s_mov_b32 s14, s1
	s_branch .LBB45_9
.LBB45_21:
                                        ; implicit-def: $sgpr16_sgpr17
	s_load_b128 s[8:11], s[0:1], 0x44
	s_branch .LBB45_2
.LBB45_22:
                                        ; implicit-def: $sgpr18_sgpr19
	s_branch .LBB45_5
.LBB45_23:
	v_div_scale_f32 v0, null, v11, v11, v10
	s_waitcnt vmcnt(0)
	s_delay_alu instid0(VALU_DEP_1) | instskip(SKIP_2) | instid1(VALU_DEP_1)
	v_rcp_f32_e32 v3, v0
	s_waitcnt_depctr 0xfff
	v_fma_f32 v4, -v0, v3, 1.0
	v_fmac_f32_e32 v3, v4, v3
	v_div_scale_f32 v4, vcc_lo, v10, v11, v10
	s_delay_alu instid0(VALU_DEP_1) | instskip(NEXT) | instid1(VALU_DEP_1)
	v_mul_f32_e32 v5, v4, v3
	v_fma_f32 v6, -v0, v5, v4
	s_delay_alu instid0(VALU_DEP_1) | instskip(NEXT) | instid1(VALU_DEP_1)
	v_fmac_f32_e32 v5, v6, v3
	v_fma_f32 v0, -v0, v5, v4
	s_delay_alu instid0(VALU_DEP_1) | instskip(NEXT) | instid1(VALU_DEP_1)
	v_div_fmas_f32 v0, v0, v3, v5
	v_div_fixup_f32 v0, v0, v11, v10
	global_store_b32 v[1:2], v0, off
.LBB45_24:
	s_nop 0
	s_sendmsg sendmsg(MSG_DEALLOC_VGPRS)
	s_endpgm
	.section	.rodata,"a",@progbits
	.p2align	6, 0x0
	.amdhsa_kernel _ZL33flash_attn_stream_k_fixup_generalILi256ELi32ELi1EEvPfPK15HIP_vector_typeIfLj2EEiiiiS1_IjLj3EES5_S5_S5_
		.amdhsa_group_segment_fixed_size 0
		.amdhsa_private_segment_fixed_size 0
		.amdhsa_kernarg_size 336
		.amdhsa_user_sgpr_count 13
		.amdhsa_user_sgpr_dispatch_ptr 0
		.amdhsa_user_sgpr_queue_ptr 0
		.amdhsa_user_sgpr_kernarg_segment_ptr 1
		.amdhsa_user_sgpr_dispatch_id 0
		.amdhsa_user_sgpr_private_segment_size 0
		.amdhsa_wavefront_size32 1
		.amdhsa_uses_dynamic_stack 0
		.amdhsa_enable_private_segment 0
		.amdhsa_system_sgpr_workgroup_id_x 1
		.amdhsa_system_sgpr_workgroup_id_y 1
		.amdhsa_system_sgpr_workgroup_id_z 1
		.amdhsa_system_sgpr_workgroup_info 0
		.amdhsa_system_vgpr_workitem_id 0
		.amdhsa_next_free_vgpr 19
		.amdhsa_next_free_sgpr 32
		.amdhsa_reserve_vcc 1
		.amdhsa_float_round_mode_32 0
		.amdhsa_float_round_mode_16_64 0
		.amdhsa_float_denorm_mode_32 3
		.amdhsa_float_denorm_mode_16_64 3
		.amdhsa_dx10_clamp 1
		.amdhsa_ieee_mode 1
		.amdhsa_fp16_overflow 0
		.amdhsa_workgroup_processor_mode 1
		.amdhsa_memory_ordered 1
		.amdhsa_forward_progress 0
		.amdhsa_shared_vgpr_count 0
		.amdhsa_exception_fp_ieee_invalid_op 0
		.amdhsa_exception_fp_denorm_src 0
		.amdhsa_exception_fp_ieee_div_zero 0
		.amdhsa_exception_fp_ieee_overflow 0
		.amdhsa_exception_fp_ieee_underflow 0
		.amdhsa_exception_fp_ieee_inexact 0
		.amdhsa_exception_int_div_zero 0
	.end_amdhsa_kernel
	.section	.text._ZL33flash_attn_stream_k_fixup_generalILi256ELi32ELi1EEvPfPK15HIP_vector_typeIfLj2EEiiiiS1_IjLj3EES5_S5_S5_,"axG",@progbits,_ZL33flash_attn_stream_k_fixup_generalILi256ELi32ELi1EEvPfPK15HIP_vector_typeIfLj2EEiiiiS1_IjLj3EES5_S5_S5_,comdat
.Lfunc_end45:
	.size	_ZL33flash_attn_stream_k_fixup_generalILi256ELi32ELi1EEvPfPK15HIP_vector_typeIfLj2EEiiiiS1_IjLj3EES5_S5_S5_, .Lfunc_end45-_ZL33flash_attn_stream_k_fixup_generalILi256ELi32ELi1EEvPfPK15HIP_vector_typeIfLj2EEiiiiS1_IjLj3EES5_S5_S5_
                                        ; -- End function
	.section	.AMDGPU.csdata,"",@progbits
; Kernel info:
; codeLenInByte = 3220
; NumSgprs: 34
; NumVgprs: 19
; ScratchSize: 0
; MemoryBound: 0
; FloatMode: 240
; IeeeMode: 1
; LDSByteSize: 0 bytes/workgroup (compile time only)
; SGPRBlocks: 4
; VGPRBlocks: 2
; NumSGPRsForWavesPerEU: 34
; NumVGPRsForWavesPerEU: 19
; Occupancy: 16
; WaveLimiterHint : 0
; COMPUTE_PGM_RSRC2:SCRATCH_EN: 0
; COMPUTE_PGM_RSRC2:USER_SGPR: 13
; COMPUTE_PGM_RSRC2:TRAP_HANDLER: 0
; COMPUTE_PGM_RSRC2:TGID_X_EN: 1
; COMPUTE_PGM_RSRC2:TGID_Y_EN: 1
; COMPUTE_PGM_RSRC2:TGID_Z_EN: 1
; COMPUTE_PGM_RSRC2:TIDIG_COMP_CNT: 0
	.section	.text._ZL15flash_attn_tileILi256ELi256ELi16ELi1ELb0EEvPKcS1_S1_S1_S1_PKiPfP15HIP_vector_typeIfLj2EEffffjfiS5_IjLj3EEiiiiiiiiiiiliiliiiiil,"axG",@progbits,_ZL15flash_attn_tileILi256ELi256ELi16ELi1ELb0EEvPKcS1_S1_S1_S1_PKiPfP15HIP_vector_typeIfLj2EEffffjfiS5_IjLj3EEiiiiiiiiiiiliiliiiiil,comdat
	.globl	_ZL15flash_attn_tileILi256ELi256ELi16ELi1ELb0EEvPKcS1_S1_S1_S1_PKiPfP15HIP_vector_typeIfLj2EEffffjfiS5_IjLj3EEiiiiiiiiiiiliiliiiiil ; -- Begin function _ZL15flash_attn_tileILi256ELi256ELi16ELi1ELb0EEvPKcS1_S1_S1_S1_PKiPfP15HIP_vector_typeIfLj2EEffffjfiS5_IjLj3EEiiiiiiiiiiiliiliiiiil
	.p2align	8
	.type	_ZL15flash_attn_tileILi256ELi256ELi16ELi1ELb0EEvPKcS1_S1_S1_S1_PKiPfP15HIP_vector_typeIfLj2EEffffjfiS5_IjLj3EEiiiiiiiiiiiliiliiiiil,@function
_ZL15flash_attn_tileILi256ELi256ELi16ELi1ELb0EEvPKcS1_S1_S1_S1_PKiPfP15HIP_vector_typeIfLj2EEffffjfiS5_IjLj3EEiiiiiiiiiiiliiliiiiil: ; @_ZL15flash_attn_tileILi256ELi256ELi16ELi1ELb0EEvPKcS1_S1_S1_S1_PKiPfP15HIP_vector_typeIfLj2EEffffjfiS5_IjLj3EEiiiiiiiiiiiliiliiiiil
; %bb.0:
	s_clause 0x3
	s_load_b128 s[8:11], s[0:1], 0x5c
	s_load_b64 s[42:43], s[0:1], 0x80
	s_load_b512 s[16:31], s[0:1], 0x0
	s_load_b64 s[44:45], s[0:1], 0xb8
	s_mov_b64 s[40:41], 0
	s_waitcnt lgkmcnt(0)
	v_cvt_f32_u32_e32 v1, s11
	s_sub_i32 s3, 0, s11
	s_delay_alu instid0(VALU_DEP_1) | instskip(SKIP_2) | instid1(VALU_DEP_1)
	v_rcp_iflag_f32_e32 v1, v1
	s_waitcnt_depctr 0xfff
	v_mul_f32_e32 v1, 0x4f7ffffe, v1
	v_cvt_u32_f32_e32 v1, v1
	s_delay_alu instid0(VALU_DEP_1) | instskip(NEXT) | instid1(VALU_DEP_1)
	v_readfirstlane_b32 s2, v1
	s_mul_i32 s3, s3, s2
	s_delay_alu instid0(SALU_CYCLE_1) | instskip(NEXT) | instid1(SALU_CYCLE_1)
	s_mul_hi_u32 s3, s2, s3
	s_add_i32 s2, s2, s3
	s_delay_alu instid0(SALU_CYCLE_1) | instskip(NEXT) | instid1(SALU_CYCLE_1)
	s_mul_hi_u32 s2, s15, s2
	s_mul_i32 s3, s2, s11
	s_add_i32 s4, s2, 1
	s_sub_i32 s3, s15, s3
	s_delay_alu instid0(SALU_CYCLE_1)
	s_sub_i32 s5, s3, s11
	s_cmp_ge_u32 s3, s11
	s_cselect_b32 s2, s4, s2
	s_cselect_b32 s3, s5, s3
	s_add_i32 s4, s2, 1
	s_cmp_ge_u32 s3, s11
	s_cselect_b32 s12, s4, s2
	s_abs_i32 s2, s43
	s_abs_i32 s6, s11
	v_cvt_f32_u32_e32 v1, s2
	s_sub_i32 s4, 0, s2
	s_mul_i32 s5, s12, s11
	s_delay_alu instid0(SALU_CYCLE_1) | instskip(NEXT) | instid1(VALU_DEP_1)
	s_sub_i32 s34, s15, s5
	v_rcp_iflag_f32_e32 v1, v1
	s_waitcnt_depctr 0xfff
	v_mul_f32_e32 v1, 0x4f7ffffe, v1
	s_delay_alu instid0(VALU_DEP_1) | instskip(NEXT) | instid1(VALU_DEP_1)
	v_cvt_u32_f32_e32 v1, v1
	v_readfirstlane_b32 s3, v1
	s_delay_alu instid0(VALU_DEP_1) | instskip(NEXT) | instid1(SALU_CYCLE_1)
	s_mul_i32 s4, s4, s3
	s_mul_hi_u32 s4, s3, s4
	s_delay_alu instid0(SALU_CYCLE_1) | instskip(SKIP_4) | instid1(SALU_CYCLE_1)
	s_add_i32 s3, s3, s4
	s_xor_b32 s4, s11, s43
	s_mul_hi_u32 s3, s6, s3
	s_ashr_i32 s4, s4, 31
	s_mul_i32 s5, s3, s2
	s_sub_i32 s5, s6, s5
	s_add_i32 s6, s3, 1
	s_sub_i32 s7, s5, s2
	s_cmp_ge_u32 s5, s2
	s_cselect_b32 s3, s6, s3
	s_cselect_b32 s5, s7, s5
	s_add_i32 s6, s3, 1
	s_cmp_ge_u32 s5, s2
	s_cselect_b32 s2, s6, s3
	s_abs_i32 s43, s34
	s_xor_b32 s2, s2, s4
	s_delay_alu instid0(SALU_CYCLE_1) | instskip(NEXT) | instid1(SALU_CYCLE_1)
	s_sub_i32 s46, s2, s4
	s_abs_i32 s33, s46
	s_delay_alu instid0(SALU_CYCLE_1) | instskip(SKIP_1) | instid1(VALU_DEP_1)
	v_cvt_f32_u32_e32 v1, s33
	s_sub_i32 s3, 0, s33
	v_rcp_iflag_f32_e32 v1, v1
	s_waitcnt_depctr 0xfff
	v_mul_f32_e32 v1, 0x4f7ffffe, v1
	s_delay_alu instid0(VALU_DEP_1) | instskip(NEXT) | instid1(VALU_DEP_1)
	v_cvt_u32_f32_e32 v1, v1
	v_readfirstlane_b32 s2, v1
	s_delay_alu instid0(VALU_DEP_1) | instskip(NEXT) | instid1(SALU_CYCLE_1)
	s_mul_i32 s3, s3, s2
	s_mul_hi_u32 s3, s2, s3
	s_delay_alu instid0(SALU_CYCLE_1)
	s_add_i32 s2, s2, s3
	s_cmp_eq_u64 s[22:23], 0
	s_cbranch_scc1 .LBB46_2
; %bb.1:
	s_abs_i32 s3, s44
	s_abs_i32 s6, s12
	v_cvt_f32_u32_e32 v1, s3
	s_sub_i32 s5, 0, s3
	s_delay_alu instid0(VALU_DEP_1) | instskip(SKIP_2) | instid1(VALU_DEP_1)
	v_rcp_iflag_f32_e32 v1, v1
	s_waitcnt_depctr 0xfff
	v_mul_f32_e32 v1, 0x4f7ffffe, v1
	v_cvt_u32_f32_e32 v1, v1
	s_delay_alu instid0(VALU_DEP_1) | instskip(NEXT) | instid1(VALU_DEP_1)
	v_readfirstlane_b32 s4, v1
	s_mul_i32 s5, s5, s4
	s_delay_alu instid0(SALU_CYCLE_1) | instskip(NEXT) | instid1(SALU_CYCLE_1)
	s_mul_hi_u32 s5, s4, s5
	s_add_i32 s7, s4, s5
	s_load_b64 s[4:5], s[0:1], 0xc8
	s_mul_hi_u32 s7, s6, s7
	s_delay_alu instid0(SALU_CYCLE_1) | instskip(NEXT) | instid1(SALU_CYCLE_1)
	s_mul_i32 s7, s7, s3
	s_sub_i32 s6, s6, s7
	s_ashr_i32 s7, s12, 31
	s_sub_i32 s15, s6, s3
	s_cmp_ge_u32 s6, s3
	s_cselect_b32 s6, s15, s6
	s_delay_alu instid0(SALU_CYCLE_1) | instskip(SKIP_2) | instid1(SALU_CYCLE_1)
	s_sub_i32 s15, s6, s3
	s_cmp_ge_u32 s6, s3
	s_cselect_b32 s3, s15, s6
	s_xor_b32 s3, s3, s7
	s_delay_alu instid0(SALU_CYCLE_1)
	s_sub_i32 s3, s3, s7
	s_waitcnt lgkmcnt(0)
	s_mul_i32 s5, s3, s5
	s_mul_hi_u32 s6, s3, s4
	s_ashr_i32 s7, s3, 31
	s_add_i32 s5, s6, s5
	s_mul_i32 s7, s7, s4
	s_mul_i32 s3, s3, s4
	s_add_i32 s5, s5, s7
	s_add_u32 s40, s22, s3
	s_addc_u32 s41, s23, s5
.LBB46_2:
	s_clause 0x1
	s_load_b128 s[36:39], s[0:1], 0x40
	s_load_b32 s3, s[0:1], 0x50
	v_mov_b32_e32 v54, 1.0
	s_waitcnt lgkmcnt(0)
	v_cmp_le_f32_e64 s4, s37, 0
	s_mul_hi_u32 s37, s43, s2
	s_delay_alu instid0(VALU_DEP_1)
	s_and_b32 vcc_lo, exec_lo, s4
	s_cbranch_vccnz .LBB46_4
; %bb.3:
	s_sub_i32 s2, s34, s3
	s_add_i32 s4, s34, 1
	s_lshl_b32 s2, s2, 1
	v_mov_b32_e32 v1, s38
	s_or_b32 s2, s2, 1
	s_cmp_lt_u32 s34, s3
	s_cselect_b32 vcc_lo, -1, 0
	s_delay_alu instid0(VALU_DEP_1)
	v_cndmask_b32_e32 v3, s39, v1, vcc_lo
	s_and_b32 s3, vcc_lo, exec_lo
	s_cselect_b32 s2, s4, s2
	s_mov_b32 s3, 0x3e76c4e1
	v_cvt_f32_i32_e32 v1, s2
	v_cmp_neq_f32_e32 vcc_lo, 1.0, v3
	s_delay_alu instid0(VALU_DEP_2) | instskip(NEXT) | instid1(VALU_DEP_1)
	v_cndmask_b32_e32 v4, 1.0, v1, vcc_lo
	v_cmp_eq_f32_e32 vcc_lo, 0, v4
	v_cndmask_b32_e64 v5, |v3|, 1.0, vcc_lo
	s_delay_alu instid0(VALU_DEP_1) | instskip(NEXT) | instid1(VALU_DEP_1)
	v_frexp_mant_f32_e32 v1, v5
	v_cmp_gt_f32_e64 s2, 0x3f2aaaab, v1
	s_delay_alu instid0(VALU_DEP_1) | instskip(NEXT) | instid1(VALU_DEP_1)
	v_cndmask_b32_e64 v2, 1.0, 2.0, s2
	v_mul_f32_e32 v1, v1, v2
	s_delay_alu instid0(VALU_DEP_1) | instskip(SKIP_1) | instid1(VALU_DEP_2)
	v_add_f32_e32 v2, 1.0, v1
	v_add_f32_e32 v7, -1.0, v1
	v_rcp_f32_e32 v6, v2
	s_waitcnt_depctr 0xfff
	v_mul_f32_e32 v8, v7, v6
	s_delay_alu instid0(VALU_DEP_1) | instskip(NEXT) | instid1(VALU_DEP_1)
	v_dual_add_f32 v9, -1.0, v2 :: v_dual_mul_f32 v10, v2, v8
	v_sub_f32_e32 v1, v1, v9
	v_cndmask_b32_e64 v3, v3, 1.0, vcc_lo
	s_delay_alu instid0(VALU_DEP_3) | instskip(NEXT) | instid1(VALU_DEP_2)
	v_fma_f32 v2, v8, v2, -v10
	v_cmp_eq_f32_e64 s4, 0, v3
	s_delay_alu instid0(VALU_DEP_2) | instskip(NEXT) | instid1(VALU_DEP_1)
	v_fmac_f32_e32 v2, v8, v1
	v_add_f32_e32 v1, v10, v2
	s_delay_alu instid0(VALU_DEP_1) | instskip(NEXT) | instid1(VALU_DEP_1)
	v_dual_sub_f32 v10, v1, v10 :: v_dual_sub_f32 v9, v7, v1
	v_dual_sub_f32 v2, v10, v2 :: v_dual_sub_f32 v7, v7, v9
	s_delay_alu instid0(VALU_DEP_1) | instskip(NEXT) | instid1(VALU_DEP_1)
	v_sub_f32_e32 v1, v7, v1
	v_add_f32_e32 v1, v2, v1
	s_delay_alu instid0(VALU_DEP_1) | instskip(NEXT) | instid1(VALU_DEP_1)
	v_add_f32_e32 v1, v9, v1
	v_mul_f32_e32 v1, v6, v1
	s_delay_alu instid0(VALU_DEP_1) | instskip(NEXT) | instid1(VALU_DEP_1)
	v_add_f32_e32 v6, v8, v1
	v_sub_f32_e32 v2, v6, v8
	v_mul_f32_e32 v7, v6, v6
	s_delay_alu instid0(VALU_DEP_2) | instskip(NEXT) | instid1(VALU_DEP_2)
	v_sub_f32_e32 v8, v1, v2
	v_fma_f32 v9, v6, v6, -v7
	s_delay_alu instid0(VALU_DEP_2) | instskip(NEXT) | instid1(VALU_DEP_1)
	v_add_f32_e32 v1, v8, v8
	v_fmac_f32_e32 v9, v6, v1
	v_cvt_f64_f32_e32 v[1:2], v5
	s_delay_alu instid0(VALU_DEP_2) | instskip(NEXT) | instid1(VALU_DEP_1)
	v_add_f32_e32 v10, v7, v9
	v_fmaak_f32 v11, s3, v10, 0x3e91f4c4
	v_sub_f32_e32 v7, v10, v7
	v_mul_f32_e32 v14, v6, v10
	s_delay_alu instid0(VALU_DEP_3) | instskip(NEXT) | instid1(VALU_DEP_3)
	v_fmaak_f32 v11, v10, v11, 0x3ecccdef
	v_sub_f32_e32 v7, v9, v7
	s_delay_alu instid0(VALU_DEP_2) | instskip(NEXT) | instid1(VALU_DEP_1)
	v_mul_f32_e32 v12, v10, v11
	v_fma_f32 v9, v10, v11, -v12
	s_delay_alu instid0(VALU_DEP_1) | instskip(NEXT) | instid1(VALU_DEP_1)
	v_fmac_f32_e32 v9, v7, v11
	v_add_f32_e32 v11, v12, v9
	v_frexp_exp_i32_f64_e32 v1, v[1:2]
	s_delay_alu instid0(VALU_DEP_2) | instskip(NEXT) | instid1(VALU_DEP_1)
	v_sub_f32_e32 v12, v11, v12
	v_sub_f32_e32 v2, v9, v12
	v_fma_f32 v12, v10, v6, -v14
	s_delay_alu instid0(VALU_DEP_2) | instskip(NEXT) | instid1(VALU_DEP_2)
	v_add_f32_e32 v2, 0x31739010, v2
	v_dual_add_f32 v13, 0x3f2aaaaa, v11 :: v_dual_fmac_f32 v12, v10, v8
	v_ldexp_f32 v8, v8, 1
	s_delay_alu instid0(VALU_DEP_2) | instskip(NEXT) | instid1(VALU_DEP_1)
	v_dual_add_f32 v9, 0xbf2aaaaa, v13 :: v_dual_fmac_f32 v12, v7, v6
	v_sub_f32_e32 v9, v11, v9
	s_delay_alu instid0(VALU_DEP_1) | instskip(NEXT) | instid1(VALU_DEP_3)
	v_add_f32_e32 v2, v2, v9
	v_add_f32_e32 v9, v14, v12
	s_delay_alu instid0(VALU_DEP_2) | instskip(NEXT) | instid1(VALU_DEP_1)
	v_add_f32_e32 v7, v13, v2
	v_sub_f32_e32 v10, v13, v7
	s_delay_alu instid0(VALU_DEP_3) | instskip(SKIP_2) | instid1(VALU_DEP_4)
	v_mul_f32_e32 v11, v9, v7
	v_sub_f32_e32 v13, v9, v14
	v_subrev_co_ci_u32_e64 v1, s2, 0, v1, s2
	v_add_f32_e32 v2, v2, v10
	s_delay_alu instid0(VALU_DEP_4) | instskip(NEXT) | instid1(VALU_DEP_4)
	v_fma_f32 v10, v9, v7, -v11
	v_sub_f32_e32 v12, v12, v13
	s_delay_alu instid0(VALU_DEP_4) | instskip(NEXT) | instid1(VALU_DEP_3)
	v_cvt_f32_i32_e32 v1, v1
	v_fmac_f32_e32 v10, v9, v2
	v_ldexp_f32 v2, v6, 1
	s_delay_alu instid0(VALU_DEP_2) | instskip(NEXT) | instid1(VALU_DEP_1)
	v_fmac_f32_e32 v10, v12, v7
	v_add_f32_e32 v6, v11, v10
	s_delay_alu instid0(VALU_DEP_1) | instskip(NEXT) | instid1(VALU_DEP_1)
	v_add_f32_e32 v7, v2, v6
	v_dual_sub_f32 v2, v7, v2 :: v_dual_sub_f32 v9, v6, v11
	s_delay_alu instid0(VALU_DEP_1) | instskip(NEXT) | instid1(VALU_DEP_2)
	v_sub_f32_e32 v2, v6, v2
	v_sub_f32_e32 v9, v10, v9
	s_delay_alu instid0(VALU_DEP_1) | instskip(NEXT) | instid1(VALU_DEP_1)
	v_add_f32_e32 v6, v8, v9
	v_dual_mul_f32 v11, 0x3f317218, v1 :: v_dual_add_f32 v2, v6, v2
	s_delay_alu instid0(VALU_DEP_1) | instskip(NEXT) | instid1(VALU_DEP_2)
	v_fma_f32 v10, 0x3f317218, v1, -v11
	v_add_f32_e32 v8, v7, v2
	s_delay_alu instid0(VALU_DEP_1) | instskip(NEXT) | instid1(VALU_DEP_1)
	v_sub_f32_e32 v7, v8, v7
	v_dual_fmamk_f32 v1, v1, 0xb102e308, v10 :: v_dual_sub_f32 v2, v2, v7
	s_delay_alu instid0(VALU_DEP_1) | instskip(NEXT) | instid1(VALU_DEP_1)
	v_add_f32_e32 v6, v11, v1
	v_add_f32_e32 v9, v6, v8
	s_delay_alu instid0(VALU_DEP_1) | instskip(NEXT) | instid1(VALU_DEP_1)
	v_dual_sub_f32 v11, v6, v11 :: v_dual_sub_f32 v10, v9, v6
	v_sub_f32_e32 v12, v9, v10
	s_delay_alu instid0(VALU_DEP_2) | instskip(NEXT) | instid1(VALU_DEP_2)
	v_sub_f32_e32 v1, v1, v11
	v_dual_sub_f32 v7, v8, v10 :: v_dual_sub_f32 v6, v6, v12
	s_delay_alu instid0(VALU_DEP_2) | instskip(NEXT) | instid1(VALU_DEP_2)
	v_add_f32_e32 v8, v1, v2
	v_add_f32_e32 v6, v7, v6
	s_delay_alu instid0(VALU_DEP_1) | instskip(NEXT) | instid1(VALU_DEP_1)
	v_add_f32_e32 v6, v8, v6
	v_dual_sub_f32 v7, v8, v1 :: v_dual_add_f32 v10, v9, v6
	s_delay_alu instid0(VALU_DEP_1) | instskip(SKIP_1) | instid1(VALU_DEP_3)
	v_sub_f32_e32 v8, v8, v7
	v_sub_f32_e32 v2, v2, v7
	;; [unrolled: 1-line block ×3, first 2 shown]
	s_delay_alu instid0(VALU_DEP_3) | instskip(NEXT) | instid1(VALU_DEP_1)
	v_sub_f32_e32 v1, v1, v8
	v_add_f32_e32 v1, v2, v1
	s_delay_alu instid0(VALU_DEP_3) | instskip(NEXT) | instid1(VALU_DEP_1)
	v_sub_f32_e32 v2, v6, v7
	v_add_f32_e32 v1, v1, v2
	s_delay_alu instid0(VALU_DEP_1) | instskip(NEXT) | instid1(VALU_DEP_1)
	v_add_f32_e32 v2, v10, v1
	v_mul_f32_e32 v7, v4, v2
	v_sub_f32_e32 v6, v2, v10
	s_delay_alu instid0(VALU_DEP_2) | instskip(NEXT) | instid1(VALU_DEP_2)
	v_fma_f32 v2, v4, v2, -v7
	v_sub_f32_e32 v1, v1, v6
	v_cmp_class_f32_e64 s2, v7, 0x204
	s_delay_alu instid0(VALU_DEP_2) | instskip(NEXT) | instid1(VALU_DEP_1)
	v_fmac_f32_e32 v2, v4, v1
	v_add_f32_e32 v1, v7, v2
	s_delay_alu instid0(VALU_DEP_1) | instskip(NEXT) | instid1(VALU_DEP_1)
	v_cndmask_b32_e64 v6, v1, v7, s2
	v_cmp_eq_f32_e64 s2, 0x42b17218, v6
	s_delay_alu instid0(VALU_DEP_1) | instskip(SKIP_1) | instid1(VALU_DEP_2)
	v_cndmask_b32_e64 v8, 0, 0x37000000, s2
	v_cmp_neq_f32_e64 s2, 0x7f800000, |v6|
	v_sub_f32_e32 v9, v6, v8
	v_trunc_f32_e32 v6, v4
	s_delay_alu instid0(VALU_DEP_2) | instskip(NEXT) | instid1(VALU_DEP_1)
	v_mul_f32_e32 v10, 0x3fb8aa3b, v9
	v_fma_f32 v11, 0x3fb8aa3b, v9, -v10
	v_rndne_f32_e32 v12, v10
	s_delay_alu instid0(VALU_DEP_1) | instskip(NEXT) | instid1(VALU_DEP_1)
	v_dual_fmamk_f32 v11, v9, 0x32a5705f, v11 :: v_dual_sub_f32 v10, v10, v12
	v_add_f32_e32 v10, v10, v11
	v_sub_f32_e32 v1, v1, v7
	v_cvt_i32_f32_e32 v7, v12
	s_delay_alu instid0(VALU_DEP_3) | instskip(NEXT) | instid1(VALU_DEP_2)
	v_exp_f32_e32 v10, v10
	v_sub_f32_e32 v1, v2, v1
	s_delay_alu instid0(VALU_DEP_1)
	v_cndmask_b32_e64 v1, 0, v1, s2
	v_cmp_ngt_f32_e64 s2, 0xc2ce8ed0, v9
	s_waitcnt_depctr 0xfff
	v_ldexp_f32 v2, v10, v7
	v_mul_f32_e32 v7, 0.5, v4
	v_add_f32_e32 v1, v8, v1
	s_delay_alu instid0(VALU_DEP_3) | instskip(NEXT) | instid1(VALU_DEP_3)
	v_cndmask_b32_e64 v2, 0, v2, s2
	v_trunc_f32_e32 v10, v7
	v_cmp_nlt_f32_e64 s2, 0x42b17218, v9
	s_delay_alu instid0(VALU_DEP_2) | instskip(NEXT) | instid1(VALU_DEP_2)
	v_cmp_neq_f32_e64 s3, v10, v7
	v_cndmask_b32_e64 v2, 0x7f800000, v2, s2
	v_cmp_eq_f32_e64 s2, v6, v4
	s_delay_alu instid0(VALU_DEP_2) | instskip(NEXT) | instid1(VALU_DEP_2)
	v_fma_f32 v1, v2, v1, v2
	s_and_b32 vcc_lo, s2, s3
	v_cmp_class_f32_e64 s3, v2, 0x204
	v_cndmask_b32_e32 v6, 1.0, v3, vcc_lo
	s_delay_alu instid0(VALU_DEP_2) | instskip(SKIP_1) | instid1(VALU_DEP_2)
	v_cndmask_b32_e64 v1, v1, v2, s3
	v_cmp_gt_f32_e64 s3, 0, v4
	v_bfi_b32 v1, 0x7fffffff, v1, v6
	s_delay_alu instid0(VALU_DEP_2)
	s_xor_b32 s3, s3, s4
	v_cndmask_b32_e32 v6, 0, v3, vcc_lo
	v_cndmask_b32_e64 v2, 0x7f800000, 0, s3
	v_cmp_eq_f32_e32 vcc_lo, 0x7f800000, v5
	v_cndmask_b32_e64 v4, 0x7fc00000, v1, s2
	v_cmp_gt_f32_e64 s2, 0, v3
	s_delay_alu instid0(VALU_DEP_4) | instskip(SKIP_1) | instid1(VALU_DEP_2)
	v_bfi_b32 v2, 0x7fffffff, v2, v6
	s_or_b32 vcc_lo, vcc_lo, s4
	v_cndmask_b32_e64 v1, v1, v4, s2
	s_delay_alu instid0(VALU_DEP_1) | instskip(SKIP_1) | instid1(VALU_DEP_2)
	v_cndmask_b32_e32 v1, v1, v2, vcc_lo
	v_cmp_o_f32_e32 vcc_lo, v3, v3
	v_cndmask_b32_e32 v54, 0x7fc00000, v1, vcc_lo
.LBB46_4:
	v_bfe_u32 v49, v0, 10, 10
	s_lshl_b32 s15, s13, 4
	s_load_b128 s[4:7], s[0:1], 0x70
	s_ashr_i32 s35, s34, 31
	s_ashr_i32 s38, s46, 31
	v_lshlrev_b32_e32 v37, 1, v49
	v_and_b32_e32 v39, 0x3ff, v0
	v_lshlrev_b32_e32 v16, 8, v49
	s_delay_alu instid0(VALU_DEP_3) | instskip(NEXT) | instid1(VALU_DEP_3)
	v_or_b32_e32 v34, 1, v37
	v_lshlrev_b32_e32 v53, 1, v39
	v_lshlrev_b32_e32 v36, 2, v39
	s_delay_alu instid0(VALU_DEP_3) | instskip(SKIP_1) | instid1(VALU_DEP_4)
	v_add_nc_u32_e32 v35, s15, v34
	v_lshlrev_b32_e32 v17, 7, v34
	v_add_lshl_u32 v16, v16, v53, 2
	s_delay_alu instid0(VALU_DEP_3) | instskip(NEXT) | instid1(VALU_DEP_3)
	v_mul_hi_u32 v2, v35, s8
	v_add_lshl_u32 v18, v17, v53, 2
	s_waitcnt lgkmcnt(0)
	s_mul_i32 s2, s12, s6
	s_mul_i32 s3, s34, s5
	s_ashr_i32 s5, s2, 31
	s_add_u32 s2, s16, s2
	s_addc_u32 s5, s17, s5
	s_ashr_i32 s6, s3, 31
	v_add_nc_u32_e32 v2, v35, v2
	s_add_u32 s2, s2, s3
	s_addc_u32 s3, s5, s6
	s_ashr_i32 s5, s4, 31
	v_add_nc_u32_e32 v20, 0x4000, v16
	v_lshrrev_b32_e32 v2, s9, v2
	v_alignbit_b32 v5, s5, s4, 2
	s_lshr_b32 s4, s5, 2
	s_cmp_eq_u64 s[26:27], 0
	s_delay_alu instid0(VALU_DEP_2) | instskip(NEXT) | instid1(VALU_DEP_1)
	v_mul_lo_u32 v3, v2, s10
	v_sub_nc_u32_e32 v7, v35, v3
	s_delay_alu instid0(VALU_DEP_1) | instskip(NEXT) | instid1(VALU_DEP_1)
	v_mad_u64_u32 v[3:4], null, v5, v7, 0
	v_mov_b32_e32 v0, v4
	v_add_nc_u32_e32 v38, s15, v37
	s_delay_alu instid0(VALU_DEP_1) | instskip(NEXT) | instid1(VALU_DEP_1)
	v_mul_hi_u32 v1, v38, s8
	v_add_nc_u32_e32 v1, v38, v1
	s_delay_alu instid0(VALU_DEP_1) | instskip(NEXT) | instid1(VALU_DEP_1)
	v_lshrrev_b32_e32 v1, s9, v1
	v_mul_lo_u32 v1, v1, s10
	s_delay_alu instid0(VALU_DEP_1) | instskip(NEXT) | instid1(VALU_DEP_1)
	v_sub_nc_u32_e32 v55, v38, v1
	v_mad_u64_u32 v[1:2], null, v5, v55, 0
	s_delay_alu instid0(VALU_DEP_1) | instskip(SKIP_1) | instid1(VALU_DEP_1)
	v_mad_u64_u32 v[5:6], null, s4, v55, v[2:3]
	v_lshlrev_b32_e32 v6, 4, v39
	v_add_co_u32 v10, s2, s2, v6
	s_delay_alu instid0(VALU_DEP_3) | instskip(SKIP_2) | instid1(VALU_DEP_3)
	v_mov_b32_e32 v2, v5
	v_mad_u64_u32 v[4:5], null, s4, v7, v[0:1]
	v_add_co_ci_u32_e64 v11, null, s3, 0, s2
	v_lshlrev_b64 v[0:1], 2, v[1:2]
	s_mov_b32 s3, 0
	s_delay_alu instid0(VALU_DEP_3) | instskip(NEXT) | instid1(VALU_DEP_2)
	v_lshlrev_b64 v[8:9], 2, v[3:4]
	v_add_co_u32 v5, vcc_lo, v10, v0
	s_delay_alu instid0(VALU_DEP_3) | instskip(NEXT) | instid1(VALU_DEP_3)
	v_add_co_ci_u32_e32 v6, vcc_lo, v11, v1, vcc_lo
	v_add_co_u32 v12, vcc_lo, v10, v8
	s_delay_alu instid0(VALU_DEP_4)
	v_add_co_ci_u32_e32 v13, vcc_lo, v11, v9, vcc_lo
	s_clause 0x3
	global_load_b128 v[0:3], v[5:6], off
	global_load_b128 v[4:7], v[5:6], off offset:512
	global_load_b128 v[8:11], v[12:13], off
	global_load_b128 v[12:15], v[12:13], off offset:512
	s_waitcnt vmcnt(3)
	v_fma_mixlo_f16 v17, v2, s36, 0
	v_fma_mixlo_f16 v16, v0, s36, 0
	s_waitcnt vmcnt(2)
	v_fma_mixlo_f16 v19, v6, s36, 0
	v_add_nc_u32_e32 v6, 0x4000, v18
	v_fma_mixlo_f16 v18, v4, s36, 0
	v_fma_mixhi_f16 v17, v3, s36, 0
	v_fma_mixhi_f16 v16, v1, s36, 0
	s_waitcnt vmcnt(1)
	v_fma_mixlo_f16 v1, v10, s36, 0
	v_fma_mixlo_f16 v0, v8, s36, 0
	s_waitcnt vmcnt(0)
	v_fma_mixlo_f16 v3, v14, s36, 0
	v_fma_mixlo_f16 v2, v12, s36, 0
	v_fma_mixhi_f16 v19, v7, s36, 0
	v_fma_mixhi_f16 v18, v5, s36, 0
	;; [unrolled: 1-line block ×6, first 2 shown]
	ds_store_2addr_b64 v20, v[16:17], v[18:19] offset0:64 offset1:96
	ds_store_2addr_b64 v6, v[0:1], v[2:3] offset0:64 offset1:96
	s_waitcnt lgkmcnt(0)
	s_barrier
	buffer_gl0_inv
	s_cbranch_scc1 .LBB46_6
; %bb.5:
	s_load_b32 s2, s[0:1], 0xd0
	s_waitcnt lgkmcnt(0)
	s_mul_i32 s2, s2, s12
	s_delay_alu instid0(SALU_CYCLE_1) | instskip(NEXT) | instid1(SALU_CYCLE_1)
	s_add_i32 s2, s2, s13
	s_lshl_b64 s[2:3], s[2:3], 2
	s_delay_alu instid0(SALU_CYCLE_1)
	s_add_u32 s2, s26, s2
	s_addc_u32 s3, s27, s3
	s_load_b32 s42, s[2:3], 0x0
.LBB46_6:
	s_clause 0x2
	s_load_b64 s[2:3], s[0:1], 0x8c
	s_load_b128 s[4:7], s[0:1], 0x98
	s_load_b64 s[16:17], s[0:1], 0xa8
	s_ashr_i32 s36, s12, 31
	s_ashr_i32 s22, s45, 1
	s_mul_i32 s39, s37, s33
	v_dual_mov_b32 v57, 0 :: v_dual_lshlrev_b32 v52, 2, v36
	v_mov_b32_e32 v43, 0
	v_mul_u32_u24_e32 v56, 0x210, v39
	v_lshlrev_b32_e32 v45, 2, v53
	v_mbcnt_lo_u32_b32 v40, -1, 0
	s_mov_b32 s26, 0xfeffffff
	s_waitcnt lgkmcnt(0)
	s_ashr_i32 s23, s2, 2
	s_mul_i32 s2, s12, s5
	s_mul_hi_u32 s5, s12, s4
	s_ashr_i32 s13, s6, 2
	s_mul_i32 s6, s36, s4
	s_add_i32 s2, s5, s2
	s_mul_i32 s4, s12, s4
	s_add_i32 s2, s2, s6
	s_add_u32 s4, s18, s4
	s_addc_u32 s2, s19, s2
	s_sub_i32 s6, s43, s39
	s_xor_b32 s5, s35, s38
	s_add_i32 s18, s37, 1
	s_sub_i32 s19, s6, s33
	s_cmp_ge_u32 s6, s33
	v_mul_lo_u32 v16, s23, v49
	s_cselect_b32 s18, s18, s37
	s_cselect_b32 s6, s19, s6
	s_add_i32 s19, s18, 1
	s_cmp_ge_u32 s6, s33
	v_mul_lo_u32 v12, s13, v49
	s_cselect_b32 s18, s19, s18
	s_mul_i32 s17, s12, s17
	s_xor_b32 s18, s18, s5
	s_mul_hi_u32 s6, s12, s16
	s_sub_i32 s18, s18, s5
	s_mul_i32 s36, s36, s16
	s_mul_i32 s3, s18, s3
	;; [unrolled: 1-line block ×3, first 2 shown]
	s_ashr_i32 s5, s3, 31
	s_add_u32 s4, s4, s3
	s_addc_u32 s5, s2, s5
	s_add_i32 s2, s6, s17
	s_mul_i32 s18, s18, s7
	s_add_i32 s2, s2, s36
	s_add_u32 s3, s20, s16
	s_addc_u32 s2, s21, s2
	s_ashr_i32 s6, s18, 31
	s_add_u32 s16, s3, s18
	v_ashrrev_i32_e32 v17, 31, v16
	v_ashrrev_i32_e32 v13, 31, v12
	s_addc_u32 s17, s2, s6
	s_lshl_b32 s7, s14, 5
	s_sub_i32 s6, s42, 32
	s_delay_alu instid0(SALU_CYCLE_1)
	s_cmp_ge_i32 s7, s6
	s_cbranch_scc1 .LBB46_15
; %bb.7:
	v_or_b32_e32 v5, 1, v38
	s_lshl_b32 s2, s23, 3
	s_cmp_lg_u64 s[40:41], 0
	v_dual_mov_b32 v47, 0 :: v_dual_add_nc_u32 v0, s2, v16
	s_delay_alu instid0(VALU_DEP_2)
	v_mul_hi_u32 v1, s8, v5
	v_mov_b32_e32 v46, 0
	s_cselect_b32 s18, -1, 0
	s_lshl_b32 s3, s13, 3
	v_dual_mov_b32 v73, 0xfeffffff :: v_dual_add_nc_u32 v4, s2, v0
	v_dual_mov_b32 v43, 0 :: v_dual_add_nc_u32 v2, s3, v12
	s_delay_alu instid0(VALU_DEP_4) | instskip(NEXT) | instid1(VALU_DEP_3)
	v_add_nc_u32_e32 v1, v5, v1
	v_add_nc_u32_e32 v8, s2, v4
	v_mad_u32_u24 v58, 0x210, v49, v52
	s_delay_alu instid0(VALU_DEP_4)
	v_add_nc_u32_e32 v6, s3, v2
	v_ashrrev_i32_e32 v3, 31, v2
	v_lshrrev_b32_e32 v1, s9, v1
	v_ashrrev_i32_e32 v9, 31, v8
	v_lshl_add_u32 v61, v49, 7, 0x6200
	v_add_nc_u32_e32 v10, s3, v6
	v_lshl_add_u32 v62, v49, 9, v52
	v_mul_lo_u32 v7, v1, s10
	v_ashrrev_i32_e32 v1, 31, v0
	v_mul_lo_u32 v60, v55, s22
	v_ashrrev_i32_e32 v11, 31, v10
	v_lshlrev_b64 v[18:19], 2, v[16:17]
	v_lshlrev_b64 v[24:25], 2, v[8:9]
	;; [unrolled: 1-line block ×4, first 2 shown]
	v_sub_nc_u32_e32 v14, v5, v7
	v_ashrrev_i32_e32 v5, 31, v4
	v_ashrrev_i32_e32 v7, 31, v6
	v_lshlrev_b64 v[28:29], 2, v[2:3]
	v_lshlrev_b64 v[32:33], 2, v[10:11]
	v_mul_lo_u32 v70, v14, s22
	v_lshlrev_b64 v[22:23], 2, v[4:5]
	v_lshlrev_b64 v[30:31], 2, v[6:7]
	v_lshl_add_u32 v59, v49, 10, 0x4200
	v_dual_mov_b32 v74, 0xfeffffff :: v_dual_mov_b32 v41, 0
	v_dual_mov_b32 v48, 0 :: v_dual_add_nc_u32 v63, 0x1080, v58
	v_dual_mov_b32 v51, 0 :: v_dual_add_nc_u32 v64, 0x2100, v58
	;; [unrolled: 1-line block ×3, first 2 shown]
	v_lshl_add_u32 v66, v53, 1, v61
	v_dual_mov_b32 v50, 0 :: v_dual_add_nc_u32 v67, 0x1000, v62
	v_add_nc_u32_e32 v68, 0x2000, v62
	v_dual_mov_b32 v44, 0 :: v_dual_add_nc_u32 v69, 0x3000, v62
	v_mbcnt_lo_u32_b32 v71, -1, 0
	v_mov_b32_e32 v72, 0
	s_add_u32 s2, s0, 0xd0
	s_addc_u32 s3, s1, 0
.LBB46_8:                               ; =>This Inner Loop Header: Depth=1
	s_mul_hi_i32 s21, s7, s23
	s_mul_i32 s20, s7, s23
	s_delay_alu instid0(SALU_CYCLE_1) | instskip(NEXT) | instid1(SALU_CYCLE_1)
	s_lshl_b64 s[20:21], s[20:21], 2
	s_add_u32 s19, s4, s20
	s_addc_u32 s20, s5, s21
	v_add_co_u32 v0, vcc_lo, s19, v18
	v_add_co_ci_u32_e32 v1, vcc_lo, s20, v19, vcc_lo
	v_add_co_u32 v2, vcc_lo, s19, v20
	v_add_co_ci_u32_e32 v3, vcc_lo, s20, v21, vcc_lo
	s_delay_alu instid0(VALU_DEP_4) | instskip(NEXT) | instid1(VALU_DEP_4)
	v_add_co_u32 v0, vcc_lo, v0, v52
	v_add_co_ci_u32_e32 v1, vcc_lo, 0, v1, vcc_lo
	s_delay_alu instid0(VALU_DEP_4) | instskip(NEXT) | instid1(VALU_DEP_4)
	v_add_co_u32 v4, vcc_lo, v2, v52
	v_add_co_ci_u32_e32 v5, vcc_lo, 0, v3, vcc_lo
	v_add_co_u32 v2, vcc_lo, s19, v22
	v_add_co_ci_u32_e32 v3, vcc_lo, s20, v23, vcc_lo
	;; [unrolled: 2-line block ×3, first 2 shown]
	s_delay_alu instid0(VALU_DEP_4) | instskip(NEXT) | instid1(VALU_DEP_4)
	v_add_co_u32 v8, vcc_lo, v2, v52
	v_add_co_ci_u32_e32 v9, vcc_lo, 0, v3, vcc_lo
	s_delay_alu instid0(VALU_DEP_4) | instskip(NEXT) | instid1(VALU_DEP_4)
	v_add_co_u32 v14, vcc_lo, v6, v52
	v_add_co_ci_u32_e32 v15, vcc_lo, 0, v7, vcc_lo
	s_clause 0x3
	global_load_b128 v[0:3], v[0:1], off
	global_load_b128 v[4:7], v[4:5], off
	;; [unrolled: 1-line block ×4, first 2 shown]
	v_mov_b32_e32 v14, 0
	s_and_not1_b32 vcc_lo, exec_lo, s18
	s_waitcnt vmcnt(3)
	ds_store_b128 v58, v[0:3]
	s_waitcnt vmcnt(2)
	ds_store_b128 v63, v[4:7]
	;; [unrolled: 2-line block ×4, first 2 shown]
	s_waitcnt lgkmcnt(0)
	s_barrier
	buffer_gl0_inv
	ds_load_b128 v[1:4], v56
	ds_load_b128 v[5:8], v59
	ds_load_b128 v[75:78], v59 offset:512
	v_mov_b32_e32 v0, 0
	s_waitcnt lgkmcnt(1)
	;;#ASMSTART
	v_dot2_f32_f16 v0, v1, v5, v0
	;;#ASMEND
	;;#ASMSTART
	v_dot2_f32_f16 v0, v2, v6, v0
	;;#ASMEND
	;;#ASMSTART
	v_dot2_f32_f16 v0, v3, v7, v0
	;;#ASMEND
	;;#ASMSTART
	v_dot2_f32_f16 v0, v4, v8, v0
	;;#ASMEND
	s_waitcnt lgkmcnt(0)
	;;#ASMSTART
	v_dot2_f32_f16 v14, v1, v75, v14
	;;#ASMEND
	;;#ASMSTART
	v_dot2_f32_f16 v14, v2, v76, v14
	;;#ASMEND
	;;#ASMSTART
	v_dot2_f32_f16 v14, v3, v77, v14
	;;#ASMEND
	;;#ASMSTART
	v_dot2_f32_f16 v14, v4, v78, v14
	;;#ASMEND
	ds_load_b128 v[1:4], v56 offset:16
	ds_load_b128 v[5:8], v59 offset:16
	ds_load_b128 v[75:78], v59 offset:528
	s_waitcnt lgkmcnt(1)
	;;#ASMSTART
	v_dot2_f32_f16 v0, v1, v5, v0
	;;#ASMEND
	;;#ASMSTART
	v_dot2_f32_f16 v0, v2, v6, v0
	;;#ASMEND
	;;#ASMSTART
	v_dot2_f32_f16 v0, v3, v7, v0
	;;#ASMEND
	;;#ASMSTART
	v_dot2_f32_f16 v0, v4, v8, v0
	;;#ASMEND
	s_waitcnt lgkmcnt(0)
	;;#ASMSTART
	v_dot2_f32_f16 v14, v1, v75, v14
	;;#ASMEND
	;;#ASMSTART
	v_dot2_f32_f16 v14, v2, v76, v14
	;;#ASMEND
	;;#ASMSTART
	v_dot2_f32_f16 v14, v3, v77, v14
	;;#ASMEND
	;;#ASMSTART
	v_dot2_f32_f16 v14, v4, v78, v14
	;;#ASMEND
	ds_load_b128 v[1:4], v56 offset:32
	ds_load_b128 v[5:8], v59 offset:32
	ds_load_b128 v[75:78], v59 offset:544
	;; [unrolled: 29-line block ×30, first 2 shown]
	s_waitcnt lgkmcnt(1)
	;;#ASMSTART
	v_dot2_f32_f16 v0, v1, v5, v0
	;;#ASMEND
	;;#ASMSTART
	v_dot2_f32_f16 v0, v2, v6, v0
	;;#ASMEND
	;; [unrolled: 3-line block ×4, first 2 shown]
	s_waitcnt lgkmcnt(0)
	;;#ASMSTART
	v_dot2_f32_f16 v14, v1, v75, v14
	;;#ASMEND
	v_add_nc_u32_e32 v1, s7, v39
	;;#ASMSTART
	v_dot2_f32_f16 v14, v2, v76, v14
	;;#ASMEND
	;;#ASMSTART
	v_dot2_f32_f16 v14, v3, v77, v14
	;;#ASMEND
	;; [unrolled: 3-line block ×3, first 2 shown]
	ds_load_b128 v[3:6], v56 offset:496
	ds_load_b128 v[7:10], v59 offset:496
	;; [unrolled: 1-line block ×3, first 2 shown]
	s_waitcnt lgkmcnt(1)
	;;#ASMSTART
	v_dot2_f32_f16 v0, v3, v7, v0
	;;#ASMEND
	v_mov_b32_e32 v2, 0
	;;#ASMSTART
	v_dot2_f32_f16 v0, v4, v8, v0
	;;#ASMEND
	;;#ASMSTART
	v_dot2_f32_f16 v0, v5, v9, v0
	;;#ASMEND
	;; [unrolled: 3-line block ×3, first 2 shown]
	s_waitcnt lgkmcnt(0)
	;;#ASMSTART
	v_dot2_f32_f16 v14, v3, v75, v14
	;;#ASMEND
	;;#ASMSTART
	v_dot2_f32_f16 v14, v4, v76, v14
	;;#ASMEND
	;; [unrolled: 3-line block ×4, first 2 shown]
	s_cbranch_vccnz .LBB46_10
; %bb.9:                                ;   in Loop: Header=BB46_8 Depth=1
	v_add_nc_u32_e32 v2, v1, v60
	s_delay_alu instid0(VALU_DEP_1) | instskip(NEXT) | instid1(VALU_DEP_1)
	v_ashrrev_i32_e32 v3, 31, v2
	v_lshlrev_b64 v[2:3], 1, v[2:3]
	s_delay_alu instid0(VALU_DEP_1) | instskip(NEXT) | instid1(VALU_DEP_2)
	v_add_co_u32 v2, vcc_lo, s40, v2
	v_add_co_ci_u32_e32 v3, vcc_lo, s41, v3, vcc_lo
	flat_load_u16 v2, v[2:3]
	s_waitcnt vmcnt(0) lgkmcnt(0)
	v_cvt_f32_f16_e32 v2, v2
	s_delay_alu instid0(VALU_DEP_1)
	v_mul_f32_e32 v2, v54, v2
.LBB46_10:                              ;   in Loop: Header=BB46_8 Depth=1
	v_xor_b32_e32 v3, 16, v71
	s_delay_alu instid0(VALU_DEP_1) | instskip(NEXT) | instid1(VALU_DEP_3)
	v_cmp_gt_i32_e32 vcc_lo, 32, v3
	v_add_f32_e32 v15, v0, v2
	v_max_f32_e32 v0, v74, v74
	v_cndmask_b32_e32 v2, v71, v3, vcc_lo
	s_delay_alu instid0(VALU_DEP_3) | instskip(NEXT) | instid1(VALU_DEP_1)
	v_add_f32_e32 v3, 0x40051340, v15
	v_dual_max_f32 v0, v0, v3 :: v_dual_lshlrev_b32 v57, 2, v2
	v_xor_b32_e32 v3, 8, v71
	ds_bpermute_b32 v2, v57, v0
	v_cmp_gt_i32_e32 vcc_lo, 32, v3
	s_waitcnt lgkmcnt(0)
	v_dual_cndmask_b32 v3, v71, v3 :: v_dual_max_f32 v2, v2, v2
	s_delay_alu instid0(VALU_DEP_1) | instskip(SKIP_1) | instid1(VALU_DEP_3)
	v_lshlrev_b32_e32 v75, 2, v3
	v_xor_b32_e32 v3, 4, v71
	v_max_f32_e32 v0, v0, v2
	s_delay_alu instid0(VALU_DEP_2) | instskip(SKIP_3) | instid1(VALU_DEP_1)
	v_cmp_gt_i32_e32 vcc_lo, 32, v3
	ds_bpermute_b32 v2, v75, v0
	s_waitcnt lgkmcnt(0)
	v_dual_cndmask_b32 v3, v71, v3 :: v_dual_max_f32 v2, v2, v2
	v_lshlrev_b32_e32 v76, 2, v3
	v_xor_b32_e32 v3, 2, v71
	s_delay_alu instid0(VALU_DEP_1) | instskip(NEXT) | instid1(VALU_DEP_4)
	v_cmp_gt_i32_e32 vcc_lo, 32, v3
	v_dual_max_f32 v0, v0, v2 :: v_dual_cndmask_b32 v3, v71, v3
	ds_bpermute_b32 v2, v76, v0
	v_lshlrev_b32_e32 v77, 2, v3
	v_xor_b32_e32 v3, 1, v71
	s_delay_alu instid0(VALU_DEP_1) | instskip(SKIP_3) | instid1(VALU_DEP_1)
	v_cmp_gt_i32_e32 vcc_lo, 32, v3
	v_cndmask_b32_e32 v3, v71, v3, vcc_lo
	s_and_not1_b32 vcc_lo, exec_lo, s18
	s_waitcnt lgkmcnt(0)
	v_dual_max_f32 v2, v2, v2 :: v_dual_lshlrev_b32 v79, 2, v3
	s_delay_alu instid0(VALU_DEP_1) | instskip(SKIP_3) | instid1(VALU_DEP_1)
	v_max_f32_e32 v0, v0, v2
	ds_bpermute_b32 v2, v77, v0
	s_waitcnt lgkmcnt(0)
	v_max_f32_e32 v2, v2, v2
	v_max_f32_e32 v78, v0, v2
	ds_bpermute_b32 v80, v79, v78
	s_cbranch_vccnz .LBB46_12
; %bb.11:                               ;   in Loop: Header=BB46_8 Depth=1
	v_add_nc_u32_e32 v0, v1, v70
	s_delay_alu instid0(VALU_DEP_1) | instskip(NEXT) | instid1(VALU_DEP_1)
	v_ashrrev_i32_e32 v1, 31, v0
	v_lshlrev_b64 v[0:1], 1, v[0:1]
	s_delay_alu instid0(VALU_DEP_1) | instskip(NEXT) | instid1(VALU_DEP_2)
	v_add_co_u32 v0, vcc_lo, s40, v0
	v_add_co_ci_u32_e32 v1, vcc_lo, s41, v1, vcc_lo
	flat_load_u16 v0, v[0:1]
	s_waitcnt vmcnt(0) lgkmcnt(0)
	v_cvt_f32_f16_e32 v0, v0
	s_delay_alu instid0(VALU_DEP_1)
	v_mul_f32_e32 v81, v54, v0
	s_branch .LBB46_13
.LBB46_12:                              ;   in Loop: Header=BB46_8 Depth=1
	v_mov_b32_e32 v81, 0
.LBB46_13:                              ;   in Loop: Header=BB46_8 Depth=1
	s_mul_hi_i32 s21, s7, s13
	s_mul_i32 s20, s7, s13
	s_waitcnt lgkmcnt(0)
	s_lshl_b64 s[20:21], s[20:21], 2
	s_barrier
	s_add_u32 s19, s16, s20
	s_addc_u32 s20, s17, s21
	v_add_co_u32 v0, vcc_lo, s19, v26
	v_add_co_ci_u32_e32 v1, vcc_lo, s20, v27, vcc_lo
	v_add_co_u32 v2, vcc_lo, s19, v28
	v_add_co_ci_u32_e32 v3, vcc_lo, s20, v29, vcc_lo
	s_delay_alu instid0(VALU_DEP_4) | instskip(NEXT) | instid1(VALU_DEP_4)
	v_add_co_u32 v0, vcc_lo, v0, v52
	v_add_co_ci_u32_e32 v1, vcc_lo, 0, v1, vcc_lo
	s_delay_alu instid0(VALU_DEP_4) | instskip(NEXT) | instid1(VALU_DEP_4)
	v_add_co_u32 v4, vcc_lo, v2, v52
	v_add_co_ci_u32_e32 v5, vcc_lo, 0, v3, vcc_lo
	v_add_co_u32 v2, vcc_lo, s19, v30
	v_add_co_ci_u32_e32 v3, vcc_lo, s20, v31, vcc_lo
	;; [unrolled: 2-line block ×3, first 2 shown]
	s_delay_alu instid0(VALU_DEP_4) | instskip(NEXT) | instid1(VALU_DEP_4)
	v_add_co_u32 v8, vcc_lo, v2, v52
	v_add_co_ci_u32_e32 v9, vcc_lo, 0, v3, vcc_lo
	s_delay_alu instid0(VALU_DEP_4) | instskip(NEXT) | instid1(VALU_DEP_4)
	v_add_co_u32 v82, vcc_lo, v6, v52
	v_add_co_ci_u32_e32 v83, vcc_lo, 0, v7, vcc_lo
	buffer_gl0_inv
	s_clause 0x3
	global_load_b128 v[0:3], v[0:1], off
	global_load_b128 v[4:7], v[4:5], off
	global_load_b128 v[8:11], v[8:9], off
	global_load_b128 v[82:85], v[82:83], off
	v_add_f32_e32 v81, v14, v81
	v_max_f32_e32 v14, v73, v73
	v_add_nc_u32_e32 v212, 0x3800, v45
	s_delay_alu instid0(VALU_DEP_3) | instskip(NEXT) | instid1(VALU_DEP_1)
	v_add_f32_e32 v86, 0x40051340, v81
	v_max_f32_e32 v14, v14, v86
	ds_bpermute_b32 v57, v57, v14
	s_waitcnt lgkmcnt(0)
	v_max_f32_e32 v57, v57, v57
	s_delay_alu instid0(VALU_DEP_1) | instskip(SKIP_3) | instid1(VALU_DEP_1)
	v_max_f32_e32 v14, v14, v57
	ds_bpermute_b32 v57, v75, v14
	s_waitcnt lgkmcnt(0)
	v_max_f32_e32 v57, v57, v57
	v_max_f32_e32 v14, v14, v57
	ds_bpermute_b32 v57, v76, v14
	s_waitcnt lgkmcnt(0)
	v_dual_max_f32 v76, v78, v78 :: v_dual_max_f32 v57, v57, v57
	s_delay_alu instid0(VALU_DEP_1) | instskip(SKIP_3) | instid1(VALU_DEP_1)
	v_max_f32_e32 v14, v14, v57
	ds_bpermute_b32 v57, v77, v14
	s_waitcnt lgkmcnt(0)
	v_max_f32_e32 v57, v57, v57
	v_dual_max_f32 v57, v14, v57 :: v_dual_max_f32 v14, v80, v80
	s_delay_alu instid0(VALU_DEP_1) | instskip(NEXT) | instid1(VALU_DEP_1)
	v_max_f32_e32 v14, v76, v14
	v_sub_f32_e32 v76, v15, v14
	ds_bpermute_b32 v75, v79, v57
	v_dual_sub_f32 v74, v74, v14 :: v_dual_mul_f32 v77, 0x3fb8aa3b, v76
	s_delay_alu instid0(VALU_DEP_1) | instskip(NEXT) | instid1(VALU_DEP_2)
	v_cmp_ngt_f32_e32 vcc_lo, 0xc2ce8ed0, v74
	v_fma_f32 v79, 0x3fb8aa3b, v76, -v77
	s_waitcnt lgkmcnt(0)
	v_max_f32_e32 v15, v75, v75
	v_mul_f32_e32 v75, 0x3fb8aa3b, v74
	s_delay_alu instid0(VALU_DEP_2) | instskip(NEXT) | instid1(VALU_DEP_2)
	v_max_f32_e32 v15, v57, v15
	v_fma_f32 v57, 0x3fb8aa3b, v74, -v75
	v_rndne_f32_e32 v78, v75
	v_add_nc_u32_e32 v104, 0x800, v45
	s_delay_alu instid0(VALU_DEP_3) | instskip(SKIP_2) | instid1(VALU_DEP_3)
	v_dual_sub_f32 v80, v81, v15 :: v_dual_fmac_f32 v57, 0x32a5705f, v74
	v_sub_f32_e32 v73, v73, v15
	v_rndne_f32_e32 v81, v77
	v_dual_sub_f32 v75, v75, v78 :: v_dual_mul_f32 v86, 0x3fb8aa3b, v80
	v_cvt_i32_f32_e32 v78, v78
	s_delay_alu instid0(VALU_DEP_4) | instskip(NEXT) | instid1(VALU_DEP_4)
	v_mul_f32_e32 v87, 0x3fb8aa3b, v73
	v_sub_f32_e32 v77, v77, v81
	s_delay_alu instid0(VALU_DEP_4)
	v_add_f32_e32 v57, v75, v57
	v_fma_f32 v75, 0x3fb8aa3b, v80, -v86
	v_rndne_f32_e32 v88, v86
	v_rndne_f32_e32 v90, v87
	v_fmac_f32_e32 v79, 0x32a5705f, v76
	v_add_nc_u32_e32 v120, 0x1000, v45
	v_exp_f32_e32 v57, v57
	v_add_nc_u32_e32 v136, 0x1800, v45
	v_fma_f32 v89, 0x3fb8aa3b, v73, -v87
	v_add_f32_e32 v77, v77, v79
	v_sub_f32_e32 v79, v86, v88
	v_fmac_f32_e32 v75, 0x32a5705f, v80
	v_add_nc_u32_e32 v152, 0x2000, v45
	v_fmac_f32_e32 v89, 0x32a5705f, v73
	v_exp_f32_e32 v77, v77
	v_sub_f32_e32 v86, v87, v90
	v_add_f32_e32 v75, v79, v75
	v_cvt_i32_f32_e32 v81, v81
	v_ldexp_f32 v57, v57, v78
	v_cvt_i32_f32_e32 v78, v88
	v_add_f32_e32 v79, v86, v89
	v_exp_f32_e32 v75, v75
	s_delay_alu instid0(VALU_DEP_3) | instskip(NEXT) | instid1(TRANS32_DEP_2)
	v_cndmask_b32_e32 v57, 0, v57, vcc_lo
	v_ldexp_f32 v77, v77, v81
	v_cmp_ngt_f32_e32 vcc_lo, 0xc2ce8ed0, v76
	v_exp_f32_e32 v79, v79
	v_cvt_i32_f32_e32 v81, v90
	s_delay_alu instid0(VALU_DEP_3) | instskip(SKIP_1) | instid1(TRANS32_DEP_2)
	v_cndmask_b32_e32 v77, 0, v77, vcc_lo
	v_cmp_nlt_f32_e32 vcc_lo, 0x42b17218, v74
	v_ldexp_f32 v75, v75, v78
	v_cndmask_b32_e32 v74, 0x7f800000, v57, vcc_lo
	v_cmp_ngt_f32_e32 vcc_lo, 0xc2ce8ed0, v80
	v_add_nc_u32_e32 v176, 0x2800, v45
	s_delay_alu instid0(TRANS32_DEP_1) | instskip(NEXT) | instid1(VALU_DEP_4)
	v_ldexp_f32 v78, v79, v81
	v_cvt_f16_f32_e64 v216, v74
	v_cndmask_b32_e32 v57, 0, v75, vcc_lo
	v_cmp_ngt_f32_e32 vcc_lo, 0xc2ce8ed0, v73
	v_add_nc_u32_e32 v192, 0x3000, v45
	s_delay_alu instid0(VALU_DEP_4)
	v_pk_mul_f16 v50, v216, v50 op_sel_hi:[0,1]
	v_pk_mul_f16 v51, v216, v51 op_sel_hi:[0,1]
	v_cndmask_b32_e32 v75, 0, v78, vcc_lo
	v_cmp_nlt_f32_e32 vcc_lo, 0x42b17218, v76
	v_cndmask_b32_e32 v76, 0x7f800000, v77, vcc_lo
	v_cmp_nlt_f32_e32 vcc_lo, 0x42b17218, v80
	s_delay_alu instid0(VALU_DEP_2) | instskip(SKIP_2) | instid1(VALU_DEP_2)
	v_fma_f32 v41, v41, v74, v76
	v_cndmask_b32_e32 v57, 0x7f800000, v57, vcc_lo
	v_cmp_nlt_f32_e32 vcc_lo, 0x42b17218, v73
	v_cvt_f16_f32_e32 v77, v57
	v_cndmask_b32_e32 v73, 0x7f800000, v75, vcc_lo
	v_cvt_f16_f32_e32 v75, v76
	s_delay_alu instid0(VALU_DEP_2) | instskip(NEXT) | instid1(VALU_DEP_2)
	v_cvt_f16_f32_e64 v213, v73
	v_pack_b32_f16 v74, v75, v77
	v_fmac_f32_e32 v57, v72, v73
	ds_store_b32 v66, v74
	s_waitcnt vmcnt(3)
	ds_store_b128 v62, v[0:3]
	s_waitcnt vmcnt(2)
	ds_store_b128 v67, v[4:7]
	;; [unrolled: 2-line block ×4, first 2 shown]
	v_pk_mul_f16 v48, v213, v48 op_sel_hi:[0,1]
	v_pk_mul_f16 v47, v213, v47 op_sel_hi:[0,1]
	;; [unrolled: 1-line block ×3, first 2 shown]
	s_waitcnt lgkmcnt(0)
	s_barrier
	buffer_gl0_inv
	ds_load_2addr_b64 v[0:3], v45 offset1:32
	ds_load_b128 v[4:7], v61
	ds_load_b128 v[8:11], v61 offset:16
	ds_load_b128 v[72:75], v61 offset:32
	;; [unrolled: 1-line block ×3, first 2 shown]
	ds_load_2addr_b64 v[80:83], v45 offset0:64 offset1:96
	ds_load_2addr_b64 v[84:87], v45 offset0:128 offset1:160
	ds_load_2addr_b64 v[88:91], v45 offset0:192 offset1:224
	ds_load_2addr_b64 v[92:95], v104 offset1:32
	ds_load_2addr_b64 v[96:99], v104 offset0:64 offset1:96
	ds_load_2addr_b64 v[100:103], v104 offset0:128 offset1:160
	ds_load_2addr_b64 v[104:107], v104 offset0:192 offset1:224
	ds_load_2addr_b64 v[108:111], v120 offset1:32
	;; [unrolled: 4-line block ×5, first 2 shown]
	ds_load_b128 v[160:163], v61 offset:64
	ds_load_b128 v[164:167], v61 offset:80
	ds_load_2addr_b64 v[168:171], v176 offset0:64 offset1:96
	ds_load_2addr_b64 v[172:175], v176 offset0:128 offset1:160
	;; [unrolled: 1-line block ×3, first 2 shown]
	ds_load_2addr_b64 v[180:183], v192 offset1:32
	ds_load_2addr_b64 v[184:187], v192 offset0:64 offset1:96
	ds_load_2addr_b64 v[188:191], v192 offset0:128 offset1:160
	;; [unrolled: 1-line block ×3, first 2 shown]
	ds_load_2addr_b64 v[196:199], v212 offset1:32
	ds_load_b128 v[200:203], v61 offset:96
	ds_load_b128 v[204:207], v61 offset:112
	ds_load_2addr_b64 v[208:211], v212 offset0:64 offset1:96
	s_waitcnt lgkmcnt(36)
	v_pk_mul_f16 v217, v0, v4 op_sel_hi:[1,0]
	v_pk_mul_f16 v214, v0, v4 op_sel:[0,1]
	v_pk_mul_f16 v218, v1, v4 op_sel_hi:[1,0]
	v_pk_fma_f16 v48, v1, v4, v48 op_sel:[0,1,0]
	v_pk_fma_f16 v50, v2, v4, v50 op_sel_hi:[1,0,1]
	v_pk_fma_f16 v47, v2, v4, v47 op_sel:[0,1,0]
	v_pk_fma_f16 v51, v3, v4, v51 op_sel_hi:[1,0,1]
	;; [unrolled: 2-line block ×3, first 2 shown]
	v_pk_fma_f16 v43, v216, v43, v217 op_sel_hi:[0,1,1]
	v_pk_fma_f16 v44, v216, v44, v218 op_sel_hi:[0,1,1]
	s_waitcnt lgkmcnt(32)
	v_pk_fma_f16 v46, v81, v5, v48 op_sel:[0,1,0]
	v_pk_fma_f16 v48, v82, v5, v50 op_sel_hi:[1,0,1]
	v_pk_fma_f16 v47, v82, v5, v47 op_sel:[0,1,0]
	v_pk_fma_f16 v50, v83, v5, v51 op_sel_hi:[1,0,1]
	v_pk_fma_f16 v4, v83, v5, v4 op_sel:[0,1,0]
	v_pk_fma_f16 v43, v80, v5, v43 op_sel_hi:[1,0,1]
	v_pk_fma_f16 v42, v80, v5, v42 op_sel:[0,1,0]
	v_pk_fma_f16 v5, v81, v5, v44 op_sel_hi:[1,0,1]
	s_waitcnt lgkmcnt(31)
	v_pk_fma_f16 v44, v85, v6, v46 op_sel:[0,1,0]
	v_pk_fma_f16 v46, v86, v6, v48 op_sel_hi:[1,0,1]
	v_pk_fma_f16 v47, v86, v6, v47 op_sel:[0,1,0]
	v_pk_fma_f16 v48, v87, v6, v50 op_sel_hi:[1,0,1]
	v_pk_fma_f16 v4, v87, v6, v4 op_sel:[0,1,0]
	v_pk_fma_f16 v43, v84, v6, v43 op_sel_hi:[1,0,1]
	v_pk_fma_f16 v42, v84, v6, v42 op_sel:[0,1,0]
	;; [unrolled: 9-line block ×16, first 2 shown]
	v_pk_fma_f16 v5, v141, v160, v5 op_sel_hi:[1,0,1]
	v_pk_fma_f16 v6, v145, v161, v6 op_sel:[0,1,0]
	v_pk_fma_f16 v7, v146, v161, v7 op_sel_hi:[1,0,1]
	v_pk_fma_f16 v8, v146, v161, v8 op_sel:[0,1,0]
	;; [unrolled: 2-line block ×12, first 2 shown]
	v_pk_fma_f16 v5, v153, v163, v5 op_sel_hi:[1,0,1]
	s_waitcnt lgkmcnt(11)
	v_pk_fma_f16 v6, v157, v164, v6 op_sel:[0,1,0]
	v_pk_fma_f16 v7, v158, v164, v7 op_sel_hi:[1,0,1]
	v_pk_fma_f16 v8, v158, v164, v8 op_sel:[0,1,0]
	v_pk_fma_f16 v9, v159, v164, v9 op_sel_hi:[1,0,1]
	v_pk_fma_f16 v4, v159, v164, v4 op_sel:[0,1,0]
	v_pk_fma_f16 v10, v156, v164, v10 op_sel_hi:[1,0,1]
	v_pk_fma_f16 v11, v156, v164, v11 op_sel:[0,1,0]
	v_pk_fma_f16 v5, v157, v164, v5 op_sel_hi:[1,0,1]
	s_waitcnt lgkmcnt(10)
	v_pk_fma_f16 v6, v169, v165, v6 op_sel:[0,1,0]
	v_pk_fma_f16 v7, v170, v165, v7 op_sel_hi:[1,0,1]
	v_pk_fma_f16 v8, v170, v165, v8 op_sel:[0,1,0]
	v_pk_fma_f16 v9, v171, v165, v9 op_sel_hi:[1,0,1]
	v_pk_fma_f16 v4, v171, v165, v4 op_sel:[0,1,0]
	v_pk_fma_f16 v10, v168, v165, v10 op_sel_hi:[1,0,1]
	v_pk_fma_f16 v11, v168, v165, v11 op_sel:[0,1,0]
	;; [unrolled: 9-line block ×5, first 2 shown]
	v_pk_fma_f16 v5, v181, v200, v5 op_sel_hi:[1,0,1]
	v_pk_fma_f16 v6, v185, v201, v6 op_sel:[0,1,0]
	v_pk_fma_f16 v7, v186, v201, v7 op_sel_hi:[1,0,1]
	v_pk_fma_f16 v8, v186, v201, v8 op_sel:[0,1,0]
	;; [unrolled: 2-line block ×4, first 2 shown]
	v_pk_fma_f16 v5, v185, v201, v5 op_sel_hi:[1,0,1]
	ds_load_2addr_b64 v[0:3], v212 offset0:128 offset1:160
	v_pk_fma_f16 v6, v189, v202, v6 op_sel:[0,1,0]
	v_pk_fma_f16 v7, v190, v202, v7 op_sel_hi:[1,0,1]
	v_pk_fma_f16 v8, v190, v202, v8 op_sel:[0,1,0]
	v_pk_fma_f16 v9, v191, v202, v9 op_sel_hi:[1,0,1]
	;; [unrolled: 2-line block ×4, first 2 shown]
	ds_load_2addr_b64 v[212:215], v212 offset0:192 offset1:224
	s_waitcnt lgkmcnt(0)
	s_barrier
	buffer_gl0_inv
	s_load_b32 s19, s[2:3], 0x4
	v_pk_fma_f16 v6, v193, v203, v6 op_sel:[0,1,0]
	v_pk_fma_f16 v7, v194, v203, v7 op_sel_hi:[1,0,1]
	v_pk_fma_f16 v8, v194, v203, v8 op_sel:[0,1,0]
	v_pk_fma_f16 v9, v195, v203, v9 op_sel_hi:[1,0,1]
	;; [unrolled: 2-line block ×16, first 2 shown]
	s_waitcnt lgkmcnt(0)
	s_lshl_b32 s19, s19, 5
	v_pk_fma_f16 v48, v213, v207, v6 op_sel:[0,1,0]
	v_pk_fma_f16 v50, v214, v207, v7 op_sel_hi:[1,0,1]
	v_pk_fma_f16 v47, v214, v207, v2 op_sel:[0,1,0]
	v_pk_fma_f16 v51, v215, v207, v8 op_sel_hi:[1,0,1]
	;; [unrolled: 2-line block ×4, first 2 shown]
	s_add_i32 s7, s19, s7
	s_delay_alu instid0(SALU_CYCLE_1)
	s_cmp_lt_i32 s7, s6
	s_cbranch_scc0 .LBB46_16
; %bb.14:                               ;   in Loop: Header=BB46_8 Depth=1
	v_dual_mov_b32 v74, v14 :: v_dual_mov_b32 v73, v15
	v_mov_b32_e32 v72, v57
	s_branch .LBB46_8
.LBB46_15:
	s_mov_b32 s27, s26
	s_delay_alu instid0(SALU_CYCLE_1)
	v_dual_mov_b32 v14, s26 :: v_dual_mov_b32 v15, s27
	v_dual_mov_b32 v41, 0 :: v_dual_mov_b32 v44, 0
	v_dual_mov_b32 v50, 0 :: v_dual_mov_b32 v51, 0
	v_dual_mov_b32 v42, 0 :: v_dual_mov_b32 v47, 0
	v_mov_b32_e32 v48, 0
	v_mov_b32_e32 v46, 0
.LBB46_16:
	s_cmp_gt_i32 s42, s7
	s_cbranch_scc1 .LBB46_18
; %bb.17:
	v_mbcnt_lo_u32_b32 v0, -1, 0
	v_mov_b32_e32 v11, 32
	s_delay_alu instid0(VALU_DEP_2)
	v_xor_b32_e32 v8, 16, v0
	v_xor_b32_e32 v7, 8, v0
	;; [unrolled: 1-line block ×5, first 2 shown]
	s_cbranch_execz .LBB46_19
	s_branch .LBB46_29
.LBB46_18:
                                        ; implicit-def: $vgpr0
                                        ; implicit-def: $vgpr11
                                        ; implicit-def: $vgpr8
                                        ; implicit-def: $vgpr7
                                        ; implicit-def: $vgpr9
                                        ; implicit-def: $vgpr10
                                        ; implicit-def: $vgpr18
.LBB46_19:
	s_mul_hi_i32 s3, s7, s23
	s_mul_i32 s2, s7, s23
	v_lshlrev_b64 v[0:1], 2, v[16:17]
	s_lshl_b64 s[2:3], s[2:3], 2
	s_sub_i32 s18, s42, s7
	s_add_u32 s19, s4, s2
	s_addc_u32 s26, s5, s3
	s_mov_b32 s4, 0
	v_add_co_u32 v0, vcc_lo, s19, v0
	v_add_co_ci_u32_e32 v1, vcc_lo, s26, v1, vcc_lo
	v_cmp_gt_i32_e64 s2, s18, v49
	s_delay_alu instid0(VALU_DEP_3) | instskip(NEXT) | instid1(VALU_DEP_3)
	v_add_co_u32 v3, vcc_lo, v0, v52
	v_add_co_ci_u32_e32 v1, vcc_lo, 0, v1, vcc_lo
	s_mov_b32 s6, s4
	s_mov_b64 s[20:21], src_private_base
	s_mov_b32 s5, s4
	v_dual_mov_b32 v0, 0 :: v_dual_mov_b32 v11, s6
	v_dual_mov_b32 v10, s5 :: v_dual_mov_b32 v9, s4
	v_cndmask_b32_e64 v2, s21, v1, s2
	v_cndmask_b32_e64 v1, 0, v3, s2
	s_clause 0x1
	scratch_store_b32 off, v0, off
	scratch_store_b96 off, v[9:11], off offset:4
	s_lshl_b32 s5, s23, 3
	v_mad_u32_u24 v18, 0x210, v49, v52
	flat_load_b128 v[4:7], v[1:2]
	v_add_nc_u32_e32 v1, s5, v16
	s_clause 0x1
	scratch_store_b32 off, v0, off
	scratch_store_b96 off, v[9:11], off offset:4
	s_cmp_lg_u64 s[40:41], 0
	v_cmp_gt_i32_e64 s6, s18, v39
	s_cselect_b32 s20, -1, 0
	v_ashrrev_i32_e32 v2, 31, v1
	s_delay_alu instid0(VALU_DEP_1) | instskip(SKIP_1) | instid1(VALU_DEP_2)
	v_lshlrev_b64 v[2:3], 2, v[1:2]
	v_add_nc_u32_e32 v1, s5, v1
	v_add_co_u32 v2, vcc_lo, s19, v2
	s_delay_alu instid0(VALU_DEP_3) | instskip(SKIP_1) | instid1(VALU_DEP_3)
	v_add_co_ci_u32_e32 v8, vcc_lo, s26, v3, vcc_lo
	v_add_nc_u32_e32 v3, 8, v49
	v_add_co_u32 v2, vcc_lo, v2, v52
	s_delay_alu instid0(VALU_DEP_3) | instskip(NEXT) | instid1(VALU_DEP_3)
	v_add_co_ci_u32_e32 v8, vcc_lo, 0, v8, vcc_lo
	v_cmp_gt_i32_e64 s3, s18, v3
	s_delay_alu instid0(VALU_DEP_1) | instskip(NEXT) | instid1(VALU_DEP_4)
	v_cndmask_b32_e64 v17, s21, v8, s3
	v_cndmask_b32_e64 v16, 0, v2, s3
	v_ashrrev_i32_e32 v2, 31, v1
	s_waitcnt vmcnt(0) lgkmcnt(0)
	ds_store_b128 v18, v[4:7]
	flat_load_b128 v[5:8], v[16:17]
	v_lshlrev_b64 v[16:17], 2, v[1:2]
	v_add_nc_u32_e32 v4, 16, v49
	s_clause 0x1
	scratch_store_b32 off, v0, off
	scratch_store_b96 off, v[9:11], off offset:4
	v_add_nc_u32_e32 v1, s5, v1
	v_add_co_u32 v2, vcc_lo, s19, v16
	v_add_co_ci_u32_e32 v16, vcc_lo, s26, v17, vcc_lo
	v_cmp_gt_i32_e64 s4, s18, v4
	s_delay_alu instid0(VALU_DEP_3) | instskip(NEXT) | instid1(VALU_DEP_3)
	v_add_co_u32 v2, vcc_lo, v2, v52
	v_add_co_ci_u32_e32 v16, vcc_lo, 0, v16, vcc_lo
	s_delay_alu instid0(VALU_DEP_1) | instskip(NEXT) | instid1(VALU_DEP_3)
	v_cndmask_b32_e64 v17, s21, v16, s4
	v_cndmask_b32_e64 v16, 0, v2, s4
	v_ashrrev_i32_e32 v2, 31, v1
	s_delay_alu instid0(VALU_DEP_1) | instskip(NEXT) | instid1(VALU_DEP_1)
	v_lshlrev_b64 v[1:2], 2, v[1:2]
	v_add_co_u32 v1, vcc_lo, s19, v1
	s_waitcnt vmcnt(0) lgkmcnt(0)
	ds_store_b128 v18, v[5:8] offset:4224
	flat_load_b128 v[5:8], v[16:17]
	v_add_co_ci_u32_e32 v16, vcc_lo, s26, v2, vcc_lo
	v_add_nc_u32_e32 v2, 24, v49
	v_add_co_u32 v1, vcc_lo, v1, v52
	s_delay_alu instid0(VALU_DEP_3) | instskip(NEXT) | instid1(VALU_DEP_3)
	v_add_co_ci_u32_e32 v16, vcc_lo, 0, v16, vcc_lo
	v_cmp_gt_i32_e64 s5, s18, v2
	s_clause 0x1
	scratch_store_b32 off, v0, off
	scratch_store_b96 off, v[9:11], off offset:4
	v_cndmask_b32_e64 v17, s21, v16, s5
	v_cndmask_b32_e64 v16, 0, v1, s5
	v_lshlrev_b32_e32 v1, 10, v49
	s_waitcnt vmcnt(0) lgkmcnt(0)
	ds_store_b128 v18, v[5:8] offset:8448
	flat_load_b128 v[5:8], v[16:17]
	s_waitcnt vmcnt(0) lgkmcnt(0)
	ds_store_b128 v18, v[5:8] offset:12672
	s_waitcnt lgkmcnt(0)
	s_waitcnt_vscnt null, 0x0
	s_barrier
	buffer_gl0_inv
	ds_load_b128 v[7:10], v56
	ds_load_b128 v[16:19], v1 offset:16896
	ds_load_b128 v[20:23], v1 offset:17408
	v_dual_mov_b32 v6, 0 :: v_dual_mov_b32 v5, 0
	s_waitcnt lgkmcnt(1)
	;;#ASMSTART
	v_dot2_f32_f16 v6, v7, v16, v6
	;;#ASMEND
	;;#ASMSTART
	v_dot2_f32_f16 v6, v8, v17, v6
	;;#ASMEND
	;;#ASMSTART
	v_dot2_f32_f16 v6, v9, v18, v6
	;;#ASMEND
	;;#ASMSTART
	v_dot2_f32_f16 v6, v10, v19, v6
	;;#ASMEND
	s_waitcnt lgkmcnt(0)
	;;#ASMSTART
	v_dot2_f32_f16 v5, v7, v20, v5
	;;#ASMEND
	;;#ASMSTART
	v_dot2_f32_f16 v5, v8, v21, v5
	;;#ASMEND
	;;#ASMSTART
	v_dot2_f32_f16 v5, v9, v22, v5
	;;#ASMEND
	;;#ASMSTART
	v_dot2_f32_f16 v5, v10, v23, v5
	;;#ASMEND
	ds_load_b128 v[7:10], v56 offset:16
	ds_load_b128 v[16:19], v1 offset:16912
	ds_load_b128 v[20:23], v1 offset:17424
	s_waitcnt lgkmcnt(1)
	;;#ASMSTART
	v_dot2_f32_f16 v6, v7, v16, v6
	;;#ASMEND
	;;#ASMSTART
	v_dot2_f32_f16 v6, v8, v17, v6
	;;#ASMEND
	;;#ASMSTART
	v_dot2_f32_f16 v6, v9, v18, v6
	;;#ASMEND
	;;#ASMSTART
	v_dot2_f32_f16 v6, v10, v19, v6
	;;#ASMEND
	s_waitcnt lgkmcnt(0)
	;;#ASMSTART
	v_dot2_f32_f16 v5, v7, v20, v5
	;;#ASMEND
	;;#ASMSTART
	v_dot2_f32_f16 v5, v8, v21, v5
	;;#ASMEND
	;;#ASMSTART
	v_dot2_f32_f16 v5, v9, v22, v5
	;;#ASMEND
	;;#ASMSTART
	v_dot2_f32_f16 v5, v10, v23, v5
	;;#ASMEND
	ds_load_b128 v[7:10], v56 offset:32
	ds_load_b128 v[16:19], v1 offset:16928
	ds_load_b128 v[20:23], v1 offset:17440
	;; [unrolled: 29-line block ×30, first 2 shown]
	s_waitcnt lgkmcnt(1)
	;;#ASMSTART
	v_dot2_f32_f16 v6, v7, v16, v6
	;;#ASMEND
	;;#ASMSTART
	v_dot2_f32_f16 v6, v8, v17, v6
	;;#ASMEND
	;; [unrolled: 3-line block ×4, first 2 shown]
	s_waitcnt lgkmcnt(0)
	;;#ASMSTART
	v_dot2_f32_f16 v5, v7, v20, v5
	;;#ASMEND
	;;#ASMSTART
	v_dot2_f32_f16 v5, v8, v21, v5
	;;#ASMEND
	;; [unrolled: 3-line block ×3, first 2 shown]
	v_mov_b32_e32 v9, v14
	;;#ASMSTART
	v_dot2_f32_f16 v5, v10, v23, v5
	;;#ASMEND
	ds_load_b128 v[17:20], v56 offset:496
	ds_load_b128 v[21:24], v1 offset:17392
	;; [unrolled: 1-line block ×3, first 2 shown]
	s_waitcnt lgkmcnt(1)
	;;#ASMSTART
	v_dot2_f32_f16 v6, v17, v21, v6
	;;#ASMEND
	v_add_nc_u32_e32 v1, s7, v39
	v_cndmask_b32_e64 v16, 0, 1, s20
	;;#ASMSTART
	v_dot2_f32_f16 v6, v18, v22, v6
	;;#ASMEND
	;;#ASMSTART
	v_dot2_f32_f16 v6, v19, v23, v6
	;;#ASMEND
	;; [unrolled: 3-line block ×3, first 2 shown]
	s_waitcnt lgkmcnt(0)
	;;#ASMSTART
	v_dot2_f32_f16 v5, v17, v25, v5
	;;#ASMEND
	;;#ASMSTART
	v_dot2_f32_f16 v5, v18, v26, v5
	;;#ASMEND
	;; [unrolled: 3-line block ×4, first 2 shown]
	s_and_saveexec_b32 s19, s6
	s_cbranch_execz .LBB46_23
; %bb.20:
	s_and_not1_b32 vcc_lo, exec_lo, s20
	s_cbranch_vccnz .LBB46_22
; %bb.21:
	v_mad_u64_u32 v[7:8], null, v55, s22, v[1:2]
	s_delay_alu instid0(VALU_DEP_1) | instskip(NEXT) | instid1(VALU_DEP_1)
	v_ashrrev_i32_e32 v8, 31, v7
	v_lshlrev_b64 v[7:8], 1, v[7:8]
	s_delay_alu instid0(VALU_DEP_1) | instskip(NEXT) | instid1(VALU_DEP_2)
	v_add_co_u32 v7, vcc_lo, s40, v7
	v_add_co_ci_u32_e32 v8, vcc_lo, s41, v8, vcc_lo
	flat_load_u16 v0, v[7:8]
	s_waitcnt vmcnt(0) lgkmcnt(0)
	v_cvt_f32_f16_e32 v0, v0
	s_delay_alu instid0(VALU_DEP_1)
	v_mul_f32_e32 v0, v54, v0
.LBB46_22:
	s_delay_alu instid0(VALU_DEP_1) | instskip(SKIP_1) | instid1(VALU_DEP_2)
	v_add_f32_e32 v6, v6, v0
	v_max_f32_e32 v7, v14, v14
	v_add_f32_e32 v0, 0x40051340, v6
	s_delay_alu instid0(VALU_DEP_1)
	v_max_f32_e32 v9, v7, v0
.LBB46_23:
	s_or_b32 exec_lo, exec_lo, s19
	v_xor_b32_e32 v8, 16, v40
	v_xor_b32_e32 v7, 8, v40
	s_delay_alu instid0(VALU_DEP_2) | instskip(SKIP_1) | instid1(VALU_DEP_3)
	v_cmp_gt_i32_e32 vcc_lo, 32, v8
	v_cndmask_b32_e32 v0, v40, v8, vcc_lo
	v_cmp_gt_i32_e32 vcc_lo, 32, v7
	s_delay_alu instid0(VALU_DEP_2) | instskip(SKIP_4) | instid1(VALU_DEP_1)
	v_dual_cndmask_b32 v10, v40, v7 :: v_dual_lshlrev_b32 v17, 2, v0
	ds_bpermute_b32 v0, v17, v9
	v_max_f32_e32 v9, v9, v9
	s_waitcnt lgkmcnt(0)
	v_dual_max_f32 v0, v0, v0 :: v_dual_lshlrev_b32 v19, 2, v10
	v_max_f32_e32 v0, v9, v0
	v_xor_b32_e32 v9, 4, v40
	s_delay_alu instid0(VALU_DEP_1)
	v_cmp_gt_i32_e32 vcc_lo, 32, v9
	v_cndmask_b32_e32 v11, v40, v9, vcc_lo
	ds_bpermute_b32 v10, v19, v0
	v_lshlrev_b32_e32 v20, 2, v11
	s_waitcnt lgkmcnt(0)
	v_max_f32_e32 v10, v10, v10
	s_delay_alu instid0(VALU_DEP_1)
	v_max_f32_e32 v0, v0, v10
	v_xor_b32_e32 v10, 2, v40
	ds_bpermute_b32 v11, v20, v0
	v_cmp_gt_i32_e32 vcc_lo, 32, v10
	s_waitcnt lgkmcnt(0)
	v_dual_cndmask_b32 v18, v40, v10 :: v_dual_max_f32 v11, v11, v11
	s_delay_alu instid0(VALU_DEP_1) | instskip(SKIP_1) | instid1(VALU_DEP_3)
	v_lshlrev_b32_e32 v21, 2, v18
	v_xor_b32_e32 v18, 1, v40
	v_max_f32_e32 v0, v0, v11
	s_delay_alu instid0(VALU_DEP_2) | instskip(SKIP_3) | instid1(VALU_DEP_1)
	v_cmp_gt_i32_e32 vcc_lo, 32, v18
	ds_bpermute_b32 v11, v21, v0
	v_cndmask_b32_e32 v22, v40, v18, vcc_lo
	s_waitcnt lgkmcnt(0)
	v_dual_max_f32 v11, v11, v11 :: v_dual_lshlrev_b32 v22, 2, v22
	s_delay_alu instid0(VALU_DEP_1) | instskip(SKIP_3) | instid1(VALU_DEP_1)
	v_max_f32_e32 v0, v0, v11
	ds_bpermute_b32 v11, v22, v0
	s_waitcnt lgkmcnt(0)
	v_max_f32_e32 v23, v11, v11
	v_dual_mov_b32 v11, 32 :: v_dual_max_f32 v0, v0, v23
	v_mov_b32_e32 v23, v15
	s_and_saveexec_b32 s19, s6
	s_cbranch_execz .LBB46_28
; %bb.24:
	v_cmp_ne_u32_e32 vcc_lo, 1, v16
	s_cbranch_vccnz .LBB46_26
; %bb.25:
	v_or_b32_e32 v16, 1, v38
	s_delay_alu instid0(VALU_DEP_1) | instskip(NEXT) | instid1(VALU_DEP_1)
	v_mul_hi_u32 v23, s8, v16
	v_add_nc_u32_e32 v23, v16, v23
	s_delay_alu instid0(VALU_DEP_1) | instskip(NEXT) | instid1(VALU_DEP_1)
	v_lshrrev_b32_e32 v23, s9, v23
	v_mul_lo_u32 v23, v23, s10
	s_delay_alu instid0(VALU_DEP_1) | instskip(NEXT) | instid1(VALU_DEP_1)
	v_sub_nc_u32_e32 v16, v16, v23
	v_mad_u64_u32 v[23:24], null, v16, s22, v[1:2]
	s_delay_alu instid0(VALU_DEP_1) | instskip(NEXT) | instid1(VALU_DEP_1)
	v_ashrrev_i32_e32 v24, 31, v23
	v_lshlrev_b64 v[23:24], 1, v[23:24]
	s_delay_alu instid0(VALU_DEP_1) | instskip(NEXT) | instid1(VALU_DEP_2)
	v_add_co_u32 v23, vcc_lo, s40, v23
	v_add_co_ci_u32_e32 v24, vcc_lo, s41, v24, vcc_lo
	flat_load_u16 v1, v[23:24]
	s_waitcnt vmcnt(0) lgkmcnt(0)
	v_cvt_f32_f16_e32 v1, v1
	s_delay_alu instid0(VALU_DEP_1)
	v_mul_f32_e32 v1, v54, v1
	s_branch .LBB46_27
.LBB46_26:
	v_mov_b32_e32 v1, 0
.LBB46_27:
	s_delay_alu instid0(VALU_DEP_1) | instskip(NEXT) | instid1(VALU_DEP_1)
	v_dual_add_f32 v5, v5, v1 :: v_dual_max_f32 v16, v15, v15
	v_add_f32_e32 v1, 0x40051340, v5
	s_delay_alu instid0(VALU_DEP_1)
	v_max_f32_e32 v23, v16, v1
.LBB46_28:
	s_or_b32 exec_lo, exec_lo, s19
	ds_bpermute_b32 v1, v17, v23
	v_max_f32_e32 v16, v23, v23
	s_mov_b32 s20, 0
	s_mul_hi_i32 s9, s7, s13
	s_mov_b32 s21, s20
	s_mov_b32 s22, s20
	s_mul_i32 s8, s7, s13
	s_mov_b64 s[6:7], src_private_base
	s_lshl_b64 s[8:9], s[8:9], 2
	s_waitcnt lgkmcnt(0)
	s_add_u32 s6, s16, s8
	s_addc_u32 s8, s17, s9
	s_barrier
	buffer_gl0_inv
	v_lshl_add_u32 v3, v3, 9, v52
	v_lshl_add_u32 v2, v2, 9, v52
	v_add_nc_u32_e32 v54, 0x3800, v45
	v_sub_f32_e32 v6, v6, v0
	v_lshlrev_b32_e32 v26, 1, v53
	v_max_f32_e32 v1, v1, v1
	s_delay_alu instid0(VALU_DEP_3) | instskip(NEXT) | instid1(VALU_DEP_2)
	v_cmp_ngt_f32_e32 vcc_lo, 0xc2ce8ed0, v6
	v_max_f32_e32 v1, v16, v1
	ds_bpermute_b32 v16, v19, v1
	s_waitcnt lgkmcnt(0)
	v_max_f32_e32 v16, v16, v16
	s_delay_alu instid0(VALU_DEP_1) | instskip(SKIP_3) | instid1(VALU_DEP_1)
	v_max_f32_e32 v1, v1, v16
	ds_bpermute_b32 v16, v20, v1
	s_waitcnt lgkmcnt(0)
	v_max_f32_e32 v16, v16, v16
	v_max_f32_e32 v1, v1, v16
	ds_bpermute_b32 v16, v21, v1
	s_waitcnt lgkmcnt(0)
	v_max_f32_e32 v16, v16, v16
	s_delay_alu instid0(VALU_DEP_1) | instskip(SKIP_3) | instid1(VALU_DEP_1)
	v_max_f32_e32 v1, v1, v16
	ds_bpermute_b32 v16, v22, v1
	s_waitcnt lgkmcnt(0)
	v_max_f32_e32 v16, v16, v16
	v_max_f32_e32 v1, v1, v16
	s_delay_alu instid0(VALU_DEP_1) | instskip(NEXT) | instid1(VALU_DEP_1)
	v_sub_f32_e32 v19, v5, v1
	v_dual_mul_f32 v5, 0x3fb8aa3b, v6 :: v_dual_mul_f32 v16, 0x3fb8aa3b, v19
	s_delay_alu instid0(VALU_DEP_1) | instskip(SKIP_1) | instid1(VALU_DEP_3)
	v_fma_f32 v17, 0x3fb8aa3b, v6, -v5
	v_rndne_f32_e32 v20, v5
	v_fma_f32 v21, 0x3fb8aa3b, v19, -v16
	v_rndne_f32_e32 v22, v16
	s_delay_alu instid0(VALU_DEP_4) | instskip(NEXT) | instid1(VALU_DEP_4)
	v_fmac_f32_e32 v17, 0x32a5705f, v6
	v_sub_f32_e32 v5, v5, v20
	v_cvt_i32_f32_e32 v20, v20
	s_delay_alu instid0(VALU_DEP_4) | instskip(SKIP_1) | instid1(VALU_DEP_4)
	v_dual_fmac_f32 v21, 0x32a5705f, v19 :: v_dual_sub_f32 v16, v16, v22
	v_cvt_i32_f32_e32 v22, v22
	v_add_f32_e32 v17, v5, v17
	s_delay_alu instid0(VALU_DEP_3) | instskip(NEXT) | instid1(VALU_DEP_2)
	v_add_f32_e32 v16, v16, v21
	v_exp_f32_e32 v21, v17
	s_delay_alu instid0(VALU_DEP_1)
	v_exp_f32_e32 v23, v16
	v_lshlrev_b64 v[16:17], 2, v[12:13]
	s_waitcnt_depctr 0xfff
	v_ldexp_f32 v13, v21, v20
	v_ldexp_f32 v20, v23, v22
	v_mov_b32_e32 v25, s22
	s_delay_alu instid0(VALU_DEP_3) | instskip(SKIP_1) | instid1(VALU_DEP_4)
	v_dual_cndmask_b32 v13, 0, v13 :: v_dual_mov_b32 v24, s21
	v_cmp_ngt_f32_e32 vcc_lo, 0xc2ce8ed0, v19
	v_cndmask_b32_e32 v20, 0, v20, vcc_lo
	v_cmp_nlt_f32_e32 vcc_lo, 0x42b17218, v6
	s_delay_alu instid0(VALU_DEP_4) | instskip(SKIP_1) | instid1(VALU_DEP_4)
	v_cndmask_b32_e32 v6, 0x7f800000, v13, vcc_lo
	v_cmp_nlt_f32_e32 vcc_lo, 0x42b17218, v19
	v_cndmask_b32_e32 v13, 0x7f800000, v20, vcc_lo
	v_cmp_gt_u32_e32 vcc_lo, s18, v39
	v_lshlrev_b32_e32 v5, 7, v49
	s_delay_alu instid0(VALU_DEP_3) | instskip(SKIP_3) | instid1(VALU_DEP_3)
	v_dual_mov_b32 v27, 0 :: v_dual_cndmask_b32 v28, 0, v13
	v_cndmask_b32_e32 v6, 0, v6, vcc_lo
	v_add_co_u32 v13, vcc_lo, s6, v16
	v_add_co_ci_u32_e32 v16, vcc_lo, s8, v17, vcc_lo
	v_cvt_f16_f32_e32 v17, v6
	s_delay_alu instid0(VALU_DEP_3) | instskip(SKIP_1) | instid1(VALU_DEP_4)
	v_add_co_u32 v13, vcc_lo, v13, v52
	v_cvt_f16_f32_e32 v19, v28
	v_add_co_ci_u32_e32 v20, vcc_lo, 0, v16, vcc_lo
	s_delay_alu instid0(VALU_DEP_3) | instskip(SKIP_1) | instid1(VALU_DEP_4)
	v_cndmask_b32_e64 v16, 0, v13, s2
	v_add3_u32 v21, 0x6200, v5, v26
	v_pack_b32_f16 v13, v17, v19
	s_delay_alu instid0(VALU_DEP_4)
	v_cndmask_b32_e64 v17, s7, v20, s2
	s_lshl_b32 s2, s13, 3
	v_lshl_add_u32 v26, v49, 9, v52
	v_dual_mov_b32 v23, s20 :: v_dual_add_nc_u32 v12, s2, v12
	s_clause 0x1
	scratch_store_b32 off, v27, off
	scratch_store_b96 off, v[23:25], off offset:4
	ds_store_b32 v21, v13
	flat_load_b128 v[19:22], v[16:17]
	v_ashrrev_i32_e32 v13, 31, v12
	s_delay_alu instid0(VALU_DEP_1)
	v_lshlrev_b64 v[16:17], 2, v[12:13]
	v_add_nc_u32_e32 v12, s2, v12
	s_clause 0x1
	scratch_store_b32 off, v27, off
	scratch_store_b96 off, v[23:25], off offset:4
	v_add_co_u32 v13, vcc_lo, s6, v16
	v_add_co_ci_u32_e32 v16, vcc_lo, s8, v17, vcc_lo
	s_delay_alu instid0(VALU_DEP_2) | instskip(NEXT) | instid1(VALU_DEP_2)
	v_add_co_u32 v13, vcc_lo, v13, v52
	v_add_co_ci_u32_e32 v16, vcc_lo, 0, v16, vcc_lo
	s_delay_alu instid0(VALU_DEP_1) | instskip(NEXT) | instid1(VALU_DEP_3)
	v_cndmask_b32_e64 v17, s7, v16, s3
	v_cndmask_b32_e64 v16, 0, v13, s3
	v_ashrrev_i32_e32 v13, 31, v12
	s_waitcnt vmcnt(0) lgkmcnt(0)
	ds_store_b128 v26, v[19:22]
	flat_load_b128 v[19:22], v[16:17]
	v_lshlrev_b64 v[16:17], 2, v[12:13]
	s_clause 0x1
	scratch_store_b32 off, v27, off
	scratch_store_b96 off, v[23:25], off offset:4
	v_add_nc_u32_e32 v12, s2, v12
	v_add_co_u32 v13, vcc_lo, s6, v16
	v_add_co_ci_u32_e32 v16, vcc_lo, s8, v17, vcc_lo
	s_delay_alu instid0(VALU_DEP_2) | instskip(NEXT) | instid1(VALU_DEP_2)
	v_add_co_u32 v13, vcc_lo, v13, v52
	v_add_co_ci_u32_e32 v16, vcc_lo, 0, v16, vcc_lo
	s_delay_alu instid0(VALU_DEP_1) | instskip(NEXT) | instid1(VALU_DEP_3)
	v_cndmask_b32_e64 v17, s7, v16, s4
	v_cndmask_b32_e64 v16, 0, v13, s4
	v_ashrrev_i32_e32 v13, 31, v12
	s_delay_alu instid0(VALU_DEP_1)
	v_lshlrev_b64 v[12:13], 2, v[12:13]
	s_waitcnt vmcnt(0) lgkmcnt(0)
	ds_store_b128 v3, v[19:22]
	flat_load_b128 v[19:22], v[16:17]
	v_add_co_u32 v3, vcc_lo, s6, v12
	v_add_co_ci_u32_e32 v12, vcc_lo, s8, v13, vcc_lo
	v_lshl_add_u32 v13, v4, 9, v52
	s_delay_alu instid0(VALU_DEP_3) | instskip(NEXT) | instid1(VALU_DEP_3)
	v_add_co_u32 v3, vcc_lo, v3, v52
	v_add_co_ci_u32_e32 v12, vcc_lo, 0, v12, vcc_lo
	s_clause 0x1
	scratch_store_b32 off, v27, off
	scratch_store_b96 off, v[23:25], off offset:4
	v_cndmask_b32_e64 v3, 0, v3, s5
	v_cndmask_b32_e64 v4, s7, v12, s5
	v_sub_f32_e32 v12, v15, v1
	s_delay_alu instid0(VALU_DEP_1) | instskip(NEXT) | instid1(VALU_DEP_1)
	v_mul_f32_e32 v15, 0x3fb8aa3b, v12
	v_fma_f32 v16, 0x3fb8aa3b, v12, -v15
	v_rndne_f32_e32 v17, v15
	s_delay_alu instid0(VALU_DEP_2) | instskip(SKIP_4) | instid1(VALU_DEP_1)
	v_fmac_f32_e32 v16, 0x32a5705f, v12
	s_waitcnt vmcnt(0) lgkmcnt(0)
	ds_store_b128 v13, v[19:22]
	flat_load_b128 v[19:22], v[3:4]
	v_sub_f32_e32 v3, v14, v0
	v_mul_f32_e32 v4, 0x3fb8aa3b, v3
	s_delay_alu instid0(VALU_DEP_1) | instskip(SKIP_1) | instid1(VALU_DEP_1)
	v_fma_f32 v13, 0x3fb8aa3b, v3, -v4
	v_rndne_f32_e32 v14, v4
	v_dual_sub_f32 v4, v4, v14 :: v_dual_fmac_f32 v13, 0x32a5705f, v3
	v_cvt_i32_f32_e32 v14, v14
	v_cmp_ngt_f32_e32 vcc_lo, 0xc2ce8ed0, v3
	s_delay_alu instid0(VALU_DEP_3) | instskip(SKIP_1) | instid1(VALU_DEP_1)
	v_add_f32_e32 v4, v4, v13
	v_sub_f32_e32 v13, v15, v17
	v_add_f32_e32 v13, v13, v16
	s_delay_alu instid0(VALU_DEP_3) | instskip(NEXT) | instid1(VALU_DEP_1)
	v_exp_f32_e32 v4, v4
	v_exp_f32_e32 v13, v13
	s_waitcnt_depctr 0xfff
	v_ldexp_f32 v4, v4, v14
	v_cvt_i32_f32_e32 v14, v17
	s_delay_alu instid0(VALU_DEP_2) | instskip(SKIP_1) | instid1(VALU_DEP_3)
	v_dual_cndmask_b32 v4, 0, v4 :: v_dual_add_nc_u32 v17, 0x1000, v45
	v_cmp_nlt_f32_e32 vcc_lo, 0x42b17218, v3
	v_ldexp_f32 v13, v13, v14
	v_dual_mov_b32 v15, v1 :: v_dual_mov_b32 v14, v0
	s_delay_alu instid0(VALU_DEP_4) | instskip(SKIP_1) | instid1(VALU_DEP_2)
	v_cndmask_b32_e32 v3, 0x7f800000, v4, vcc_lo
	v_cmp_ngt_f32_e32 vcc_lo, 0xc2ce8ed0, v12
	v_dual_fmac_f32 v6, v41, v3 :: v_dual_add_nc_u32 v31, 0x1800, v45
	v_cndmask_b32_e32 v4, 0, v13, vcc_lo
	v_cmp_nlt_f32_e32 vcc_lo, 0x42b17218, v12
	v_cvt_f16_f32_e32 v33, v3
	s_delay_alu instid0(VALU_DEP_4)
	v_dual_mov_b32 v41, v6 :: v_dual_add_nc_u32 v16, 0x800, v45
	v_add_nc_u32_e32 v12, 0x3000, v45
	v_cndmask_b32_e32 v4, 0x7f800000, v4, vcc_lo
	v_add_nc_u32_e32 v13, 0x2000, v45
	v_pk_mul_f16 v55, v33, v50 op_sel_hi:[0,1]
	v_pk_mul_f16 v194, v33, v51 op_sel_hi:[0,1]
	s_delay_alu instid0(VALU_DEP_4) | instskip(SKIP_1) | instid1(VALU_DEP_2)
	v_fmac_f32_e32 v28, v57, v4
	v_cvt_f16_f32_e32 v56, v4
	v_dual_mov_b32 v57, v28 :: v_dual_add_nc_u32 v32, 0x2800, v45
	s_delay_alu instid0(VALU_DEP_2)
	v_pk_mul_f16 v4, v56, v48 op_sel_hi:[0,1]
	v_pk_mul_f16 v6, v56, v47 op_sel_hi:[0,1]
	;; [unrolled: 1-line block ×3, first 2 shown]
	s_waitcnt vmcnt(0) lgkmcnt(0)
	ds_store_b128 v2, v[19:22]
	s_waitcnt lgkmcnt(0)
	s_waitcnt_vscnt null, 0x0
	s_barrier
	buffer_gl0_inv
	ds_load_2addr_b64 v[0:3], v45 offset1:32
	ds_load_b128 v[19:22], v5 offset:25088
	ds_load_b128 v[23:26], v5 offset:25104
	;; [unrolled: 1-line block ×4, first 2 shown]
	ds_load_2addr_b64 v[50:53], v45 offset0:64 offset1:96
	ds_load_2addr_b64 v[58:61], v45 offset0:128 offset1:160
	ds_load_2addr_b64 v[62:65], v45 offset0:192 offset1:224
	ds_load_2addr_b64 v[66:69], v16 offset1:32
	ds_load_2addr_b64 v[70:73], v16 offset0:64 offset1:96
	ds_load_2addr_b64 v[74:77], v16 offset0:128 offset1:160
	ds_load_2addr_b64 v[78:81], v16 offset0:192 offset1:224
	ds_load_2addr_b64 v[82:85], v17 offset1:32
	;; [unrolled: 4-line block ×5, first 2 shown]
	ds_load_b128 v[134:137], v5 offset:25152
	ds_load_b128 v[138:141], v5 offset:25168
	ds_load_2addr_b64 v[142:145], v32 offset0:64 offset1:96
	ds_load_2addr_b64 v[146:149], v32 offset0:128 offset1:160
	;; [unrolled: 1-line block ×3, first 2 shown]
	ds_load_2addr_b64 v[154:157], v12 offset1:32
	ds_load_2addr_b64 v[158:161], v12 offset0:64 offset1:96
	ds_load_2addr_b64 v[162:165], v12 offset0:128 offset1:160
	;; [unrolled: 1-line block ×3, first 2 shown]
	ds_load_2addr_b64 v[170:173], v54 offset1:32
	ds_load_b128 v[174:177], v5 offset:25184
	ds_load_b128 v[178:181], v5 offset:25200
	ds_load_2addr_b64 v[182:185], v54 offset0:64 offset1:96
	ds_load_2addr_b64 v[186:189], v54 offset0:128 offset1:160
	;; [unrolled: 1-line block ×3, first 2 shown]
	s_waitcnt lgkmcnt(38)
	v_pk_mul_f16 v5, v0, v19 op_sel_hi:[1,0]
	v_pk_mul_f16 v0, v0, v19 op_sel:[0,1]
	v_pk_mul_f16 v12, v1, v19 op_sel_hi:[1,0]
	v_pk_fma_f16 v1, v1, v19, v4 op_sel:[0,1,0]
	v_pk_fma_f16 v4, v2, v19, v55 op_sel_hi:[1,0,1]
	v_pk_fma_f16 v2, v2, v19, v6 op_sel:[0,1,0]
	v_pk_fma_f16 v6, v3, v19, v194 op_sel_hi:[1,0,1]
	;; [unrolled: 2-line block ×3, first 2 shown]
	v_pk_fma_f16 v0, v56, v42, v0 op_sel_hi:[0,1,1]
	v_pk_fma_f16 v12, v33, v44, v12 op_sel_hi:[0,1,1]
	s_waitcnt lgkmcnt(34)
	v_pk_fma_f16 v1, v51, v20, v1 op_sel:[0,1,0]
	v_pk_fma_f16 v4, v52, v20, v4 op_sel_hi:[1,0,1]
	v_pk_fma_f16 v2, v52, v20, v2 op_sel:[0,1,0]
	v_pk_fma_f16 v6, v53, v20, v6 op_sel_hi:[1,0,1]
	v_pk_fma_f16 v3, v53, v20, v3 op_sel:[0,1,0]
	v_pk_fma_f16 v5, v50, v20, v5 op_sel_hi:[1,0,1]
	v_pk_fma_f16 v0, v50, v20, v0 op_sel:[0,1,0]
	v_pk_fma_f16 v12, v51, v20, v12 op_sel_hi:[1,0,1]
	s_waitcnt lgkmcnt(33)
	v_pk_fma_f16 v1, v59, v21, v1 op_sel:[0,1,0]
	v_pk_fma_f16 v4, v60, v21, v4 op_sel_hi:[1,0,1]
	v_pk_fma_f16 v2, v60, v21, v2 op_sel:[0,1,0]
	v_pk_fma_f16 v6, v61, v21, v6 op_sel_hi:[1,0,1]
	v_pk_fma_f16 v3, v61, v21, v3 op_sel:[0,1,0]
	v_pk_fma_f16 v5, v58, v21, v5 op_sel_hi:[1,0,1]
	v_pk_fma_f16 v0, v58, v21, v0 op_sel:[0,1,0]
	;; [unrolled: 9-line block ×16, first 2 shown]
	v_pk_fma_f16 v12, v115, v134, v12 op_sel_hi:[1,0,1]
	v_pk_fma_f16 v1, v119, v135, v1 op_sel:[0,1,0]
	v_pk_fma_f16 v4, v120, v135, v4 op_sel_hi:[1,0,1]
	v_pk_fma_f16 v2, v120, v135, v2 op_sel:[0,1,0]
	;; [unrolled: 2-line block ×12, first 2 shown]
	v_pk_fma_f16 v12, v127, v137, v12 op_sel_hi:[1,0,1]
	s_waitcnt lgkmcnt(13)
	v_pk_fma_f16 v1, v131, v138, v1 op_sel:[0,1,0]
	v_pk_fma_f16 v4, v132, v138, v4 op_sel_hi:[1,0,1]
	v_pk_fma_f16 v2, v132, v138, v2 op_sel:[0,1,0]
	v_pk_fma_f16 v6, v133, v138, v6 op_sel_hi:[1,0,1]
	v_pk_fma_f16 v3, v133, v138, v3 op_sel:[0,1,0]
	v_pk_fma_f16 v5, v130, v138, v5 op_sel_hi:[1,0,1]
	v_pk_fma_f16 v0, v130, v138, v0 op_sel:[0,1,0]
	v_pk_fma_f16 v12, v131, v138, v12 op_sel_hi:[1,0,1]
	s_waitcnt lgkmcnt(12)
	v_pk_fma_f16 v1, v143, v139, v1 op_sel:[0,1,0]
	v_pk_fma_f16 v4, v144, v139, v4 op_sel_hi:[1,0,1]
	v_pk_fma_f16 v2, v144, v139, v2 op_sel:[0,1,0]
	v_pk_fma_f16 v6, v145, v139, v6 op_sel_hi:[1,0,1]
	v_pk_fma_f16 v3, v145, v139, v3 op_sel:[0,1,0]
	v_pk_fma_f16 v5, v142, v139, v5 op_sel_hi:[1,0,1]
	v_pk_fma_f16 v0, v142, v139, v0 op_sel:[0,1,0]
	;; [unrolled: 9-line block ×5, first 2 shown]
	v_pk_fma_f16 v12, v155, v174, v12 op_sel_hi:[1,0,1]
	v_pk_fma_f16 v1, v159, v175, v1 op_sel:[0,1,0]
	v_pk_fma_f16 v4, v160, v175, v4 op_sel_hi:[1,0,1]
	v_pk_fma_f16 v2, v160, v175, v2 op_sel:[0,1,0]
	;; [unrolled: 2-line block ×12, first 2 shown]
	v_pk_fma_f16 v12, v167, v177, v12 op_sel_hi:[1,0,1]
	s_waitcnt lgkmcnt(3)
	v_pk_fma_f16 v1, v171, v178, v1 op_sel:[0,1,0]
	v_pk_fma_f16 v4, v172, v178, v4 op_sel_hi:[1,0,1]
	v_pk_fma_f16 v2, v172, v178, v2 op_sel:[0,1,0]
	v_pk_fma_f16 v6, v173, v178, v6 op_sel_hi:[1,0,1]
	v_pk_fma_f16 v3, v173, v178, v3 op_sel:[0,1,0]
	v_pk_fma_f16 v5, v170, v178, v5 op_sel_hi:[1,0,1]
	v_pk_fma_f16 v0, v170, v178, v0 op_sel:[0,1,0]
	v_pk_fma_f16 v12, v171, v178, v12 op_sel_hi:[1,0,1]
	s_waitcnt lgkmcnt(2)
	v_pk_fma_f16 v1, v183, v179, v1 op_sel:[0,1,0]
	v_pk_fma_f16 v4, v184, v179, v4 op_sel_hi:[1,0,1]
	v_pk_fma_f16 v2, v184, v179, v2 op_sel:[0,1,0]
	v_pk_fma_f16 v6, v185, v179, v6 op_sel_hi:[1,0,1]
	v_pk_fma_f16 v3, v185, v179, v3 op_sel:[0,1,0]
	v_pk_fma_f16 v5, v182, v179, v5 op_sel_hi:[1,0,1]
	v_pk_fma_f16 v0, v182, v179, v0 op_sel:[0,1,0]
	;; [unrolled: 9-line block ×4, first 2 shown]
	v_pk_fma_f16 v44, v191, v181, v12 op_sel_hi:[1,0,1]
	v_mov_b32_e32 v0, v40
	s_barrier
	buffer_gl0_inv
.LBB46_29:
	v_cmp_lt_i32_e32 vcc_lo, v8, v11
	s_cmp_eq_u64 s[24:25], 0
	s_cselect_b32 s2, -1, 0
	s_cmp_lg_u32 s14, 0
	v_cndmask_b32_e32 v1, v0, v8, vcc_lo
	v_cmp_lt_i32_e32 vcc_lo, v7, v11
	s_cselect_b32 s3, -1, 0
	s_delay_alu instid0(SALU_CYCLE_1) | instskip(NEXT) | instid1(VALU_DEP_2)
	s_or_b32 s2, s3, s2
	v_lshlrev_b32_e32 v1, 2, v1
	v_cndmask_b32_e32 v3, v0, v7, vcc_lo
	v_cmp_lt_i32_e32 vcc_lo, v9, v11
	ds_bpermute_b32 v2, v1, v41
	v_lshlrev_b32_e32 v3, 2, v3
	v_cndmask_b32_e32 v5, v0, v9, vcc_lo
	v_cmp_lt_i32_e32 vcc_lo, v10, v11
	s_waitcnt lgkmcnt(0)
	s_delay_alu instid0(VALU_DEP_2)
	v_dual_add_f32 v2, v41, v2 :: v_dual_lshlrev_b32 v5, 2, v5
	ds_bpermute_b32 v4, v3, v2
	s_waitcnt lgkmcnt(0)
	v_add_f32_e32 v2, v2, v4
	ds_bpermute_b32 v1, v1, v57
	s_waitcnt lgkmcnt(0)
	v_add_f32_e32 v1, v57, v1
	;; [unrolled: 3-line block ×3, first 2 shown]
	ds_bpermute_b32 v3, v5, v2
	ds_bpermute_b32 v4, v5, v1
	v_cndmask_b32_e32 v5, v0, v10, vcc_lo
	v_cmp_lt_i32_e32 vcc_lo, v18, v11
	s_delay_alu instid0(VALU_DEP_2) | instskip(SKIP_1) | instid1(VALU_DEP_1)
	v_dual_cndmask_b32 v0, v0, v18 :: v_dual_lshlrev_b32 v5, 2, v5
	s_and_b32 vcc_lo, exec_lo, s2
	v_lshlrev_b32_e32 v0, 2, v0
	s_waitcnt lgkmcnt(0)
	v_dual_add_f32 v2, v2, v3 :: v_dual_add_f32 v1, v1, v4
	ds_bpermute_b32 v3, v5, v2
	ds_bpermute_b32 v4, v5, v1
	s_waitcnt lgkmcnt(0)
	v_dual_add_f32 v2, v2, v3 :: v_dual_add_f32 v1, v1, v4
	ds_bpermute_b32 v3, v0, v2
	ds_bpermute_b32 v4, v0, v1
	s_waitcnt lgkmcnt(0)
	v_dual_add_f32 v0, v2, v3 :: v_dual_add_f32 v1, v1, v4
	s_cbranch_vccnz .LBB46_32
; %bb.30:
	s_lshl_b64 s[2:3], s[34:35], 2
	v_dual_mov_b32 v2, 0 :: v_dual_max_f32 v3, v14, v14
	s_add_u32 s2, s24, s2
	s_addc_u32 s3, s25, s3
	v_max_f32_e32 v6, v15, v15
	global_load_b32 v2, v2, s[2:3]
	s_waitcnt vmcnt(0)
	v_max_f32_e32 v5, v2, v2
	s_delay_alu instid0(VALU_DEP_1) | instskip(SKIP_1) | instid1(VALU_DEP_2)
	v_max_f32_e32 v4, v3, v5
	v_max_f32_e32 v5, v6, v5
	v_sub_f32_e32 v6, v2, v4
	s_delay_alu instid0(VALU_DEP_1) | instskip(SKIP_1) | instid1(VALU_DEP_4)
	v_mul_f32_e32 v9, 0x3fb8aa3b, v6
	v_sub_f32_e32 v3, v14, v4
	v_sub_f32_e32 v8, v2, v5
	s_delay_alu instid0(VALU_DEP_2) | instskip(NEXT) | instid1(VALU_DEP_4)
	v_dual_mul_f32 v2, 0x3fb8aa3b, v3 :: v_dual_sub_f32 v7, v15, v5
	v_rndne_f32_e32 v15, v9
	v_fma_f32 v14, 0x3fb8aa3b, v6, -v9
	s_delay_alu instid0(VALU_DEP_3) | instskip(NEXT) | instid1(VALU_DEP_4)
	v_rndne_f32_e32 v13, v2
	v_mul_f32_e32 v10, 0x3fb8aa3b, v7
	s_delay_alu instid0(VALU_DEP_4)
	v_sub_f32_e32 v9, v9, v15
	v_mul_f32_e32 v11, 0x3fb8aa3b, v8
	v_fma_f32 v12, 0x3fb8aa3b, v3, -v2
	v_sub_f32_e32 v2, v2, v13
	v_cmp_ngt_f32_e32 vcc_lo, 0xc2ce8ed0, v3
	v_fma_f32 v16, 0x3fb8aa3b, v7, -v10
	v_rndne_f32_e32 v19, v11
	v_fma_f32 v18, 0x3fb8aa3b, v8, -v11
	v_fmac_f32_e32 v14, 0x32a5705f, v6
	v_rndne_f32_e32 v17, v10
	s_delay_alu instid0(VALU_DEP_4) | instskip(NEXT) | instid1(VALU_DEP_3)
	v_sub_f32_e32 v11, v11, v19
	v_dual_fmac_f32 v12, 0x32a5705f, v3 :: v_dual_add_f32 v9, v9, v14
	s_delay_alu instid0(VALU_DEP_3) | instskip(NEXT) | instid1(VALU_DEP_2)
	v_cvt_i32_f32_e32 v14, v17
	v_add_f32_e32 v2, v2, v12
	s_delay_alu instid0(VALU_DEP_3)
	v_exp_f32_e32 v9, v9
	v_cvt_i32_f32_e32 v12, v13
	v_cvt_i32_f32_e32 v13, v15
	;; [unrolled: 1-line block ×3, first 2 shown]
	v_exp_f32_e32 v2, v2
	s_waitcnt_depctr 0xfff
	v_ldexp_f32 v9, v9, v13
	v_ldexp_f32 v2, v2, v12
	s_delay_alu instid0(VALU_DEP_1) | instskip(SKIP_1) | instid1(VALU_DEP_4)
	v_cndmask_b32_e32 v2, 0, v2, vcc_lo
	v_cmp_ngt_f32_e32 vcc_lo, 0xc2ce8ed0, v6
	v_dual_fmac_f32 v18, 0x32a5705f, v8 :: v_dual_cndmask_b32 v9, 0, v9
	s_delay_alu instid0(VALU_DEP_1) | instskip(SKIP_1) | instid1(VALU_DEP_2)
	v_dual_fmac_f32 v16, 0x32a5705f, v7 :: v_dual_add_f32 v11, v11, v18
	v_cmp_ngt_f32_e32 vcc_lo, 0xc2ce8ed0, v7
	v_exp_f32_e32 v11, v11
	s_waitcnt_depctr 0xfff
	v_ldexp_f32 v11, v11, v15
	v_sub_f32_e32 v10, v10, v17
	s_delay_alu instid0(VALU_DEP_1) | instskip(NEXT) | instid1(VALU_DEP_1)
	v_add_f32_e32 v10, v10, v16
	v_exp_f32_e32 v10, v10
	s_waitcnt_depctr 0xfff
	v_ldexp_f32 v10, v10, v14
	v_dual_mov_b32 v15, v5 :: v_dual_mov_b32 v14, v4
	s_delay_alu instid0(VALU_DEP_2)
	v_cndmask_b32_e32 v10, 0, v10, vcc_lo
	v_cmp_ngt_f32_e32 vcc_lo, 0xc2ce8ed0, v8
	v_cndmask_b32_e32 v11, 0, v11, vcc_lo
	v_cmp_nlt_f32_e32 vcc_lo, 0x42b17218, v3
	v_cndmask_b32_e32 v12, 0x7f800000, v2, vcc_lo
	v_cmp_nlt_f32_e32 vcc_lo, 0x42b17218, v6
	;; [unrolled: 2-line block ×3, first 2 shown]
	s_delay_alu instid0(VALU_DEP_4) | instskip(NEXT) | instid1(VALU_DEP_3)
	v_cvt_f16_f32_e32 v7, v12
	v_fmac_f32_e32 v2, v0, v12
	v_cndmask_b32_e32 v6, 0x7f800000, v10, vcc_lo
	v_cmp_nlt_f32_e32 vcc_lo, 0x42b17218, v8
	s_delay_alu instid0(VALU_DEP_4)
	v_pk_mul_f16 v43, v7, v43 op_sel_hi:[0,1]
	v_pk_mul_f16 v44, v7, v44 op_sel_hi:[0,1]
	;; [unrolled: 1-line block ×3, first 2 shown]
	v_cvt_f16_f32_e32 v0, v6
	v_cndmask_b32_e32 v3, 0x7f800000, v11, vcc_lo
	v_pk_mul_f16 v51, v7, v51 op_sel_hi:[0,1]
	s_delay_alu instid0(VALU_DEP_3) | instskip(NEXT) | instid1(VALU_DEP_3)
	v_pk_mul_f16 v42, v0, v42 op_sel_hi:[0,1]
	v_fmac_f32_e32 v3, v1, v6
	v_pk_mul_f16 v48, v0, v48 op_sel_hi:[0,1]
	v_pk_mul_f16 v47, v0, v47 op_sel_hi:[0,1]
	v_pk_mul_f16 v46, v0, v46 op_sel_hi:[0,1]
	s_delay_alu instid0(VALU_DEP_4)
	v_dual_mov_b32 v0, v2 :: v_dual_mov_b32 v1, v3
	s_mov_b32 s2, exec_lo
	v_cmpx_gt_i32_e64 s10, v38
	s_cbranch_execnz .LBB46_33
.LBB46_31:
	s_nop 0
	s_sendmsg sendmsg(MSG_DEALLOC_VGPRS)
	s_endpgm
.LBB46_32:
	s_delay_alu instid0(VALU_DEP_1)
	v_dual_mov_b32 v2, v0 :: v_dual_mov_b32 v3, v1
	s_mov_b32 s2, exec_lo
	v_cmpx_gt_i32_e64 s10, v38
	s_cbranch_execz .LBB46_31
.LBB46_33:
	s_load_b32 s1, s[0:1], 0xd4
	v_mov_b32_e32 v6, 1.0
	s_waitcnt lgkmcnt(0)
	s_cmp_lg_u32 s1, 1
	s_cselect_b32 s4, -1, 0
	s_cmp_eq_u32 s1, 1
	s_cselect_b32 s2, -1, 0
	s_and_b32 vcc_lo, exec_lo, s4
	s_cbranch_vccnz .LBB46_35
; %bb.34:
	v_div_scale_f32 v4, null, v2, v2, 1.0
	s_delay_alu instid0(VALU_DEP_1) | instskip(SKIP_2) | instid1(VALU_DEP_1)
	v_rcp_f32_e32 v5, v4
	s_waitcnt_depctr 0xfff
	v_fma_f32 v6, -v4, v5, 1.0
	v_fmac_f32_e32 v5, v6, v5
	v_div_scale_f32 v6, vcc_lo, 1.0, v2, 1.0
	s_delay_alu instid0(VALU_DEP_1) | instskip(NEXT) | instid1(VALU_DEP_1)
	v_mul_f32_e32 v7, v6, v5
	v_fma_f32 v8, -v4, v7, v6
	s_delay_alu instid0(VALU_DEP_1) | instskip(NEXT) | instid1(VALU_DEP_1)
	v_fmac_f32_e32 v7, v8, v5
	v_fma_f32 v4, -v4, v7, v6
	s_delay_alu instid0(VALU_DEP_1) | instskip(NEXT) | instid1(VALU_DEP_1)
	v_div_fmas_f32 v4, v4, v5, v7
	v_div_fixup_f32 v6, v4, v2, 1.0
.LBB46_35:
	s_mul_i32 s3, s12, s10
	v_cvt_f32_f16_e32 v11, v43
	s_add_i32 s3, s3, s15
	v_lshrrev_b32_e32 v10, 16, v43
	v_add_nc_u32_e32 v2, s3, v37
	v_mov_b32_e32 v12, 0
	v_lshrrev_b32_e32 v13, 16, v51
	v_lshrrev_b32_e32 v16, 16, v50
	v_cvt_f32_f16_e32 v17, v50
	v_mad_u64_u32 v[7:8], null, v2, s11, s[34:35]
	v_lshrrev_b32_e32 v2, 16, v44
	v_cvt_f32_f16_e32 v8, v44
	v_cvt_f32_f16_e32 v13, v13
	v_cmp_eq_u32_e32 vcc_lo, 0, v39
	s_delay_alu instid0(VALU_DEP_4)
	v_cvt_f32_f16_e32 v2, v2
	v_mad_u64_u32 v[4:5], null, s1, v7, s[14:15]
	v_mul_f32_e32 v7, v6, v11
	v_cvt_f32_f16_e32 v5, v51
	v_mul_f32_e32 v9, v6, v8
	v_cvt_f32_f16_e32 v8, v10
	v_mul_f32_e32 v10, v6, v2
	v_mul_f32_e32 v19, v6, v13
	v_lshl_add_u32 v11, v4, 8, v36
	v_mul_f32_e32 v18, v6, v5
	v_cvt_f32_f16_e32 v5, v16
	v_mul_f32_e32 v16, v6, v17
	v_mul_f32_e32 v8, v6, v8
	v_lshlrev_b64 v[20:21], 2, v[11:12]
	v_add_nc_u32_e32 v11, 0x80, v11
	v_mul_f32_e32 v17, v6, v5
	s_delay_alu instid0(VALU_DEP_2) | instskip(NEXT) | instid1(VALU_DEP_4)
	v_lshlrev_b64 v[5:6], 2, v[11:12]
	v_add_co_u32 v11, s0, s28, v20
	s_delay_alu instid0(VALU_DEP_1) | instskip(NEXT) | instid1(VALU_DEP_3)
	v_add_co_ci_u32_e64 v12, s0, s29, v21, s0
	v_add_co_u32 v5, s0, s28, v5
	s_delay_alu instid0(VALU_DEP_1)
	v_add_co_ci_u32_e64 v6, s0, s29, v6, s0
	s_and_b32 s0, vcc_lo, s4
	s_clause 0x1
	global_store_b128 v[11:12], v[7:10], off
	global_store_b128 v[5:6], v[16:19], off
	s_and_saveexec_b32 s4, s0
	s_cbranch_execz .LBB46_37
; %bb.36:
	v_ashrrev_i32_e32 v5, 31, v4
	v_dual_mov_b32 v6, v14 :: v_dual_mov_b32 v7, v0
	s_delay_alu instid0(VALU_DEP_2) | instskip(NEXT) | instid1(VALU_DEP_1)
	v_lshlrev_b64 v[4:5], 3, v[4:5]
	v_add_co_u32 v4, vcc_lo, s30, v4
	s_delay_alu instid0(VALU_DEP_2)
	v_add_co_ci_u32_e32 v5, vcc_lo, s31, v5, vcc_lo
	global_store_b64 v[4:5], v[6:7], off
.LBB46_37:
	s_or_b32 exec_lo, exec_lo, s4
	v_cmp_gt_i32_e32 vcc_lo, s10, v35
	s_and_b32 exec_lo, exec_lo, vcc_lo
	s_cbranch_execz .LBB46_31
; %bb.38:
	v_mov_b32_e32 v0, 1.0
	s_and_not1_b32 vcc_lo, exec_lo, s2
	s_cbranch_vccnz .LBB46_40
; %bb.39:
	v_div_scale_f32 v0, null, v3, v3, 1.0
	s_delay_alu instid0(VALU_DEP_1) | instskip(SKIP_2) | instid1(VALU_DEP_1)
	v_rcp_f32_e32 v2, v0
	s_waitcnt_depctr 0xfff
	v_fma_f32 v4, -v0, v2, 1.0
	v_fmac_f32_e32 v2, v4, v2
	v_div_scale_f32 v4, vcc_lo, 1.0, v3, 1.0
	s_delay_alu instid0(VALU_DEP_1) | instskip(NEXT) | instid1(VALU_DEP_1)
	v_mul_f32_e32 v5, v4, v2
	v_fma_f32 v6, -v0, v5, v4
	s_delay_alu instid0(VALU_DEP_1) | instskip(NEXT) | instid1(VALU_DEP_1)
	v_fmac_f32_e32 v5, v6, v2
	v_fma_f32 v0, -v0, v5, v4
	s_delay_alu instid0(VALU_DEP_1) | instskip(NEXT) | instid1(VALU_DEP_1)
	v_div_fmas_f32 v0, v0, v2, v5
	v_div_fixup_f32 v0, v0, v3, 1.0
.LBB46_40:
	v_cvt_f32_f16_e32 v8, v42
	v_add_nc_u32_e32 v2, s3, v34
	v_cvt_f32_f16_e32 v6, v48
	v_lshrrev_b32_e32 v7, 16, v42
	v_mov_b32_e32 v12, 0
	v_cvt_f32_f16_e32 v13, v47
	v_mad_u64_u32 v[4:5], null, v2, s11, s[34:35]
	v_lshrrev_b32_e32 v5, 16, v48
	v_cvt_f32_f16_e32 v17, v7
	s_delay_alu instid0(VALU_DEP_4)
	v_mul_f32_e32 v7, v0, v13
	v_lshrrev_b32_e32 v9, 16, v46
	v_lshrrev_b32_e32 v10, 16, v47
	v_cvt_f32_f16_e32 v16, v5
	v_mul_f32_e32 v5, v0, v6
	v_mad_u64_u32 v[2:3], null, s1, v4, s[14:15]
	v_cvt_f32_f16_e32 v4, v46
	v_mul_f32_e32 v3, v0, v8
	v_cvt_f32_f16_e32 v8, v9
	v_cvt_f32_f16_e32 v18, v10
	v_mul_f32_e32 v6, v0, v16
	v_mul_f32_e32 v9, v0, v4
	v_lshl_add_u32 v11, v2, 8, v36
	v_mul_f32_e32 v4, v0, v17
	v_mul_f32_e32 v10, v0, v8
	;; [unrolled: 1-line block ×3, first 2 shown]
	s_delay_alu instid0(VALU_DEP_4) | instskip(SKIP_1) | instid1(VALU_DEP_1)
	v_lshlrev_b64 v[13:14], 2, v[11:12]
	v_add_nc_u32_e32 v11, 0x80, v11
	v_lshlrev_b64 v[11:12], 2, v[11:12]
	s_delay_alu instid0(VALU_DEP_3) | instskip(NEXT) | instid1(VALU_DEP_4)
	v_add_co_u32 v13, vcc_lo, s28, v13
	v_add_co_ci_u32_e32 v14, vcc_lo, s29, v14, vcc_lo
	s_delay_alu instid0(VALU_DEP_3) | instskip(NEXT) | instid1(VALU_DEP_4)
	v_add_co_u32 v11, vcc_lo, s28, v11
	v_add_co_ci_u32_e32 v12, vcc_lo, s29, v12, vcc_lo
	s_clause 0x1
	global_store_b128 v[13:14], v[3:6], off
	global_store_b128 v[11:12], v[7:10], off
	s_and_b32 exec_lo, exec_lo, s0
	s_cbranch_execz .LBB46_31
; %bb.41:
	v_ashrrev_i32_e32 v3, 31, v2
	v_mov_b32_e32 v0, v15
	s_delay_alu instid0(VALU_DEP_2) | instskip(NEXT) | instid1(VALU_DEP_1)
	v_lshlrev_b64 v[2:3], 3, v[2:3]
	v_add_co_u32 v2, vcc_lo, s30, v2
	s_delay_alu instid0(VALU_DEP_2)
	v_add_co_ci_u32_e32 v3, vcc_lo, s31, v3, vcc_lo
	global_store_b64 v[2:3], v[0:1], off
	s_nop 0
	s_sendmsg sendmsg(MSG_DEALLOC_VGPRS)
	s_endpgm
	.section	.rodata,"a",@progbits
	.p2align	6, 0x0
	.amdhsa_kernel _ZL15flash_attn_tileILi256ELi256ELi16ELi1ELb0EEvPKcS1_S1_S1_S1_PKiPfP15HIP_vector_typeIfLj2EEffffjfiS5_IjLj3EEiiiiiiiiiiiliiliiiiil
		.amdhsa_group_segment_fixed_size 26112
		.amdhsa_private_segment_fixed_size 32
		.amdhsa_kernarg_size 464
		.amdhsa_user_sgpr_count 13
		.amdhsa_user_sgpr_dispatch_ptr 0
		.amdhsa_user_sgpr_queue_ptr 0
		.amdhsa_user_sgpr_kernarg_segment_ptr 1
		.amdhsa_user_sgpr_dispatch_id 0
		.amdhsa_user_sgpr_private_segment_size 0
		.amdhsa_wavefront_size32 1
		.amdhsa_uses_dynamic_stack 0
		.amdhsa_enable_private_segment 1
		.amdhsa_system_sgpr_workgroup_id_x 1
		.amdhsa_system_sgpr_workgroup_id_y 1
		.amdhsa_system_sgpr_workgroup_id_z 1
		.amdhsa_system_sgpr_workgroup_info 0
		.amdhsa_system_vgpr_workitem_id 1
		.amdhsa_next_free_vgpr 219
		.amdhsa_next_free_sgpr 47
		.amdhsa_reserve_vcc 1
		.amdhsa_float_round_mode_32 0
		.amdhsa_float_round_mode_16_64 0
		.amdhsa_float_denorm_mode_32 3
		.amdhsa_float_denorm_mode_16_64 3
		.amdhsa_dx10_clamp 1
		.amdhsa_ieee_mode 1
		.amdhsa_fp16_overflow 0
		.amdhsa_workgroup_processor_mode 1
		.amdhsa_memory_ordered 1
		.amdhsa_forward_progress 0
		.amdhsa_shared_vgpr_count 0
		.amdhsa_exception_fp_ieee_invalid_op 0
		.amdhsa_exception_fp_denorm_src 0
		.amdhsa_exception_fp_ieee_div_zero 0
		.amdhsa_exception_fp_ieee_overflow 0
		.amdhsa_exception_fp_ieee_underflow 0
		.amdhsa_exception_fp_ieee_inexact 0
		.amdhsa_exception_int_div_zero 0
	.end_amdhsa_kernel
	.section	.text._ZL15flash_attn_tileILi256ELi256ELi16ELi1ELb0EEvPKcS1_S1_S1_S1_PKiPfP15HIP_vector_typeIfLj2EEffffjfiS5_IjLj3EEiiiiiiiiiiiliiliiiiil,"axG",@progbits,_ZL15flash_attn_tileILi256ELi256ELi16ELi1ELb0EEvPKcS1_S1_S1_S1_PKiPfP15HIP_vector_typeIfLj2EEffffjfiS5_IjLj3EEiiiiiiiiiiiliiliiiiil,comdat
.Lfunc_end46:
	.size	_ZL15flash_attn_tileILi256ELi256ELi16ELi1ELb0EEvPKcS1_S1_S1_S1_PKiPfP15HIP_vector_typeIfLj2EEffffjfiS5_IjLj3EEiiiiiiiiiiiliiliiiiil, .Lfunc_end46-_ZL15flash_attn_tileILi256ELi256ELi16ELi1ELb0EEvPKcS1_S1_S1_S1_PKiPfP15HIP_vector_typeIfLj2EEffffjfiS5_IjLj3EEiiiiiiiiiiiliiliiiiil
                                        ; -- End function
	.section	.AMDGPU.csdata,"",@progbits
; Kernel info:
; codeLenInByte = 26064
; NumSgprs: 49
; NumVgprs: 219
; ScratchSize: 32
; MemoryBound: 0
; FloatMode: 240
; IeeeMode: 1
; LDSByteSize: 26112 bytes/workgroup (compile time only)
; SGPRBlocks: 6
; VGPRBlocks: 27
; NumSGPRsForWavesPerEU: 49
; NumVGPRsForWavesPerEU: 219
; Occupancy: 6
; WaveLimiterHint : 1
; COMPUTE_PGM_RSRC2:SCRATCH_EN: 1
; COMPUTE_PGM_RSRC2:USER_SGPR: 13
; COMPUTE_PGM_RSRC2:TRAP_HANDLER: 0
; COMPUTE_PGM_RSRC2:TGID_X_EN: 1
; COMPUTE_PGM_RSRC2:TGID_Y_EN: 1
; COMPUTE_PGM_RSRC2:TGID_Z_EN: 1
; COMPUTE_PGM_RSRC2:TIDIG_COMP_CNT: 1
	.section	.text._ZL33flash_attn_stream_k_fixup_uniformILi256ELi16ELi1EEvPfPK15HIP_vector_typeIfLj2EEiiiiiiS1_IjLj3EES5_S5_,"axG",@progbits,_ZL33flash_attn_stream_k_fixup_uniformILi256ELi16ELi1EEvPfPK15HIP_vector_typeIfLj2EEiiiiiiS1_IjLj3EES5_S5_,comdat
	.globl	_ZL33flash_attn_stream_k_fixup_uniformILi256ELi16ELi1EEvPfPK15HIP_vector_typeIfLj2EEiiiiiiS1_IjLj3EES5_S5_ ; -- Begin function _ZL33flash_attn_stream_k_fixup_uniformILi256ELi16ELi1EEvPfPK15HIP_vector_typeIfLj2EEiiiiiiS1_IjLj3EES5_S5_
	.p2align	8
	.type	_ZL33flash_attn_stream_k_fixup_uniformILi256ELi16ELi1EEvPfPK15HIP_vector_typeIfLj2EEiiiiiiS1_IjLj3EES5_S5_,@function
_ZL33flash_attn_stream_k_fixup_uniformILi256ELi16ELi1EEvPfPK15HIP_vector_typeIfLj2EEiiiiiiS1_IjLj3EES5_S5_: ; @_ZL33flash_attn_stream_k_fixup_uniformILi256ELi16ELi1EEvPfPK15HIP_vector_typeIfLj2EEiiiiiiS1_IjLj3EES5_S5_
; %bb.0:
	s_clause 0x1
	s_load_b256 s[4:11], s[0:1], 0x1c
	s_load_b128 s[16:19], s[0:1], 0x3c
	s_waitcnt lgkmcnt(0)
	s_mul_hi_u32 s2, s7, s13
	s_delay_alu instid0(SALU_CYCLE_1) | instskip(NEXT) | instid1(SALU_CYCLE_1)
	s_add_i32 s2, s13, s2
	s_lshr_b32 s2, s2, s8
	s_delay_alu instid0(SALU_CYCLE_1) | instskip(SKIP_2) | instid1(SALU_CYCLE_1)
	s_mul_i32 s3, s2, s9
	s_load_b64 s[8:9], s[0:1], 0x10
	s_sub_i32 s7, s13, s3
	s_mul_hi_u32 s3, s7, s10
	s_delay_alu instid0(SALU_CYCLE_1) | instskip(NEXT) | instid1(SALU_CYCLE_1)
	s_add_i32 s3, s7, s3
	s_lshr_b32 s3, s3, s11
	s_delay_alu instid0(SALU_CYCLE_1) | instskip(NEXT) | instid1(SALU_CYCLE_1)
	s_mul_i32 s10, s3, s16
	s_sub_i32 s10, s7, s10
	s_delay_alu instid0(SALU_CYCLE_1) | instskip(NEXT) | instid1(SALU_CYCLE_1)
	s_mul_hi_u32 s7, s10, s17
	s_add_i32 s7, s10, s7
	s_delay_alu instid0(SALU_CYCLE_1) | instskip(NEXT) | instid1(SALU_CYCLE_1)
	s_lshr_b32 s7, s7, s18
	s_mul_i32 s11, s7, s19
	s_delay_alu instid0(SALU_CYCLE_1) | instskip(NEXT) | instid1(SALU_CYCLE_1)
	s_sub_i32 s10, s10, s11
	s_lshl_b32 s11, s10, 4
	s_delay_alu instid0(SALU_CYCLE_1) | instskip(SKIP_4) | instid1(SALU_CYCLE_1)
	s_add_i32 s11, s11, s14
	s_waitcnt lgkmcnt(0)
	s_cmp_lt_i32 s11, s8
	s_cselect_b32 s11, -1, 0
	s_add_i32 s12, s7, s15
	s_cmp_lt_i32 s12, s5
	s_cselect_b32 s12, -1, 0
	s_delay_alu instid0(SALU_CYCLE_1) | instskip(NEXT) | instid1(SALU_CYCLE_1)
	s_and_b32 s11, s11, s12
	s_and_not1_b32 vcc_lo, exec_lo, s11
	s_cbranch_vccnz .LBB47_6
; %bb.1:
	s_mul_i32 s2, s2, s8
	s_mul_i32 s5, s3, s5
	s_add_i32 s2, s2, s14
	s_delay_alu instid0(SALU_CYCLE_1) | instskip(NEXT) | instid1(SALU_CYCLE_1)
	s_mul_i32 s2, s2, s9
	s_add_i32 s8, s2, s15
	s_load_b128 s[0:3], s[0:1], 0x0
	s_add_i32 s5, s8, s5
	s_mul_i32 s8, s9, s10
	s_add_i32 s5, s5, s7
	s_lshl_b32 s7, s8, 12
	s_lshl_b32 s5, s5, 8
	s_add_i32 s10, s14, s15
	s_add_i32 s7, s7, s5
	s_mul_i32 s5, s13, s6
	v_or_b32_e32 v1, s7, v0
	s_add_i32 s9, s5, s6
	s_delay_alu instid0(VALU_DEP_1) | instskip(NEXT) | instid1(VALU_DEP_1)
	v_ashrrev_i32_e32 v2, 31, v1
	v_lshlrev_b64 v[1:2], 2, v[1:2]
	s_waitcnt lgkmcnt(0)
	s_delay_alu instid0(VALU_DEP_1) | instskip(NEXT) | instid1(VALU_DEP_2)
	v_add_co_u32 v1, vcc_lo, s0, v1
	v_add_co_ci_u32_e32 v2, vcc_lo, s1, v2, vcc_lo
	s_lshl_b32 s0, s9, 4
	s_delay_alu instid0(SALU_CYCLE_1) | instskip(SKIP_2) | instid1(SALU_CYCLE_1)
	s_add_i32 s0, s10, s0
	global_load_b32 v5, v[1:2], off
	s_add_i32 s0, s0, -16
	s_ashr_i32 s1, s0, 31
	s_delay_alu instid0(SALU_CYCLE_1) | instskip(NEXT) | instid1(SALU_CYCLE_1)
	s_lshl_b64 s[0:1], s[0:1], 3
	s_add_u32 s0, s2, s0
	s_addc_u32 s1, s3, s1
	s_add_i32 s7, s9, -2
	s_load_b32 s11, s[0:1], 0x4
	s_cmp_lt_i32 s7, s5
	s_cbranch_scc1 .LBB47_4
; %bb.2:
	s_lshl_b32 s14, s4, 6
	s_load_b32 s12, s[0:1], 0x0
	s_ashr_i32 s15, s14, 31
	s_delay_alu instid0(SALU_CYCLE_1) | instskip(NEXT) | instid1(SALU_CYCLE_1)
	s_lshl_b64 s[0:1], s[14:15], 2
	s_add_u32 s7, s2, s0
	s_addc_u32 s8, s3, s1
	s_add_i32 s13, s13, 1
	s_lshl_b32 s1, s10, 8
	s_mul_i32 s0, s6, s13
	s_delay_alu instid0(SALU_CYCLE_1)
	s_lshl_b32 s6, s0, 12
	s_lshl_b32 s0, s0, 4
	s_add_i32 s1, s1, s6
	s_add_i32 s0, s10, s0
	v_or_b32_e32 v0, s1, v0
	s_lshl_b32 s1, s4, 4
	s_waitcnt lgkmcnt(0)
	v_mov_b32_e32 v6, s11
	s_add_i32 s0, s0, s1
	s_add_i32 s4, s9, -1
	v_dual_mov_b32 v0, s12 :: v_dual_add_nc_u32 v3, 0xffffe000, v0
	s_sub_i32 s0, s0, 32
.LBB47_3:                               ; =>This Inner Loop Header: Depth=1
	s_delay_alu instid0(VALU_DEP_1) | instskip(SKIP_1) | instid1(SALU_CYCLE_1)
	v_ashrrev_i32_e32 v4, 31, v3
	s_ashr_i32 s1, s0, 31
	s_lshl_b64 s[10:11], s[0:1], 3
	s_delay_alu instid0(SALU_CYCLE_1) | instskip(NEXT) | instid1(VALU_DEP_1)
	s_add_u32 s10, s2, s10
	v_lshlrev_b64 v[7:8], 2, v[3:4]
	s_addc_u32 s11, s3, s11
	s_add_i32 s4, s4, -1
	s_add_i32 s0, s0, -16
	s_cmp_le_i32 s4, s5
	s_load_b64 s[10:11], s[10:11], 0x0
	v_add_co_u32 v7, vcc_lo, s7, v7
	v_add_co_ci_u32_e32 v8, vcc_lo, s8, v8, vcc_lo
	global_load_b32 v4, v[7:8], off
	v_max_f32_e32 v7, v0, v0
	s_waitcnt lgkmcnt(0)
	v_max_f32_e64 v8, s10, s10
	s_delay_alu instid0(VALU_DEP_1) | instskip(NEXT) | instid1(VALU_DEP_1)
	v_max_f32_e32 v7, v7, v8
	v_sub_f32_e32 v8, s10, v7
	s_delay_alu instid0(VALU_DEP_1) | instskip(NEXT) | instid1(VALU_DEP_1)
	v_dual_sub_f32 v0, v0, v7 :: v_dual_mul_f32 v9, 0x3fb8aa3b, v8
	v_fma_f32 v10, 0x3fb8aa3b, v8, -v9
	v_rndne_f32_e32 v11, v9
	s_delay_alu instid0(VALU_DEP_3) | instskip(NEXT) | instid1(VALU_DEP_2)
	v_mul_f32_e32 v12, 0x3fb8aa3b, v0
	v_dual_fmac_f32 v10, 0x32a5705f, v8 :: v_dual_sub_f32 v9, v9, v11
	v_cvt_i32_f32_e32 v11, v11
	s_delay_alu instid0(VALU_DEP_3) | instskip(SKIP_1) | instid1(VALU_DEP_4)
	v_fma_f32 v13, 0x3fb8aa3b, v0, -v12
	v_rndne_f32_e32 v14, v12
	v_add_f32_e32 v9, v9, v10
	v_cmp_ngt_f32_e32 vcc_lo, 0xc2ce8ed0, v8
	s_delay_alu instid0(VALU_DEP_3) | instskip(NEXT) | instid1(VALU_DEP_3)
	v_sub_f32_e32 v10, v12, v14
	v_exp_f32_e32 v9, v9
	s_waitcnt_depctr 0xfff
	v_ldexp_f32 v9, v9, v11
	v_cvt_i32_f32_e32 v11, v14
	s_delay_alu instid0(VALU_DEP_2) | instskip(SKIP_1) | instid1(VALU_DEP_2)
	v_cndmask_b32_e32 v9, 0, v9, vcc_lo
	v_cmp_nlt_f32_e32 vcc_lo, 0x42b17218, v8
	v_cndmask_b32_e32 v9, 0x7f800000, v9, vcc_lo
	v_cmp_ngt_f32_e32 vcc_lo, 0xc2ce8ed0, v0
	v_fmac_f32_e32 v13, 0x32a5705f, v0
	s_delay_alu instid0(VALU_DEP_1) | instskip(NEXT) | instid1(VALU_DEP_1)
	v_add_f32_e32 v10, v10, v13
	v_exp_f32_e32 v10, v10
	s_waitcnt_depctr 0xfff
	v_ldexp_f32 v10, v10, v11
	s_delay_alu instid0(VALU_DEP_1)
	v_dual_mov_b32 v11, v6 :: v_dual_cndmask_b32 v10, 0, v10
	v_cmp_le_f32_e32 vcc_lo, 0xc1a00000, v8
	s_waitcnt vmcnt(1)
	v_dual_cndmask_b32 v8, 0, v9 :: v_dual_mov_b32 v9, v5
	v_cmp_nlt_f32_e32 vcc_lo, 0x42b17218, v0
	v_cndmask_b32_e32 v5, 0x7f800000, v10, vcc_lo
	s_delay_alu instid0(VALU_DEP_3) | instskip(SKIP_2) | instid1(VALU_DEP_3)
	v_mul_f32_e32 v10, s11, v8
	v_cmp_le_f32_e32 vcc_lo, 0xc1a00000, v0
	v_mov_b32_e32 v0, v7
	v_mov_b32_e32 v6, v10
	s_waitcnt vmcnt(0)
	v_dual_cndmask_b32 v12, 0, v5 :: v_dual_mul_f32 v5, v4, v8
	s_delay_alu instid0(VALU_DEP_1) | instskip(NEXT) | instid1(VALU_DEP_2)
	v_dual_fmac_f32 v6, v11, v12 :: v_dual_add_nc_u32 v3, 0xfffff000, v3
	v_fmac_f32_e32 v5, v9, v12
	s_cbranch_scc0 .LBB47_3
	s_branch .LBB47_5
.LBB47_4:
	s_waitcnt lgkmcnt(0)
	v_mov_b32_e32 v6, s11
.LBB47_5:
	s_waitcnt vmcnt(0)
	s_delay_alu instid0(VALU_DEP_1) | instskip(NEXT) | instid1(VALU_DEP_1)
	v_div_scale_f32 v0, null, v6, v6, v5
	v_rcp_f32_e32 v3, v0
	s_waitcnt_depctr 0xfff
	v_fma_f32 v4, -v0, v3, 1.0
	s_delay_alu instid0(VALU_DEP_1) | instskip(SKIP_1) | instid1(VALU_DEP_1)
	v_fmac_f32_e32 v3, v4, v3
	v_div_scale_f32 v4, vcc_lo, v5, v6, v5
	v_mul_f32_e32 v7, v4, v3
	s_delay_alu instid0(VALU_DEP_1) | instskip(NEXT) | instid1(VALU_DEP_1)
	v_fma_f32 v8, -v0, v7, v4
	v_fmac_f32_e32 v7, v8, v3
	s_delay_alu instid0(VALU_DEP_1) | instskip(NEXT) | instid1(VALU_DEP_1)
	v_fma_f32 v0, -v0, v7, v4
	v_div_fmas_f32 v0, v0, v3, v7
	s_delay_alu instid0(VALU_DEP_1)
	v_div_fixup_f32 v0, v0, v6, v5
	global_store_b32 v[1:2], v0, off
.LBB47_6:
	s_nop 0
	s_sendmsg sendmsg(MSG_DEALLOC_VGPRS)
	s_endpgm
	.section	.rodata,"a",@progbits
	.p2align	6, 0x0
	.amdhsa_kernel _ZL33flash_attn_stream_k_fixup_uniformILi256ELi16ELi1EEvPfPK15HIP_vector_typeIfLj2EEiiiiiiS1_IjLj3EES5_S5_
		.amdhsa_group_segment_fixed_size 0
		.amdhsa_private_segment_fixed_size 0
		.amdhsa_kernarg_size 76
		.amdhsa_user_sgpr_count 13
		.amdhsa_user_sgpr_dispatch_ptr 0
		.amdhsa_user_sgpr_queue_ptr 0
		.amdhsa_user_sgpr_kernarg_segment_ptr 1
		.amdhsa_user_sgpr_dispatch_id 0
		.amdhsa_user_sgpr_private_segment_size 0
		.amdhsa_wavefront_size32 1
		.amdhsa_uses_dynamic_stack 0
		.amdhsa_enable_private_segment 0
		.amdhsa_system_sgpr_workgroup_id_x 1
		.amdhsa_system_sgpr_workgroup_id_y 1
		.amdhsa_system_sgpr_workgroup_id_z 1
		.amdhsa_system_sgpr_workgroup_info 0
		.amdhsa_system_vgpr_workitem_id 0
		.amdhsa_next_free_vgpr 15
		.amdhsa_next_free_sgpr 20
		.amdhsa_reserve_vcc 1
		.amdhsa_float_round_mode_32 0
		.amdhsa_float_round_mode_16_64 0
		.amdhsa_float_denorm_mode_32 3
		.amdhsa_float_denorm_mode_16_64 3
		.amdhsa_dx10_clamp 1
		.amdhsa_ieee_mode 1
		.amdhsa_fp16_overflow 0
		.amdhsa_workgroup_processor_mode 1
		.amdhsa_memory_ordered 1
		.amdhsa_forward_progress 0
		.amdhsa_shared_vgpr_count 0
		.amdhsa_exception_fp_ieee_invalid_op 0
		.amdhsa_exception_fp_denorm_src 0
		.amdhsa_exception_fp_ieee_div_zero 0
		.amdhsa_exception_fp_ieee_overflow 0
		.amdhsa_exception_fp_ieee_underflow 0
		.amdhsa_exception_fp_ieee_inexact 0
		.amdhsa_exception_int_div_zero 0
	.end_amdhsa_kernel
	.section	.text._ZL33flash_attn_stream_k_fixup_uniformILi256ELi16ELi1EEvPfPK15HIP_vector_typeIfLj2EEiiiiiiS1_IjLj3EES5_S5_,"axG",@progbits,_ZL33flash_attn_stream_k_fixup_uniformILi256ELi16ELi1EEvPfPK15HIP_vector_typeIfLj2EEiiiiiiS1_IjLj3EES5_S5_,comdat
.Lfunc_end47:
	.size	_ZL33flash_attn_stream_k_fixup_uniformILi256ELi16ELi1EEvPfPK15HIP_vector_typeIfLj2EEiiiiiiS1_IjLj3EES5_S5_, .Lfunc_end47-_ZL33flash_attn_stream_k_fixup_uniformILi256ELi16ELi1EEvPfPK15HIP_vector_typeIfLj2EEiiiiiiS1_IjLj3EES5_S5_
                                        ; -- End function
	.section	.AMDGPU.csdata,"",@progbits
; Kernel info:
; codeLenInByte = 976
; NumSgprs: 22
; NumVgprs: 15
; ScratchSize: 0
; MemoryBound: 0
; FloatMode: 240
; IeeeMode: 1
; LDSByteSize: 0 bytes/workgroup (compile time only)
; SGPRBlocks: 2
; VGPRBlocks: 1
; NumSGPRsForWavesPerEU: 22
; NumVGPRsForWavesPerEU: 15
; Occupancy: 16
; WaveLimiterHint : 0
; COMPUTE_PGM_RSRC2:SCRATCH_EN: 0
; COMPUTE_PGM_RSRC2:USER_SGPR: 13
; COMPUTE_PGM_RSRC2:TRAP_HANDLER: 0
; COMPUTE_PGM_RSRC2:TGID_X_EN: 1
; COMPUTE_PGM_RSRC2:TGID_Y_EN: 1
; COMPUTE_PGM_RSRC2:TGID_Z_EN: 1
; COMPUTE_PGM_RSRC2:TIDIG_COMP_CNT: 0
	.section	.text._ZL33flash_attn_stream_k_fixup_generalILi256ELi16ELi1EEvPfPK15HIP_vector_typeIfLj2EEiiiiS1_IjLj3EES5_S5_S5_,"axG",@progbits,_ZL33flash_attn_stream_k_fixup_generalILi256ELi16ELi1EEvPfPK15HIP_vector_typeIfLj2EEiiiiS1_IjLj3EES5_S5_S5_,comdat
	.globl	_ZL33flash_attn_stream_k_fixup_generalILi256ELi16ELi1EEvPfPK15HIP_vector_typeIfLj2EEiiiiS1_IjLj3EES5_S5_S5_ ; -- Begin function _ZL33flash_attn_stream_k_fixup_generalILi256ELi16ELi1EEvPfPK15HIP_vector_typeIfLj2EEiiiiS1_IjLj3EES5_S5_S5_
	.p2align	8
	.type	_ZL33flash_attn_stream_k_fixup_generalILi256ELi16ELi1EEvPfPK15HIP_vector_typeIfLj2EEiiiiS1_IjLj3EES5_S5_S5_,@function
_ZL33flash_attn_stream_k_fixup_generalILi256ELi16ELi1EEvPfPK15HIP_vector_typeIfLj2EEiiiiS1_IjLj3EES5_S5_S5_: ; @_ZL33flash_attn_stream_k_fixup_generalILi256ELi16ELi1EEvPfPK15HIP_vector_typeIfLj2EEiiiiS1_IjLj3EES5_S5_S5_
; %bb.0:
	s_clause 0x1
	s_load_b128 s[4:7], s[0:1], 0x10
	s_load_b32 s20, s[0:1], 0x50
	s_mov_b32 s2, 0
	s_waitcnt lgkmcnt(0)
	s_mul_hi_i32 s3, s7, s13
	s_mul_i32 s12, s7, s13
	s_cmp_lg_u64 s[2:3], 0
	s_cbranch_scc0 .LBB48_21
; %bb.1:
	v_cvt_f32_ubyte0_e32 v1, 0
	v_cvt_f32_u32_e32 v2, s20
	s_sub_u32 s10, 0, s20
	s_subb_u32 s11, 0, 0
	s_delay_alu instid0(VALU_DEP_1) | instskip(NEXT) | instid1(VALU_DEP_1)
	v_fmamk_f32 v1, v1, 0x4f800000, v2
	v_rcp_f32_e32 v1, v1
	s_waitcnt_depctr 0xfff
	v_mul_f32_e32 v1, 0x5f7ffffc, v1
	s_delay_alu instid0(VALU_DEP_1) | instskip(NEXT) | instid1(VALU_DEP_1)
	v_mul_f32_e32 v2, 0x2f800000, v1
	v_trunc_f32_e32 v2, v2
	s_delay_alu instid0(VALU_DEP_1) | instskip(SKIP_1) | instid1(VALU_DEP_2)
	v_fmamk_f32 v1, v2, 0xcf800000, v1
	v_cvt_u32_f32_e32 v2, v2
	v_cvt_u32_f32_e32 v1, v1
	s_delay_alu instid0(VALU_DEP_2) | instskip(NEXT) | instid1(VALU_DEP_2)
	v_readfirstlane_b32 s8, v2
	v_readfirstlane_b32 s9, v1
	s_delay_alu instid0(VALU_DEP_2) | instskip(NEXT) | instid1(VALU_DEP_1)
	s_mul_i32 s16, s10, s8
	s_mul_hi_u32 s18, s10, s9
	s_mul_i32 s17, s11, s9
	s_add_i32 s16, s18, s16
	s_mul_i32 s19, s10, s9
	s_add_i32 s16, s16, s17
	s_mul_hi_u32 s18, s9, s19
	s_mul_hi_u32 s21, s8, s19
	s_mul_i32 s17, s8, s19
	s_mul_hi_u32 s19, s9, s16
	s_mul_i32 s9, s9, s16
	s_mul_hi_u32 s22, s8, s16
	s_add_u32 s9, s18, s9
	s_addc_u32 s18, 0, s19
	s_add_u32 s9, s9, s17
	s_mul_i32 s16, s8, s16
	s_addc_u32 s9, s18, s21
	s_addc_u32 s17, s22, 0
	s_add_u32 s9, s9, s16
	s_addc_u32 s16, 0, s17
	v_add_co_u32 v1, s9, v1, s9
	s_delay_alu instid0(VALU_DEP_1) | instskip(SKIP_1) | instid1(VALU_DEP_1)
	s_cmp_lg_u32 s9, 0
	s_addc_u32 s8, s8, s16
	v_readfirstlane_b32 s9, v1
	s_mul_i32 s16, s10, s8
	s_delay_alu instid0(VALU_DEP_1)
	s_mul_hi_u32 s17, s10, s9
	s_mul_i32 s11, s11, s9
	s_add_i32 s16, s17, s16
	s_mul_i32 s10, s10, s9
	s_add_i32 s16, s16, s11
	s_mul_hi_u32 s17, s8, s10
	s_mul_i32 s18, s8, s10
	s_mul_hi_u32 s10, s9, s10
	s_mul_hi_u32 s19, s9, s16
	s_mul_i32 s9, s9, s16
	s_mul_hi_u32 s11, s8, s16
	s_add_u32 s9, s10, s9
	s_addc_u32 s10, 0, s19
	s_add_u32 s9, s9, s18
	s_mul_i32 s16, s8, s16
	s_addc_u32 s9, s10, s17
	s_addc_u32 s10, s11, 0
	s_add_u32 s9, s9, s16
	s_addc_u32 s10, 0, s10
	v_add_co_u32 v1, s9, v1, s9
	s_delay_alu instid0(VALU_DEP_1) | instskip(SKIP_2) | instid1(SALU_CYCLE_1)
	s_cmp_lg_u32 s9, 0
	s_addc_u32 s16, s8, s10
	s_ashr_i32 s8, s3, 31
	s_add_u32 s10, s12, s8
	s_addc_u32 s11, s3, s8
	v_readfirstlane_b32 s3, v1
	s_mov_b32 s9, s8
	s_delay_alu instid0(SALU_CYCLE_1) | instskip(NEXT) | instid1(SALU_CYCLE_1)
	s_xor_b64 s[10:11], s[10:11], s[8:9]
	s_mul_i32 s18, s10, s16
	s_delay_alu instid0(VALU_DEP_1)
	s_mul_hi_u32 s19, s10, s3
	s_mul_hi_u32 s17, s10, s16
	;; [unrolled: 1-line block ×3, first 2 shown]
	s_mul_i32 s3, s11, s3
	s_add_u32 s18, s19, s18
	s_addc_u32 s17, 0, s17
	s_mul_hi_u32 s21, s11, s16
	s_add_u32 s3, s18, s3
	s_mul_i32 s16, s11, s16
	s_addc_u32 s3, s17, s22
	s_addc_u32 s17, s21, 0
	s_add_u32 s3, s3, s16
	s_addc_u32 s16, 0, s17
	s_mul_i32 s18, s20, s3
	s_add_u32 s17, s3, 1
	v_sub_co_u32 v1, s10, s10, s18
	s_mul_hi_u32 s18, s20, s3
	s_addc_u32 s19, s16, 0
	s_mul_i32 s21, s20, s16
	s_delay_alu instid0(VALU_DEP_1)
	v_sub_co_u32 v2, s22, v1, s20
	s_add_u32 s23, s3, 2
	s_addc_u32 s24, s16, 0
	s_add_i32 s18, s18, s21
	s_cmp_lg_u32 s10, 0
	v_readfirstlane_b32 s10, v2
	s_subb_u32 s11, s11, s18
	s_cmp_lg_u32 s22, 0
	s_subb_u32 s18, s11, 0
	s_delay_alu instid0(VALU_DEP_1) | instskip(SKIP_4) | instid1(SALU_CYCLE_1)
	s_cmp_ge_u32 s10, s20
	s_cselect_b32 s10, -1, 0
	s_cmp_eq_u32 s18, 0
	v_readfirstlane_b32 s18, v1
	s_cselect_b32 s10, s10, -1
	s_cmp_lg_u32 s10, 0
	s_cselect_b32 s10, s23, s17
	s_cselect_b32 s17, s24, s19
	s_cmp_ge_u32 s18, s20
	s_cselect_b32 s18, -1, 0
	s_cmp_eq_u32 s11, 0
	s_cselect_b32 s11, s18, -1
	s_delay_alu instid0(SALU_CYCLE_1) | instskip(SKIP_2) | instid1(SALU_CYCLE_1)
	s_cmp_lg_u32 s11, 0
	s_cselect_b32 s11, s17, s16
	s_cselect_b32 s10, s10, s3
	s_xor_b64 s[10:11], s[10:11], s[8:9]
	s_delay_alu instid0(SALU_CYCLE_1)
	s_sub_u32 s16, s10, s8
	s_load_b128 s[8:11], s[0:1], 0x44
	s_and_not1_b32 vcc_lo, exec_lo, s2
	s_cbranch_vccnz .LBB48_3
.LBB48_2:
	v_cvt_f32_u32_e32 v1, s20
	s_sub_i32 s3, 0, s20
	s_delay_alu instid0(VALU_DEP_1) | instskip(SKIP_2) | instid1(VALU_DEP_1)
	v_rcp_iflag_f32_e32 v1, v1
	s_waitcnt_depctr 0xfff
	v_mul_f32_e32 v1, 0x4f7ffffe, v1
	v_cvt_u32_f32_e32 v1, v1
	s_delay_alu instid0(VALU_DEP_1) | instskip(NEXT) | instid1(VALU_DEP_1)
	v_readfirstlane_b32 s2, v1
	s_mul_i32 s3, s3, s2
	s_delay_alu instid0(SALU_CYCLE_1) | instskip(NEXT) | instid1(SALU_CYCLE_1)
	s_mul_hi_u32 s3, s2, s3
	s_add_i32 s2, s2, s3
	s_delay_alu instid0(SALU_CYCLE_1) | instskip(NEXT) | instid1(SALU_CYCLE_1)
	s_mul_hi_u32 s2, s12, s2
	s_mul_i32 s3, s2, s20
	s_waitcnt lgkmcnt(0)
	s_add_i32 s11, s2, 1
	s_sub_i32 s3, s12, s3
	s_delay_alu instid0(SALU_CYCLE_1)
	s_sub_i32 s12, s3, s20
	s_cmp_ge_u32 s3, s20
	s_cselect_b32 s2, s11, s2
	s_cselect_b32 s3, s12, s3
	s_add_i32 s11, s2, 1
	s_cmp_ge_u32 s3, s20
	s_cselect_b32 s16, s11, s2
.LBB48_3:
	s_waitcnt lgkmcnt(0)
	s_add_i32 s11, s13, 1
	s_mov_b32 s2, 0
	s_mul_hi_i32 s3, s7, s11
	s_mul_i32 s11, s7, s11
	s_cmp_lg_u64 s[2:3], 0
	s_cbranch_scc0 .LBB48_22
; %bb.4:
	v_cvt_f32_ubyte0_e32 v1, 0
	v_cvt_f32_u32_e32 v2, s20
	s_sub_u32 s18, 0, s20
	s_subb_u32 s19, 0, 0
	s_delay_alu instid0(VALU_DEP_1) | instskip(NEXT) | instid1(VALU_DEP_1)
	v_fmamk_f32 v1, v1, 0x4f800000, v2
	v_rcp_f32_e32 v1, v1
	s_waitcnt_depctr 0xfff
	v_mul_f32_e32 v1, 0x5f7ffffc, v1
	s_delay_alu instid0(VALU_DEP_1) | instskip(NEXT) | instid1(VALU_DEP_1)
	v_mul_f32_e32 v2, 0x2f800000, v1
	v_trunc_f32_e32 v2, v2
	s_delay_alu instid0(VALU_DEP_1) | instskip(SKIP_1) | instid1(VALU_DEP_2)
	v_fmamk_f32 v1, v2, 0xcf800000, v1
	v_cvt_u32_f32_e32 v2, v2
	v_cvt_u32_f32_e32 v1, v1
	s_delay_alu instid0(VALU_DEP_2) | instskip(NEXT) | instid1(VALU_DEP_2)
	v_readfirstlane_b32 s12, v2
	v_readfirstlane_b32 s17, v1
	s_delay_alu instid0(VALU_DEP_2) | instskip(NEXT) | instid1(VALU_DEP_1)
	s_mul_i32 s21, s18, s12
	s_mul_hi_u32 s23, s18, s17
	s_mul_i32 s22, s19, s17
	s_add_i32 s21, s23, s21
	s_mul_i32 s24, s18, s17
	s_add_i32 s21, s21, s22
	s_mul_hi_u32 s23, s17, s24
	s_mul_hi_u32 s25, s12, s24
	s_mul_i32 s22, s12, s24
	s_mul_hi_u32 s24, s17, s21
	s_mul_i32 s17, s17, s21
	s_mul_hi_u32 s26, s12, s21
	s_add_u32 s17, s23, s17
	s_addc_u32 s23, 0, s24
	s_add_u32 s17, s17, s22
	s_mul_i32 s21, s12, s21
	s_addc_u32 s17, s23, s25
	s_addc_u32 s22, s26, 0
	s_add_u32 s17, s17, s21
	s_addc_u32 s21, 0, s22
	v_add_co_u32 v1, s17, v1, s17
	s_delay_alu instid0(VALU_DEP_1) | instskip(SKIP_1) | instid1(VALU_DEP_1)
	s_cmp_lg_u32 s17, 0
	s_addc_u32 s12, s12, s21
	v_readfirstlane_b32 s17, v1
	s_mul_i32 s21, s18, s12
	s_delay_alu instid0(VALU_DEP_1)
	s_mul_hi_u32 s22, s18, s17
	s_mul_i32 s19, s19, s17
	s_add_i32 s21, s22, s21
	s_mul_i32 s18, s18, s17
	s_add_i32 s21, s21, s19
	s_mul_hi_u32 s22, s12, s18
	s_mul_i32 s23, s12, s18
	s_mul_hi_u32 s18, s17, s18
	s_mul_hi_u32 s24, s17, s21
	s_mul_i32 s17, s17, s21
	s_mul_hi_u32 s19, s12, s21
	s_add_u32 s17, s18, s17
	s_addc_u32 s18, 0, s24
	s_add_u32 s17, s17, s23
	s_mul_i32 s21, s12, s21
	s_addc_u32 s17, s18, s22
	s_addc_u32 s18, s19, 0
	s_add_u32 s17, s17, s21
	s_addc_u32 s18, 0, s18
	v_add_co_u32 v1, s17, v1, s17
	s_delay_alu instid0(VALU_DEP_1) | instskip(SKIP_2) | instid1(SALU_CYCLE_1)
	s_cmp_lg_u32 s17, 0
	s_addc_u32 s12, s12, s18
	s_ashr_i32 s18, s3, 31
	s_add_u32 s22, s11, s18
	s_addc_u32 s23, s3, s18
	v_readfirstlane_b32 s3, v1
	s_mov_b32 s19, s18
	s_delay_alu instid0(SALU_CYCLE_1) | instskip(NEXT) | instid1(SALU_CYCLE_1)
	s_xor_b64 s[22:23], s[22:23], s[18:19]
	s_mul_i32 s21, s22, s12
	s_delay_alu instid0(VALU_DEP_1)
	s_mul_hi_u32 s24, s22, s3
	s_mul_hi_u32 s17, s22, s12
	;; [unrolled: 1-line block ×3, first 2 shown]
	s_mul_i32 s3, s23, s3
	s_add_u32 s21, s24, s21
	s_addc_u32 s17, 0, s17
	s_mul_hi_u32 s25, s23, s12
	s_add_u32 s3, s21, s3
	s_mul_i32 s12, s23, s12
	s_addc_u32 s3, s17, s26
	s_addc_u32 s17, s25, 0
	s_add_u32 s3, s3, s12
	s_addc_u32 s12, 0, s17
	s_mul_i32 s21, s20, s3
	s_add_u32 s17, s3, 1
	v_sub_co_u32 v1, s21, s22, s21
	s_mul_hi_u32 s22, s20, s3
	s_addc_u32 s24, s12, 0
	s_mul_i32 s25, s20, s12
	s_delay_alu instid0(VALU_DEP_1)
	v_sub_co_u32 v2, s26, v1, s20
	s_add_u32 s27, s3, 2
	s_addc_u32 s28, s12, 0
	s_add_i32 s22, s22, s25
	s_cmp_lg_u32 s21, 0
	v_readfirstlane_b32 s21, v2
	s_subb_u32 s22, s23, s22
	s_cmp_lg_u32 s26, 0
	s_subb_u32 s23, s22, 0
	s_delay_alu instid0(VALU_DEP_1) | instskip(SKIP_4) | instid1(SALU_CYCLE_1)
	s_cmp_ge_u32 s21, s20
	s_cselect_b32 s21, -1, 0
	s_cmp_eq_u32 s23, 0
	v_readfirstlane_b32 s23, v1
	s_cselect_b32 s21, s21, -1
	s_cmp_lg_u32 s21, 0
	s_cselect_b32 s17, s27, s17
	s_cselect_b32 s21, s28, s24
	s_cmp_ge_u32 s23, s20
	s_cselect_b32 s23, -1, 0
	s_cmp_eq_u32 s22, 0
	s_cselect_b32 s22, s23, -1
	s_delay_alu instid0(SALU_CYCLE_1) | instskip(SKIP_2) | instid1(SALU_CYCLE_1)
	s_cmp_lg_u32 s22, 0
	s_cselect_b32 s23, s21, s12
	s_cselect_b32 s22, s17, s3
	s_xor_b64 s[22:23], s[22:23], s[18:19]
	s_delay_alu instid0(SALU_CYCLE_1)
	s_sub_u32 s18, s22, s18
	s_and_not1_b32 vcc_lo, exec_lo, s2
	s_cbranch_vccnz .LBB48_6
.LBB48_5:
	v_cvt_f32_u32_e32 v1, s20
	s_sub_i32 s3, 0, s20
	s_delay_alu instid0(VALU_DEP_1) | instskip(SKIP_2) | instid1(VALU_DEP_1)
	v_rcp_iflag_f32_e32 v1, v1
	s_waitcnt_depctr 0xfff
	v_mul_f32_e32 v1, 0x4f7ffffe, v1
	v_cvt_u32_f32_e32 v1, v1
	s_delay_alu instid0(VALU_DEP_1) | instskip(NEXT) | instid1(VALU_DEP_1)
	v_readfirstlane_b32 s2, v1
	s_mul_i32 s3, s3, s2
	s_delay_alu instid0(SALU_CYCLE_1) | instskip(NEXT) | instid1(SALU_CYCLE_1)
	s_mul_hi_u32 s3, s2, s3
	s_add_i32 s2, s2, s3
	s_delay_alu instid0(SALU_CYCLE_1) | instskip(NEXT) | instid1(SALU_CYCLE_1)
	s_mul_hi_u32 s2, s11, s2
	s_mul_i32 s3, s2, s20
	s_delay_alu instid0(SALU_CYCLE_1)
	s_sub_i32 s3, s11, s3
	s_add_i32 s11, s2, 1
	s_sub_i32 s12, s3, s20
	s_cmp_ge_u32 s3, s20
	s_cselect_b32 s2, s11, s2
	s_cselect_b32 s3, s12, s3
	s_add_i32 s11, s2, 1
	s_cmp_ge_u32 s3, s20
	s_cselect_b32 s18, s11, s2
.LBB48_6:
	s_delay_alu instid0(SALU_CYCLE_1) | instskip(SKIP_3) | instid1(SALU_CYCLE_1)
	s_cmp_eq_u32 s16, s18
	s_mul_hi_u32 s2, s16, s8
	s_cselect_b32 s3, -1, 0
	s_add_i32 s2, s2, s16
	s_lshr_b32 s11, s2, s9
	s_delay_alu instid0(SALU_CYCLE_1) | instskip(NEXT) | instid1(SALU_CYCLE_1)
	s_mul_i32 s2, s11, s10
	s_cmp_eq_u32 s2, s16
	s_mul_hi_u32 s2, s18, s8
	s_cselect_b32 s12, -1, 0
	s_add_i32 s2, s2, s18
	s_delay_alu instid0(SALU_CYCLE_1) | instskip(NEXT) | instid1(SALU_CYCLE_1)
	s_lshr_b32 s2, s2, s9
	s_cmp_eq_u32 s11, s2
	s_mul_i32 s2, s2, s10
	s_cselect_b32 s17, -1, 0
	s_cmp_lg_u32 s2, s18
	s_cselect_b32 s2, -1, 0
	s_or_b32 s3, s3, s12
	s_and_b32 s2, s17, s2
	s_delay_alu instid0(SALU_CYCLE_1) | instskip(NEXT) | instid1(SALU_CYCLE_1)
	s_or_b32 s2, s3, s2
	s_and_b32 vcc_lo, exec_lo, s2
	s_cbranch_vccnz .LBB48_24
; %bb.7:
	s_load_b256 s[24:31], s[0:1], 0x20
	s_waitcnt lgkmcnt(0)
	s_mul_hi_u32 s2, s16, s24
	s_delay_alu instid0(SALU_CYCLE_1) | instskip(NEXT) | instid1(SALU_CYCLE_1)
	s_add_i32 s2, s2, s16
	s_lshr_b32 s18, s2, s25
	s_load_b32 s2, s[0:1], 0x40
	s_mul_i32 s3, s18, s26
	s_delay_alu instid0(SALU_CYCLE_1) | instskip(NEXT) | instid1(SALU_CYCLE_1)
	s_sub_i32 s3, s16, s3
	s_mul_hi_u32 s12, s3, s27
	s_delay_alu instid0(SALU_CYCLE_1) | instskip(NEXT) | instid1(SALU_CYCLE_1)
	s_add_i32 s12, s3, s12
	s_lshr_b32 s21, s12, s28
	s_delay_alu instid0(SALU_CYCLE_1) | instskip(NEXT) | instid1(SALU_CYCLE_1)
	s_mul_i32 s12, s21, s29
	s_sub_i32 s3, s3, s12
	s_delay_alu instid0(SALU_CYCLE_1) | instskip(NEXT) | instid1(SALU_CYCLE_1)
	s_mul_hi_u32 s12, s3, s30
	s_add_i32 s12, s3, s12
	s_delay_alu instid0(SALU_CYCLE_1) | instskip(SKIP_3) | instid1(SALU_CYCLE_1)
	s_lshr_b32 s22, s12, s31
	s_mov_b32 s12, 0
	s_waitcnt lgkmcnt(0)
	s_mul_i32 s2, s22, s2
	s_sub_i32 s2, s3, s2
	s_delay_alu instid0(SALU_CYCLE_1) | instskip(NEXT) | instid1(SALU_CYCLE_1)
	s_mul_hi_u32 s3, s2, s8
	s_add_i32 s2, s2, s3
	s_delay_alu instid0(SALU_CYCLE_1) | instskip(NEXT) | instid1(SALU_CYCLE_1)
	s_lshr_b32 s23, s2, s9
	s_lshl_b32 s2, s23, 4
	s_delay_alu instid0(SALU_CYCLE_1) | instskip(NEXT) | instid1(SALU_CYCLE_1)
	s_add_i32 s2, s2, s14
	s_cmp_lt_i32 s2, s4
	s_cselect_b32 s2, -1, 0
	s_add_i32 s3, s22, s15
	s_delay_alu instid0(SALU_CYCLE_1) | instskip(SKIP_1) | instid1(SALU_CYCLE_1)
	s_cmp_lt_i32 s3, s6
	s_cselect_b32 s3, -1, 0
	s_and_b32 s2, s2, s3
	s_delay_alu instid0(SALU_CYCLE_1)
	s_and_not1_b32 vcc_lo, exec_lo, s2
	s_cbranch_vccnz .LBB48_24
; %bb.8:
	s_load_b128 s[0:3], s[0:1], 0x0
	s_lshl_b32 s24, s20, 6
	s_mov_b32 s25, s12
	s_add_i32 s17, s14, s15
	s_lshl_b64 s[24:25], s[24:25], 2
	s_mul_i32 s4, s18, s4
	s_mul_i32 s21, s21, s6
	v_cvt_f32_ubyte0_e32 v4, 0
	v_cvt_f32_u32_e32 v5, s20
	s_waitcnt lgkmcnt(0)
	s_add_u32 s18, s2, s24
	s_addc_u32 s19, s3, s25
	s_add_i32 s4, s4, s14
	s_delay_alu instid0(SALU_CYCLE_1) | instskip(SKIP_4) | instid1(SALU_CYCLE_1)
	s_mul_i32 s4, s4, s5
	s_mul_i32 s5, s5, s23
	s_add_i32 s4, s4, s15
	s_lshl_b32 s5, s5, 12
	s_add_i32 s4, s4, s21
	s_add_i32 s4, s4, s22
	s_delay_alu instid0(SALU_CYCLE_1) | instskip(NEXT) | instid1(SALU_CYCLE_1)
	s_lshl_b32 s4, s4, 8
	s_add_i32 s5, s5, s4
	s_delay_alu instid0(SALU_CYCLE_1) | instskip(SKIP_1) | instid1(VALU_DEP_2)
	v_or_b32_e32 v1, s5, v0
	v_lshl_or_b32 v0, s17, 8, v0
	v_ashrrev_i32_e32 v2, 31, v1
	s_delay_alu instid0(VALU_DEP_1) | instskip(NEXT) | instid1(VALU_DEP_1)
	v_lshlrev_b64 v[1:2], 2, v[1:2]
	v_add_co_u32 v1, vcc_lo, s0, v1
	s_delay_alu instid0(VALU_DEP_2) | instskip(SKIP_1) | instid1(SALU_CYCLE_1)
	v_add_co_ci_u32_e32 v2, vcc_lo, s1, v2, vcc_lo
	s_lshl_b32 s0, s13, 4
	s_add_i32 s0, s0, s17
	global_load_b32 v3, v[1:2], off
	s_ashr_i32 s1, s0, 31
	s_delay_alu instid0(SALU_CYCLE_1) | instskip(NEXT) | instid1(SALU_CYCLE_1)
	s_lshl_b64 s[0:1], s[0:1], 3
	s_add_u32 s0, s2, s0
	s_addc_u32 s1, s3, s1
	s_add_i32 s14, s13, -1
	s_load_b64 s[0:1], s[0:1], 0x0
	v_fmac_f32_e32 v5, 0x4f800000, v4
	s_sub_i32 s6, 0, s20
	s_waitcnt lgkmcnt(0)
	v_mov_b32_e32 v8, s0
	s_delay_alu instid0(VALU_DEP_2) | instskip(SKIP_2) | instid1(VALU_DEP_2)
	v_rcp_f32_e32 v4, v5
	v_cvt_f32_u32_e32 v5, s20
	v_mov_b32_e32 v7, s1
	v_rcp_iflag_f32_e32 v5, v5
	s_waitcnt_depctr 0xfff
	v_mul_f32_e32 v4, 0x5f7ffffc, v4
	s_delay_alu instid0(VALU_DEP_1) | instskip(SKIP_1) | instid1(VALU_DEP_2)
	v_mul_f32_e32 v6, 0x2f800000, v4
	v_mul_f32_e32 v9, 0x4f7ffffe, v5
	v_trunc_f32_e32 v6, v6
	s_delay_alu instid0(VALU_DEP_1) | instskip(SKIP_1) | instid1(VALU_DEP_4)
	v_fmac_f32_e32 v4, 0xcf800000, v6
	v_cvt_u32_f32_e32 v5, v6
	v_cvt_u32_f32_e32 v6, v9
	s_delay_alu instid0(VALU_DEP_3)
	v_cvt_u32_f32_e32 v4, v4
.LBB48_9:                               ; =>This Inner Loop Header: Depth=1
	s_mul_hi_i32 s13, s14, s7
	s_mul_i32 s4, s14, s7
	s_cmp_lg_u64 s[12:13], 0
	s_mov_b32 s5, -1
                                        ; implicit-def: $sgpr0_sgpr1
	s_cbranch_scc0 .LBB48_11
; %bb.10:                               ;   in Loop: Header=BB48_9 Depth=1
	v_readfirstlane_b32 s0, v4
	v_readfirstlane_b32 s1, v5
	s_sub_u32 s5, 0, s20
	s_subb_u32 s15, 0, 0
	s_delay_alu instid0(VALU_DEP_2) | instskip(NEXT) | instid1(VALU_DEP_1)
	s_mul_hi_u32 s21, s5, s0
	s_mul_i32 s22, s5, s1
	s_mul_i32 s23, s15, s0
	s_add_i32 s21, s21, s22
	s_mul_i32 s22, s5, s0
	s_add_i32 s21, s21, s23
	s_mul_hi_u32 s23, s0, s22
	s_mul_i32 s24, s0, s21
	s_mul_hi_u32 s0, s0, s21
	s_add_u32 s23, s23, s24
	s_mul_i32 s25, s1, s22
	s_addc_u32 s0, 0, s0
	s_mul_hi_u32 s22, s1, s22
	s_mul_hi_u32 s24, s1, s21
	s_add_u32 s23, s23, s25
	s_addc_u32 s0, s0, s22
	s_mul_i32 s21, s1, s21
	s_addc_u32 s22, s24, 0
	s_add_u32 s0, s0, s21
	s_addc_u32 s21, 0, s22
	v_add_co_u32 v9, s0, v4, s0
	s_delay_alu instid0(VALU_DEP_1) | instskip(SKIP_1) | instid1(VALU_DEP_1)
	s_cmp_lg_u32 s0, 0
	s_addc_u32 s1, s1, s21
	v_readfirstlane_b32 s0, v9
	s_mul_i32 s21, s5, s1
	s_delay_alu instid0(VALU_DEP_1)
	s_mul_hi_u32 s22, s5, s0
	s_mul_i32 s15, s15, s0
	s_add_i32 s21, s22, s21
	s_mul_i32 s5, s5, s0
	s_add_i32 s21, s21, s15
	s_mul_hi_u32 s15, s1, s5
	s_mul_i32 s23, s1, s5
	s_mul_i32 s24, s0, s21
	s_mul_hi_u32 s5, s0, s5
	s_mul_hi_u32 s0, s0, s21
	s_add_u32 s5, s5, s24
	s_addc_u32 s0, 0, s0
	s_mul_hi_u32 s22, s1, s21
	s_add_u32 s5, s5, s23
	s_addc_u32 s0, s0, s15
	s_mul_i32 s5, s1, s21
	s_addc_u32 s15, s22, 0
	s_add_u32 s0, s0, s5
	s_addc_u32 s5, 0, s15
	v_add_co_u32 v9, s0, v9, s0
	s_delay_alu instid0(VALU_DEP_1) | instskip(SKIP_2) | instid1(SALU_CYCLE_1)
	s_cmp_lg_u32 s0, 0
	s_addc_u32 s5, s1, s5
	s_ashr_i32 s0, s13, 31
	s_add_u32 s22, s4, s0
	s_addc_u32 s23, s13, s0
	v_readfirstlane_b32 s13, v9
	s_mov_b32 s1, s0
	s_delay_alu instid0(SALU_CYCLE_1) | instskip(NEXT) | instid1(SALU_CYCLE_1)
	s_xor_b64 s[22:23], s[22:23], s[0:1]
	s_mul_i32 s15, s22, s5
	s_delay_alu instid0(VALU_DEP_1)
	s_mul_hi_u32 s21, s22, s13
	s_mul_hi_u32 s24, s22, s5
	s_add_u32 s15, s21, s15
	s_mul_i32 s25, s23, s13
	s_addc_u32 s21, 0, s24
	s_mul_hi_u32 s13, s23, s13
	s_mul_hi_u32 s24, s23, s5
	s_add_u32 s15, s15, s25
	s_addc_u32 s13, s21, s13
	s_mul_i32 s5, s23, s5
	s_addc_u32 s15, s24, 0
	s_add_u32 s5, s13, s5
	s_addc_u32 s13, 0, s15
	s_mul_i32 s21, s20, s5
	s_add_u32 s15, s5, 1
	v_sub_co_u32 v9, s21, s22, s21
	s_addc_u32 s22, s13, 0
	s_mul_i32 s25, s20, s13
	s_mul_hi_u32 s27, s20, s5
	s_delay_alu instid0(VALU_DEP_1)
	v_sub_co_u32 v10, s26, v9, s20
	s_add_u32 s24, s5, 2
	s_addc_u32 s28, s13, 0
	s_add_i32 s27, s27, s25
	s_cmp_lg_u32 s21, 0
	v_readfirstlane_b32 s21, v10
	s_subb_u32 s23, s23, s27
	s_cmp_lg_u32 s26, 0
	s_subb_u32 s25, s23, 0
	s_delay_alu instid0(VALU_DEP_1) | instskip(SKIP_4) | instid1(SALU_CYCLE_1)
	s_cmp_ge_u32 s21, s20
	s_cselect_b32 s21, -1, 0
	s_cmp_eq_u32 s25, 0
	v_readfirstlane_b32 s25, v9
	s_cselect_b32 s21, s21, -1
	s_cmp_lg_u32 s21, 0
	s_cselect_b32 s15, s24, s15
	s_cselect_b32 s21, s28, s22
	s_cmp_ge_u32 s25, s20
	s_cselect_b32 s22, -1, 0
	s_cmp_eq_u32 s23, 0
	s_cselect_b32 s22, s22, -1
	s_delay_alu instid0(SALU_CYCLE_1) | instskip(SKIP_4) | instid1(SALU_CYCLE_1)
	s_cmp_lg_u32 s22, 0
	s_cselect_b32 s23, s21, s13
	s_cselect_b32 s22, s15, s5
	s_mov_b32 s5, 0
	s_xor_b64 s[22:23], s[22:23], s[0:1]
	s_sub_u32 s0, s22, s0
.LBB48_11:                              ;   in Loop: Header=BB48_9 Depth=1
	s_and_not1_b32 vcc_lo, exec_lo, s5
	s_cbranch_vccnz .LBB48_13
; %bb.12:                               ;   in Loop: Header=BB48_9 Depth=1
	v_readfirstlane_b32 s0, v6
	s_delay_alu instid0(VALU_DEP_1) | instskip(NEXT) | instid1(SALU_CYCLE_1)
	s_mul_i32 s1, s6, s0
	s_mul_hi_u32 s1, s0, s1
	s_delay_alu instid0(SALU_CYCLE_1) | instskip(NEXT) | instid1(SALU_CYCLE_1)
	s_add_i32 s0, s0, s1
	s_mul_hi_u32 s0, s4, s0
	s_delay_alu instid0(SALU_CYCLE_1) | instskip(NEXT) | instid1(SALU_CYCLE_1)
	s_mul_i32 s1, s0, s20
	s_sub_i32 s1, s4, s1
	s_add_i32 s4, s0, 1
	s_sub_i32 s5, s1, s20
	s_cmp_ge_u32 s1, s20
	s_cselect_b32 s0, s4, s0
	s_cselect_b32 s1, s5, s1
	s_add_i32 s4, s0, 1
	s_cmp_ge_u32 s1, s20
	s_cselect_b32 s0, s4, s0
.LBB48_13:                              ;   in Loop: Header=BB48_9 Depth=1
	s_delay_alu instid0(SALU_CYCLE_1)
	s_cmp_lg_u32 s16, s0
	s_cbranch_scc0 .LBB48_17
; %bb.14:                               ;   in Loop: Header=BB48_9 Depth=1
	s_add_i32 s1, s14, s20
	s_mov_b32 s5, s12
	s_lshl_b32 s1, s1, 4
	s_mov_b32 s15, s16
	s_add_i32 s4, s1, s17
	s_mul_hi_u32 s1, s0, s8
	s_lshl_b64 s[4:5], s[4:5], 3
	s_delay_alu instid0(SALU_CYCLE_1) | instskip(SKIP_2) | instid1(SALU_CYCLE_1)
	s_add_u32 s4, s2, s4
	s_addc_u32 s5, s3, s5
	s_add_i32 s1, s1, s0
	s_lshr_b32 s1, s1, s9
	s_delay_alu instid0(SALU_CYCLE_1) | instskip(NEXT) | instid1(SALU_CYCLE_1)
	s_mul_i32 s13, s1, s10
	s_cmp_eq_u32 s13, s0
	s_cselect_b32 s13, -1, 0
	s_cmp_lt_u32 s1, s11
	s_cselect_b32 s1, -1, 0
	s_delay_alu instid0(SALU_CYCLE_1)
	s_or_b32 s1, s1, s13
	s_mov_b32 s13, -1
	s_and_b32 vcc_lo, exec_lo, s1
	s_mov_b32 s1, s14
	s_cbranch_vccnz .LBB48_16
; %bb.15:                               ;   in Loop: Header=BB48_9 Depth=1
	s_add_i32 s1, s14, -1
	s_mov_b32 s13, 0
	s_mov_b32 s15, s0
.LBB48_16:                              ;   in Loop: Header=BB48_9 Depth=1
	v_lshl_add_u32 v9, s14, 12, v0
	s_load_b64 s[4:5], s[4:5], 0x0
	s_delay_alu instid0(VALU_DEP_1) | instskip(NEXT) | instid1(VALU_DEP_1)
	v_ashrrev_i32_e32 v10, 31, v9
	v_lshlrev_b64 v[9:10], 2, v[9:10]
	s_delay_alu instid0(VALU_DEP_1) | instskip(NEXT) | instid1(VALU_DEP_2)
	v_add_co_u32 v9, vcc_lo, s18, v9
	v_add_co_ci_u32_e32 v10, vcc_lo, s19, v10, vcc_lo
	s_waitcnt lgkmcnt(0)
	v_max_f32_e64 v11, s4, s4
	global_load_b32 v10, v[9:10], off
	v_max_f32_e32 v9, v8, v8
	s_delay_alu instid0(VALU_DEP_1) | instskip(NEXT) | instid1(VALU_DEP_1)
	v_max_f32_e32 v9, v9, v11
	v_sub_f32_e32 v12, v8, v9
	s_delay_alu instid0(VALU_DEP_1) | instskip(NEXT) | instid1(VALU_DEP_1)
	v_dual_mul_f32 v14, 0x3fb8aa3b, v12 :: v_dual_sub_f32 v11, s4, v9
	v_rndne_f32_e32 v18, v14
	s_delay_alu instid0(VALU_DEP_2) | instskip(SKIP_2) | instid1(VALU_DEP_4)
	v_mul_f32_e32 v13, 0x3fb8aa3b, v11
	v_fma_f32 v17, 0x3fb8aa3b, v12, -v14
	v_cmp_ngt_f32_e32 vcc_lo, 0xc2ce8ed0, v11
	v_sub_f32_e32 v14, v14, v18
	s_delay_alu instid0(VALU_DEP_4) | instskip(SKIP_2) | instid1(VALU_DEP_3)
	v_fma_f32 v15, 0x3fb8aa3b, v11, -v13
	v_rndne_f32_e32 v16, v13
	v_fmac_f32_e32 v17, 0x32a5705f, v12
	v_fmac_f32_e32 v15, 0x32a5705f, v11
	s_delay_alu instid0(VALU_DEP_2) | instskip(NEXT) | instid1(VALU_DEP_1)
	v_dual_sub_f32 v13, v13, v16 :: v_dual_add_f32 v14, v14, v17
	v_add_f32_e32 v13, v13, v15
	s_delay_alu instid0(VALU_DEP_2) | instskip(SKIP_2) | instid1(VALU_DEP_3)
	v_exp_f32_e32 v14, v14
	v_cvt_i32_f32_e32 v15, v16
	v_cvt_i32_f32_e32 v16, v18
	v_exp_f32_e32 v13, v13
	s_waitcnt_depctr 0xfff
	v_ldexp_f32 v14, v14, v16
	v_ldexp_f32 v13, v13, v15
	s_delay_alu instid0(VALU_DEP_1) | instskip(SKIP_1) | instid1(VALU_DEP_4)
	v_cndmask_b32_e32 v13, 0, v13, vcc_lo
	v_cmp_ngt_f32_e32 vcc_lo, 0xc2ce8ed0, v12
	v_cndmask_b32_e32 v14, 0, v14, vcc_lo
	v_cmp_nlt_f32_e32 vcc_lo, 0x42b17218, v11
	s_delay_alu instid0(VALU_DEP_4) | instskip(SKIP_1) | instid1(VALU_DEP_4)
	v_cndmask_b32_e32 v13, 0x7f800000, v13, vcc_lo
	v_cmp_nlt_f32_e32 vcc_lo, 0x42b17218, v12
	v_cndmask_b32_e32 v14, 0x7f800000, v14, vcc_lo
	v_cmp_le_f32_e32 vcc_lo, 0xc1a00000, v11
	s_delay_alu instid0(VALU_DEP_4) | instskip(SKIP_1) | instid1(VALU_DEP_4)
	v_cndmask_b32_e32 v11, 0, v13, vcc_lo
	v_cmp_le_f32_e32 vcc_lo, 0xc1a00000, v12
	v_cndmask_b32_e32 v12, 0, v14, vcc_lo
	s_waitcnt vmcnt(0)
	s_delay_alu instid0(VALU_DEP_3) | instskip(NEXT) | instid1(VALU_DEP_1)
	v_mul_f32_e32 v10, v10, v11
	v_dual_mul_f32 v11, s5, v11 :: v_dual_fmac_f32 v10, v3, v12
	s_delay_alu instid0(VALU_DEP_1)
	v_fmac_f32_e32 v11, v7, v12
	s_cbranch_execz .LBB48_18
	s_branch .LBB48_19
.LBB48_17:                              ;   in Loop: Header=BB48_9 Depth=1
                                        ; implicit-def: $sgpr13
                                        ; implicit-def: $vgpr10
                                        ; implicit-def: $vgpr9
                                        ; implicit-def: $vgpr11
                                        ; implicit-def: $sgpr1
                                        ; implicit-def: $sgpr15
.LBB48_18:                              ;   in Loop: Header=BB48_9 Depth=1
	v_mov_b32_e32 v11, v7
	s_waitcnt vmcnt(0)
	v_dual_mov_b32 v9, v8 :: v_dual_mov_b32 v10, v3
	s_add_i32 s1, s14, -1
	s_mov_b32 s13, 0
	s_mov_b32 s15, s16
.LBB48_19:                              ;   in Loop: Header=BB48_9 Depth=1
	s_and_not1_b32 vcc_lo, exec_lo, s13
	s_cbranch_vccz .LBB48_23
; %bb.20:                               ;   in Loop: Header=BB48_9 Depth=1
	v_dual_mov_b32 v7, v11 :: v_dual_mov_b32 v8, v9
	s_waitcnt vmcnt(0)
	v_mov_b32_e32 v3, v10
	s_mov_b32 s16, s15
	s_mov_b32 s14, s1
	s_branch .LBB48_9
.LBB48_21:
                                        ; implicit-def: $sgpr16_sgpr17
	s_load_b128 s[8:11], s[0:1], 0x44
	s_branch .LBB48_2
.LBB48_22:
                                        ; implicit-def: $sgpr18_sgpr19
	s_branch .LBB48_5
.LBB48_23:
	v_div_scale_f32 v0, null, v11, v11, v10
	s_waitcnt vmcnt(0)
	s_delay_alu instid0(VALU_DEP_1) | instskip(SKIP_2) | instid1(VALU_DEP_1)
	v_rcp_f32_e32 v3, v0
	s_waitcnt_depctr 0xfff
	v_fma_f32 v4, -v0, v3, 1.0
	v_fmac_f32_e32 v3, v4, v3
	v_div_scale_f32 v4, vcc_lo, v10, v11, v10
	s_delay_alu instid0(VALU_DEP_1) | instskip(NEXT) | instid1(VALU_DEP_1)
	v_mul_f32_e32 v5, v4, v3
	v_fma_f32 v6, -v0, v5, v4
	s_delay_alu instid0(VALU_DEP_1) | instskip(NEXT) | instid1(VALU_DEP_1)
	v_fmac_f32_e32 v5, v6, v3
	v_fma_f32 v0, -v0, v5, v4
	s_delay_alu instid0(VALU_DEP_1) | instskip(NEXT) | instid1(VALU_DEP_1)
	v_div_fmas_f32 v0, v0, v3, v5
	v_div_fixup_f32 v0, v0, v11, v10
	global_store_b32 v[1:2], v0, off
.LBB48_24:
	s_nop 0
	s_sendmsg sendmsg(MSG_DEALLOC_VGPRS)
	s_endpgm
	.section	.rodata,"a",@progbits
	.p2align	6, 0x0
	.amdhsa_kernel _ZL33flash_attn_stream_k_fixup_generalILi256ELi16ELi1EEvPfPK15HIP_vector_typeIfLj2EEiiiiS1_IjLj3EES5_S5_S5_
		.amdhsa_group_segment_fixed_size 0
		.amdhsa_private_segment_fixed_size 0
		.amdhsa_kernarg_size 336
		.amdhsa_user_sgpr_count 13
		.amdhsa_user_sgpr_dispatch_ptr 0
		.amdhsa_user_sgpr_queue_ptr 0
		.amdhsa_user_sgpr_kernarg_segment_ptr 1
		.amdhsa_user_sgpr_dispatch_id 0
		.amdhsa_user_sgpr_private_segment_size 0
		.amdhsa_wavefront_size32 1
		.amdhsa_uses_dynamic_stack 0
		.amdhsa_enable_private_segment 0
		.amdhsa_system_sgpr_workgroup_id_x 1
		.amdhsa_system_sgpr_workgroup_id_y 1
		.amdhsa_system_sgpr_workgroup_id_z 1
		.amdhsa_system_sgpr_workgroup_info 0
		.amdhsa_system_vgpr_workitem_id 0
		.amdhsa_next_free_vgpr 19
		.amdhsa_next_free_sgpr 32
		.amdhsa_reserve_vcc 1
		.amdhsa_float_round_mode_32 0
		.amdhsa_float_round_mode_16_64 0
		.amdhsa_float_denorm_mode_32 3
		.amdhsa_float_denorm_mode_16_64 3
		.amdhsa_dx10_clamp 1
		.amdhsa_ieee_mode 1
		.amdhsa_fp16_overflow 0
		.amdhsa_workgroup_processor_mode 1
		.amdhsa_memory_ordered 1
		.amdhsa_forward_progress 0
		.amdhsa_shared_vgpr_count 0
		.amdhsa_exception_fp_ieee_invalid_op 0
		.amdhsa_exception_fp_denorm_src 0
		.amdhsa_exception_fp_ieee_div_zero 0
		.amdhsa_exception_fp_ieee_overflow 0
		.amdhsa_exception_fp_ieee_underflow 0
		.amdhsa_exception_fp_ieee_inexact 0
		.amdhsa_exception_int_div_zero 0
	.end_amdhsa_kernel
	.section	.text._ZL33flash_attn_stream_k_fixup_generalILi256ELi16ELi1EEvPfPK15HIP_vector_typeIfLj2EEiiiiS1_IjLj3EES5_S5_S5_,"axG",@progbits,_ZL33flash_attn_stream_k_fixup_generalILi256ELi16ELi1EEvPfPK15HIP_vector_typeIfLj2EEiiiiS1_IjLj3EES5_S5_S5_,comdat
.Lfunc_end48:
	.size	_ZL33flash_attn_stream_k_fixup_generalILi256ELi16ELi1EEvPfPK15HIP_vector_typeIfLj2EEiiiiS1_IjLj3EES5_S5_S5_, .Lfunc_end48-_ZL33flash_attn_stream_k_fixup_generalILi256ELi16ELi1EEvPfPK15HIP_vector_typeIfLj2EEiiiiS1_IjLj3EES5_S5_S5_
                                        ; -- End function
	.section	.AMDGPU.csdata,"",@progbits
; Kernel info:
; codeLenInByte = 3220
; NumSgprs: 34
; NumVgprs: 19
; ScratchSize: 0
; MemoryBound: 0
; FloatMode: 240
; IeeeMode: 1
; LDSByteSize: 0 bytes/workgroup (compile time only)
; SGPRBlocks: 4
; VGPRBlocks: 2
; NumSGPRsForWavesPerEU: 34
; NumVGPRsForWavesPerEU: 19
; Occupancy: 16
; WaveLimiterHint : 0
; COMPUTE_PGM_RSRC2:SCRATCH_EN: 0
; COMPUTE_PGM_RSRC2:USER_SGPR: 13
; COMPUTE_PGM_RSRC2:TRAP_HANDLER: 0
; COMPUTE_PGM_RSRC2:TGID_X_EN: 1
; COMPUTE_PGM_RSRC2:TGID_Y_EN: 1
; COMPUTE_PGM_RSRC2:TGID_Z_EN: 1
; COMPUTE_PGM_RSRC2:TIDIG_COMP_CNT: 0
	.section	.text._ZL15flash_attn_tileILi256ELi256ELi8ELi1ELb0EEvPKcS1_S1_S1_S1_PKiPfP15HIP_vector_typeIfLj2EEffffjfiS5_IjLj3EEiiiiiiiiiiiliiliiiiil,"axG",@progbits,_ZL15flash_attn_tileILi256ELi256ELi8ELi1ELb0EEvPKcS1_S1_S1_S1_PKiPfP15HIP_vector_typeIfLj2EEffffjfiS5_IjLj3EEiiiiiiiiiiiliiliiiiil,comdat
	.globl	_ZL15flash_attn_tileILi256ELi256ELi8ELi1ELb0EEvPKcS1_S1_S1_S1_PKiPfP15HIP_vector_typeIfLj2EEffffjfiS5_IjLj3EEiiiiiiiiiiiliiliiiiil ; -- Begin function _ZL15flash_attn_tileILi256ELi256ELi8ELi1ELb0EEvPKcS1_S1_S1_S1_PKiPfP15HIP_vector_typeIfLj2EEffffjfiS5_IjLj3EEiiiiiiiiiiiliiliiiiil
	.p2align	8
	.type	_ZL15flash_attn_tileILi256ELi256ELi8ELi1ELb0EEvPKcS1_S1_S1_S1_PKiPfP15HIP_vector_typeIfLj2EEffffjfiS5_IjLj3EEiiiiiiiiiiiliiliiiiil,@function
_ZL15flash_attn_tileILi256ELi256ELi8ELi1ELb0EEvPKcS1_S1_S1_S1_PKiPfP15HIP_vector_typeIfLj2EEffffjfiS5_IjLj3EEiiiiiiiiiiiliiliiiiil: ; @_ZL15flash_attn_tileILi256ELi256ELi8ELi1ELb0EEvPKcS1_S1_S1_S1_PKiPfP15HIP_vector_typeIfLj2EEffffjfiS5_IjLj3EEiiiiiiiiiiiliiliiiiil
; %bb.0:
	s_clause 0x3
	s_load_b128 s[36:39], s[0:1], 0x5c
	s_load_b64 s[42:43], s[0:1], 0x80
	s_load_b512 s[16:31], s[0:1], 0x0
	s_load_b64 s[44:45], s[0:1], 0xb8
	s_mov_b64 s[40:41], 0
	s_waitcnt lgkmcnt(0)
	v_cvt_f32_u32_e32 v1, s39
	s_sub_i32 s3, 0, s39
	s_delay_alu instid0(VALU_DEP_1) | instskip(SKIP_2) | instid1(VALU_DEP_1)
	v_rcp_iflag_f32_e32 v1, v1
	s_waitcnt_depctr 0xfff
	v_mul_f32_e32 v1, 0x4f7ffffe, v1
	v_cvt_u32_f32_e32 v1, v1
	s_delay_alu instid0(VALU_DEP_1) | instskip(NEXT) | instid1(VALU_DEP_1)
	v_readfirstlane_b32 s2, v1
	s_mul_i32 s3, s3, s2
	s_delay_alu instid0(SALU_CYCLE_1) | instskip(NEXT) | instid1(SALU_CYCLE_1)
	s_mul_hi_u32 s3, s2, s3
	s_add_i32 s2, s2, s3
	s_delay_alu instid0(SALU_CYCLE_1) | instskip(NEXT) | instid1(SALU_CYCLE_1)
	s_mul_hi_u32 s2, s15, s2
	s_mul_i32 s3, s2, s39
	s_add_i32 s4, s2, 1
	s_sub_i32 s3, s15, s3
	s_delay_alu instid0(SALU_CYCLE_1)
	s_sub_i32 s5, s3, s39
	s_cmp_ge_u32 s3, s39
	s_cselect_b32 s2, s4, s2
	s_cselect_b32 s3, s5, s3
	s_add_i32 s4, s2, 1
	s_cmp_ge_u32 s3, s39
	s_cselect_b32 s12, s4, s2
	s_abs_i32 s2, s43
	s_abs_i32 s6, s39
	v_cvt_f32_u32_e32 v1, s2
	s_sub_i32 s4, 0, s2
	s_mul_i32 s5, s12, s39
	s_delay_alu instid0(SALU_CYCLE_1) | instskip(NEXT) | instid1(VALU_DEP_1)
	s_sub_i32 s34, s15, s5
	v_rcp_iflag_f32_e32 v1, v1
	s_waitcnt_depctr 0xfff
	v_mul_f32_e32 v1, 0x4f7ffffe, v1
	s_delay_alu instid0(VALU_DEP_1) | instskip(NEXT) | instid1(VALU_DEP_1)
	v_cvt_u32_f32_e32 v1, v1
	v_readfirstlane_b32 s3, v1
	s_delay_alu instid0(VALU_DEP_1) | instskip(NEXT) | instid1(SALU_CYCLE_1)
	s_mul_i32 s4, s4, s3
	s_mul_hi_u32 s4, s3, s4
	s_delay_alu instid0(SALU_CYCLE_1) | instskip(SKIP_4) | instid1(SALU_CYCLE_1)
	s_add_i32 s3, s3, s4
	s_xor_b32 s4, s39, s43
	s_mul_hi_u32 s3, s6, s3
	s_ashr_i32 s4, s4, 31
	s_mul_i32 s5, s3, s2
	s_sub_i32 s5, s6, s5
	s_add_i32 s6, s3, 1
	s_sub_i32 s7, s5, s2
	s_cmp_ge_u32 s5, s2
	s_cselect_b32 s3, s6, s3
	s_cselect_b32 s5, s7, s5
	s_add_i32 s6, s3, 1
	s_cmp_ge_u32 s5, s2
	s_cselect_b32 s2, s6, s3
	s_abs_i32 s43, s34
	s_xor_b32 s2, s2, s4
	s_delay_alu instid0(SALU_CYCLE_1) | instskip(NEXT) | instid1(SALU_CYCLE_1)
	s_sub_i32 s46, s2, s4
	s_abs_i32 s33, s46
	s_delay_alu instid0(SALU_CYCLE_1) | instskip(SKIP_1) | instid1(VALU_DEP_1)
	v_cvt_f32_u32_e32 v1, s33
	s_sub_i32 s3, 0, s33
	v_rcp_iflag_f32_e32 v1, v1
	s_waitcnt_depctr 0xfff
	v_mul_f32_e32 v1, 0x4f7ffffe, v1
	s_delay_alu instid0(VALU_DEP_1) | instskip(NEXT) | instid1(VALU_DEP_1)
	v_cvt_u32_f32_e32 v1, v1
	v_readfirstlane_b32 s2, v1
	s_delay_alu instid0(VALU_DEP_1) | instskip(NEXT) | instid1(SALU_CYCLE_1)
	s_mul_i32 s3, s3, s2
	s_mul_hi_u32 s3, s2, s3
	s_delay_alu instid0(SALU_CYCLE_1)
	s_add_i32 s2, s2, s3
	s_cmp_eq_u64 s[22:23], 0
	s_cbranch_scc1 .LBB49_2
; %bb.1:
	s_abs_i32 s3, s44
	s_abs_i32 s6, s12
	v_cvt_f32_u32_e32 v1, s3
	s_sub_i32 s5, 0, s3
	s_delay_alu instid0(VALU_DEP_1) | instskip(SKIP_2) | instid1(VALU_DEP_1)
	v_rcp_iflag_f32_e32 v1, v1
	s_waitcnt_depctr 0xfff
	v_mul_f32_e32 v1, 0x4f7ffffe, v1
	v_cvt_u32_f32_e32 v1, v1
	s_delay_alu instid0(VALU_DEP_1) | instskip(NEXT) | instid1(VALU_DEP_1)
	v_readfirstlane_b32 s4, v1
	s_mul_i32 s5, s5, s4
	s_delay_alu instid0(SALU_CYCLE_1) | instskip(NEXT) | instid1(SALU_CYCLE_1)
	s_mul_hi_u32 s5, s4, s5
	s_add_i32 s7, s4, s5
	s_load_b64 s[4:5], s[0:1], 0xc8
	s_mul_hi_u32 s7, s6, s7
	s_delay_alu instid0(SALU_CYCLE_1) | instskip(NEXT) | instid1(SALU_CYCLE_1)
	s_mul_i32 s7, s7, s3
	s_sub_i32 s6, s6, s7
	s_ashr_i32 s7, s12, 31
	s_sub_i32 s8, s6, s3
	s_cmp_ge_u32 s6, s3
	s_cselect_b32 s6, s8, s6
	s_delay_alu instid0(SALU_CYCLE_1) | instskip(SKIP_2) | instid1(SALU_CYCLE_1)
	s_sub_i32 s8, s6, s3
	s_cmp_ge_u32 s6, s3
	s_cselect_b32 s3, s8, s6
	s_xor_b32 s3, s3, s7
	s_delay_alu instid0(SALU_CYCLE_1)
	s_sub_i32 s3, s3, s7
	s_waitcnt lgkmcnt(0)
	s_mul_i32 s5, s3, s5
	s_mul_hi_u32 s6, s3, s4
	s_ashr_i32 s7, s3, 31
	s_add_i32 s5, s6, s5
	s_mul_i32 s7, s7, s4
	s_mul_i32 s3, s3, s4
	s_add_i32 s5, s5, s7
	s_add_u32 s40, s22, s3
	s_addc_u32 s41, s23, s5
.LBB49_2:
	s_clause 0x1
	s_load_b128 s[8:11], s[0:1], 0x40
	s_load_b32 s3, s[0:1], 0x50
	v_mov_b32_e32 v50, 1.0
	s_waitcnt lgkmcnt(0)
	v_cmp_le_f32_e64 s4, s9, 0
	s_mul_hi_u32 s9, s43, s2
	s_delay_alu instid0(VALU_DEP_1)
	s_and_b32 vcc_lo, exec_lo, s4
	s_cbranch_vccnz .LBB49_4
; %bb.3:
	s_sub_i32 s2, s34, s3
	s_add_i32 s4, s34, 1
	s_lshl_b32 s2, s2, 1
	v_mov_b32_e32 v1, s10
	s_or_b32 s2, s2, 1
	s_cmp_lt_u32 s34, s3
	s_cselect_b32 vcc_lo, -1, 0
	s_delay_alu instid0(VALU_DEP_1)
	v_cndmask_b32_e32 v3, s11, v1, vcc_lo
	s_and_b32 s3, vcc_lo, exec_lo
	s_cselect_b32 s2, s4, s2
	s_mov_b32 s3, 0x3e76c4e1
	v_cvt_f32_i32_e32 v1, s2
	v_cmp_neq_f32_e32 vcc_lo, 1.0, v3
	s_delay_alu instid0(VALU_DEP_2) | instskip(NEXT) | instid1(VALU_DEP_1)
	v_cndmask_b32_e32 v4, 1.0, v1, vcc_lo
	v_cmp_eq_f32_e32 vcc_lo, 0, v4
	v_cndmask_b32_e64 v5, |v3|, 1.0, vcc_lo
	s_delay_alu instid0(VALU_DEP_1) | instskip(NEXT) | instid1(VALU_DEP_1)
	v_frexp_mant_f32_e32 v1, v5
	v_cmp_gt_f32_e64 s2, 0x3f2aaaab, v1
	s_delay_alu instid0(VALU_DEP_1) | instskip(NEXT) | instid1(VALU_DEP_1)
	v_cndmask_b32_e64 v2, 1.0, 2.0, s2
	v_mul_f32_e32 v1, v1, v2
	s_delay_alu instid0(VALU_DEP_1) | instskip(SKIP_1) | instid1(VALU_DEP_2)
	v_add_f32_e32 v2, 1.0, v1
	v_add_f32_e32 v7, -1.0, v1
	v_rcp_f32_e32 v6, v2
	s_waitcnt_depctr 0xfff
	v_mul_f32_e32 v8, v7, v6
	s_delay_alu instid0(VALU_DEP_1) | instskip(NEXT) | instid1(VALU_DEP_1)
	v_dual_add_f32 v9, -1.0, v2 :: v_dual_mul_f32 v10, v2, v8
	v_sub_f32_e32 v1, v1, v9
	v_cndmask_b32_e64 v3, v3, 1.0, vcc_lo
	s_delay_alu instid0(VALU_DEP_3) | instskip(NEXT) | instid1(VALU_DEP_2)
	v_fma_f32 v2, v8, v2, -v10
	v_cmp_eq_f32_e64 s4, 0, v3
	s_delay_alu instid0(VALU_DEP_2) | instskip(NEXT) | instid1(VALU_DEP_1)
	v_fmac_f32_e32 v2, v8, v1
	v_add_f32_e32 v1, v10, v2
	s_delay_alu instid0(VALU_DEP_1) | instskip(NEXT) | instid1(VALU_DEP_1)
	v_dual_sub_f32 v10, v1, v10 :: v_dual_sub_f32 v9, v7, v1
	v_dual_sub_f32 v2, v10, v2 :: v_dual_sub_f32 v7, v7, v9
	s_delay_alu instid0(VALU_DEP_1) | instskip(NEXT) | instid1(VALU_DEP_1)
	v_sub_f32_e32 v1, v7, v1
	v_add_f32_e32 v1, v2, v1
	s_delay_alu instid0(VALU_DEP_1) | instskip(NEXT) | instid1(VALU_DEP_1)
	v_add_f32_e32 v1, v9, v1
	v_mul_f32_e32 v1, v6, v1
	s_delay_alu instid0(VALU_DEP_1) | instskip(NEXT) | instid1(VALU_DEP_1)
	v_add_f32_e32 v6, v8, v1
	v_sub_f32_e32 v2, v6, v8
	v_mul_f32_e32 v7, v6, v6
	s_delay_alu instid0(VALU_DEP_2) | instskip(NEXT) | instid1(VALU_DEP_2)
	v_sub_f32_e32 v8, v1, v2
	v_fma_f32 v9, v6, v6, -v7
	s_delay_alu instid0(VALU_DEP_2) | instskip(NEXT) | instid1(VALU_DEP_1)
	v_add_f32_e32 v1, v8, v8
	v_fmac_f32_e32 v9, v6, v1
	v_cvt_f64_f32_e32 v[1:2], v5
	s_delay_alu instid0(VALU_DEP_2) | instskip(NEXT) | instid1(VALU_DEP_1)
	v_add_f32_e32 v10, v7, v9
	v_fmaak_f32 v11, s3, v10, 0x3e91f4c4
	v_sub_f32_e32 v7, v10, v7
	v_mul_f32_e32 v14, v6, v10
	s_delay_alu instid0(VALU_DEP_3) | instskip(NEXT) | instid1(VALU_DEP_3)
	v_fmaak_f32 v11, v10, v11, 0x3ecccdef
	v_sub_f32_e32 v7, v9, v7
	s_delay_alu instid0(VALU_DEP_2) | instskip(NEXT) | instid1(VALU_DEP_1)
	v_mul_f32_e32 v12, v10, v11
	v_fma_f32 v9, v10, v11, -v12
	s_delay_alu instid0(VALU_DEP_1) | instskip(NEXT) | instid1(VALU_DEP_1)
	v_fmac_f32_e32 v9, v7, v11
	v_add_f32_e32 v11, v12, v9
	v_frexp_exp_i32_f64_e32 v1, v[1:2]
	s_delay_alu instid0(VALU_DEP_2) | instskip(NEXT) | instid1(VALU_DEP_1)
	v_sub_f32_e32 v12, v11, v12
	v_sub_f32_e32 v2, v9, v12
	v_fma_f32 v12, v10, v6, -v14
	s_delay_alu instid0(VALU_DEP_2) | instskip(NEXT) | instid1(VALU_DEP_2)
	v_add_f32_e32 v2, 0x31739010, v2
	v_dual_add_f32 v13, 0x3f2aaaaa, v11 :: v_dual_fmac_f32 v12, v10, v8
	v_ldexp_f32 v8, v8, 1
	s_delay_alu instid0(VALU_DEP_2) | instskip(NEXT) | instid1(VALU_DEP_1)
	v_dual_add_f32 v9, 0xbf2aaaaa, v13 :: v_dual_fmac_f32 v12, v7, v6
	v_sub_f32_e32 v9, v11, v9
	s_delay_alu instid0(VALU_DEP_1) | instskip(NEXT) | instid1(VALU_DEP_3)
	v_add_f32_e32 v2, v2, v9
	v_add_f32_e32 v9, v14, v12
	s_delay_alu instid0(VALU_DEP_2) | instskip(NEXT) | instid1(VALU_DEP_1)
	v_add_f32_e32 v7, v13, v2
	v_sub_f32_e32 v10, v13, v7
	s_delay_alu instid0(VALU_DEP_3) | instskip(SKIP_2) | instid1(VALU_DEP_4)
	v_mul_f32_e32 v11, v9, v7
	v_sub_f32_e32 v13, v9, v14
	v_subrev_co_ci_u32_e64 v1, s2, 0, v1, s2
	v_add_f32_e32 v2, v2, v10
	s_delay_alu instid0(VALU_DEP_4) | instskip(NEXT) | instid1(VALU_DEP_4)
	v_fma_f32 v10, v9, v7, -v11
	v_sub_f32_e32 v12, v12, v13
	s_delay_alu instid0(VALU_DEP_4) | instskip(NEXT) | instid1(VALU_DEP_3)
	v_cvt_f32_i32_e32 v1, v1
	v_fmac_f32_e32 v10, v9, v2
	v_ldexp_f32 v2, v6, 1
	s_delay_alu instid0(VALU_DEP_2) | instskip(NEXT) | instid1(VALU_DEP_1)
	v_fmac_f32_e32 v10, v12, v7
	v_add_f32_e32 v6, v11, v10
	s_delay_alu instid0(VALU_DEP_1) | instskip(NEXT) | instid1(VALU_DEP_1)
	v_add_f32_e32 v7, v2, v6
	v_dual_sub_f32 v2, v7, v2 :: v_dual_sub_f32 v9, v6, v11
	s_delay_alu instid0(VALU_DEP_1) | instskip(NEXT) | instid1(VALU_DEP_2)
	v_sub_f32_e32 v2, v6, v2
	v_sub_f32_e32 v9, v10, v9
	s_delay_alu instid0(VALU_DEP_1) | instskip(NEXT) | instid1(VALU_DEP_1)
	v_add_f32_e32 v6, v8, v9
	v_dual_mul_f32 v11, 0x3f317218, v1 :: v_dual_add_f32 v2, v6, v2
	s_delay_alu instid0(VALU_DEP_1) | instskip(NEXT) | instid1(VALU_DEP_2)
	v_fma_f32 v10, 0x3f317218, v1, -v11
	v_add_f32_e32 v8, v7, v2
	s_delay_alu instid0(VALU_DEP_1) | instskip(NEXT) | instid1(VALU_DEP_1)
	v_sub_f32_e32 v7, v8, v7
	v_dual_fmamk_f32 v1, v1, 0xb102e308, v10 :: v_dual_sub_f32 v2, v2, v7
	s_delay_alu instid0(VALU_DEP_1) | instskip(NEXT) | instid1(VALU_DEP_1)
	v_add_f32_e32 v6, v11, v1
	v_add_f32_e32 v9, v6, v8
	s_delay_alu instid0(VALU_DEP_1) | instskip(NEXT) | instid1(VALU_DEP_1)
	v_dual_sub_f32 v11, v6, v11 :: v_dual_sub_f32 v10, v9, v6
	v_sub_f32_e32 v12, v9, v10
	s_delay_alu instid0(VALU_DEP_2) | instskip(NEXT) | instid1(VALU_DEP_2)
	v_sub_f32_e32 v1, v1, v11
	v_dual_sub_f32 v7, v8, v10 :: v_dual_sub_f32 v6, v6, v12
	s_delay_alu instid0(VALU_DEP_2) | instskip(NEXT) | instid1(VALU_DEP_2)
	v_add_f32_e32 v8, v1, v2
	v_add_f32_e32 v6, v7, v6
	s_delay_alu instid0(VALU_DEP_1) | instskip(NEXT) | instid1(VALU_DEP_1)
	v_add_f32_e32 v6, v8, v6
	v_dual_sub_f32 v7, v8, v1 :: v_dual_add_f32 v10, v9, v6
	s_delay_alu instid0(VALU_DEP_1) | instskip(SKIP_1) | instid1(VALU_DEP_3)
	v_sub_f32_e32 v8, v8, v7
	v_sub_f32_e32 v2, v2, v7
	;; [unrolled: 1-line block ×3, first 2 shown]
	s_delay_alu instid0(VALU_DEP_3) | instskip(NEXT) | instid1(VALU_DEP_1)
	v_sub_f32_e32 v1, v1, v8
	v_add_f32_e32 v1, v2, v1
	s_delay_alu instid0(VALU_DEP_3) | instskip(NEXT) | instid1(VALU_DEP_1)
	v_sub_f32_e32 v2, v6, v7
	v_add_f32_e32 v1, v1, v2
	s_delay_alu instid0(VALU_DEP_1) | instskip(NEXT) | instid1(VALU_DEP_1)
	v_add_f32_e32 v2, v10, v1
	v_mul_f32_e32 v7, v4, v2
	v_sub_f32_e32 v6, v2, v10
	s_delay_alu instid0(VALU_DEP_2) | instskip(NEXT) | instid1(VALU_DEP_2)
	v_fma_f32 v2, v4, v2, -v7
	v_sub_f32_e32 v1, v1, v6
	v_cmp_class_f32_e64 s2, v7, 0x204
	s_delay_alu instid0(VALU_DEP_2) | instskip(NEXT) | instid1(VALU_DEP_1)
	v_fmac_f32_e32 v2, v4, v1
	v_add_f32_e32 v1, v7, v2
	s_delay_alu instid0(VALU_DEP_1) | instskip(NEXT) | instid1(VALU_DEP_1)
	v_cndmask_b32_e64 v6, v1, v7, s2
	v_cmp_eq_f32_e64 s2, 0x42b17218, v6
	s_delay_alu instid0(VALU_DEP_1) | instskip(SKIP_1) | instid1(VALU_DEP_2)
	v_cndmask_b32_e64 v8, 0, 0x37000000, s2
	v_cmp_neq_f32_e64 s2, 0x7f800000, |v6|
	v_sub_f32_e32 v9, v6, v8
	v_trunc_f32_e32 v6, v4
	s_delay_alu instid0(VALU_DEP_2) | instskip(NEXT) | instid1(VALU_DEP_1)
	v_mul_f32_e32 v10, 0x3fb8aa3b, v9
	v_fma_f32 v11, 0x3fb8aa3b, v9, -v10
	v_rndne_f32_e32 v12, v10
	s_delay_alu instid0(VALU_DEP_1) | instskip(NEXT) | instid1(VALU_DEP_1)
	v_dual_fmamk_f32 v11, v9, 0x32a5705f, v11 :: v_dual_sub_f32 v10, v10, v12
	v_add_f32_e32 v10, v10, v11
	v_sub_f32_e32 v1, v1, v7
	v_cvt_i32_f32_e32 v7, v12
	s_delay_alu instid0(VALU_DEP_3) | instskip(NEXT) | instid1(VALU_DEP_2)
	v_exp_f32_e32 v10, v10
	v_sub_f32_e32 v1, v2, v1
	s_delay_alu instid0(VALU_DEP_1)
	v_cndmask_b32_e64 v1, 0, v1, s2
	v_cmp_ngt_f32_e64 s2, 0xc2ce8ed0, v9
	s_waitcnt_depctr 0xfff
	v_ldexp_f32 v2, v10, v7
	v_mul_f32_e32 v7, 0.5, v4
	v_add_f32_e32 v1, v8, v1
	s_delay_alu instid0(VALU_DEP_3) | instskip(NEXT) | instid1(VALU_DEP_3)
	v_cndmask_b32_e64 v2, 0, v2, s2
	v_trunc_f32_e32 v10, v7
	v_cmp_nlt_f32_e64 s2, 0x42b17218, v9
	s_delay_alu instid0(VALU_DEP_2) | instskip(NEXT) | instid1(VALU_DEP_2)
	v_cmp_neq_f32_e64 s3, v10, v7
	v_cndmask_b32_e64 v2, 0x7f800000, v2, s2
	v_cmp_eq_f32_e64 s2, v6, v4
	s_delay_alu instid0(VALU_DEP_2) | instskip(NEXT) | instid1(VALU_DEP_2)
	v_fma_f32 v1, v2, v1, v2
	s_and_b32 vcc_lo, s2, s3
	v_cmp_class_f32_e64 s3, v2, 0x204
	v_cndmask_b32_e32 v6, 1.0, v3, vcc_lo
	s_delay_alu instid0(VALU_DEP_2) | instskip(SKIP_1) | instid1(VALU_DEP_2)
	v_cndmask_b32_e64 v1, v1, v2, s3
	v_cmp_gt_f32_e64 s3, 0, v4
	v_bfi_b32 v1, 0x7fffffff, v1, v6
	s_delay_alu instid0(VALU_DEP_2)
	s_xor_b32 s3, s3, s4
	v_cndmask_b32_e32 v6, 0, v3, vcc_lo
	v_cndmask_b32_e64 v2, 0x7f800000, 0, s3
	v_cmp_eq_f32_e32 vcc_lo, 0x7f800000, v5
	v_cndmask_b32_e64 v4, 0x7fc00000, v1, s2
	v_cmp_gt_f32_e64 s2, 0, v3
	s_delay_alu instid0(VALU_DEP_4) | instskip(SKIP_1) | instid1(VALU_DEP_2)
	v_bfi_b32 v2, 0x7fffffff, v2, v6
	s_or_b32 vcc_lo, vcc_lo, s4
	v_cndmask_b32_e64 v1, v1, v4, s2
	s_delay_alu instid0(VALU_DEP_1) | instskip(SKIP_1) | instid1(VALU_DEP_2)
	v_cndmask_b32_e32 v1, v1, v2, vcc_lo
	v_cmp_o_f32_e32 vcc_lo, v3, v3
	v_cndmask_b32_e32 v50, 0x7fc00000, v1, vcc_lo
.LBB49_4:
	v_bfe_u32 v47, v0, 10, 10
	s_lshl_b32 s15, s13, 3
	s_load_b128 s[4:7], s[0:1], 0x70
	s_ashr_i32 s35, s34, 31
	s_ashr_i32 s10, s46, 31
	v_lshlrev_b32_e32 v41, 1, v47
	v_and_b32_e32 v43, 0x3ff, v0
	s_delay_alu instid0(VALU_DEP_2) | instskip(NEXT) | instid1(VALU_DEP_2)
	v_or_b32_e32 v38, 1, v41
	v_lshlrev_b32_e32 v16, 3, v43
	v_lshlrev_b32_e32 v51, 1, v43
	;; [unrolled: 1-line block ×3, first 2 shown]
	s_delay_alu instid0(VALU_DEP_4) | instskip(SKIP_2) | instid1(VALU_DEP_3)
	v_add_nc_u32_e32 v39, s15, v38
	v_lshlrev_b32_e32 v17, 7, v38
	v_lshl_or_b32 v16, v47, 10, v16
	v_mul_hi_u32 v2, v39, s36
	s_delay_alu instid0(VALU_DEP_3)
	v_add_lshl_u32 v18, v17, v51, 2
	s_waitcnt lgkmcnt(0)
	s_mul_i32 s2, s12, s6
	s_mul_i32 s3, s34, s5
	s_ashr_i32 s5, s2, 31
	s_add_u32 s2, s16, s2
	s_addc_u32 s5, s17, s5
	s_ashr_i32 s6, s3, 31
	v_add_nc_u32_e32 v2, v39, v2
	s_add_u32 s2, s2, s3
	s_addc_u32 s3, s5, s6
	s_ashr_i32 s5, s4, 31
	v_add_nc_u32_e32 v20, 0x4000, v16
	v_lshrrev_b32_e32 v2, s37, v2
	v_alignbit_b32 v5, s5, s4, 2
	s_lshr_b32 s4, s5, 2
	s_cmp_eq_u64 s[26:27], 0
	s_delay_alu instid0(VALU_DEP_2) | instskip(NEXT) | instid1(VALU_DEP_1)
	v_mul_lo_u32 v3, v2, s38
	v_sub_nc_u32_e32 v7, v39, v3
	s_delay_alu instid0(VALU_DEP_1) | instskip(NEXT) | instid1(VALU_DEP_1)
	v_mad_u64_u32 v[3:4], null, v5, v7, 0
	v_mov_b32_e32 v0, v4
	v_add_nc_u32_e32 v42, s15, v41
	s_delay_alu instid0(VALU_DEP_1) | instskip(NEXT) | instid1(VALU_DEP_1)
	v_mul_hi_u32 v1, v42, s36
	v_add_nc_u32_e32 v1, v42, v1
	s_delay_alu instid0(VALU_DEP_1) | instskip(NEXT) | instid1(VALU_DEP_1)
	v_lshrrev_b32_e32 v1, s37, v1
	v_mul_lo_u32 v1, v1, s38
	s_delay_alu instid0(VALU_DEP_1) | instskip(NEXT) | instid1(VALU_DEP_1)
	v_sub_nc_u32_e32 v57, v42, v1
	v_mad_u64_u32 v[1:2], null, v5, v57, 0
	s_delay_alu instid0(VALU_DEP_1) | instskip(SKIP_1) | instid1(VALU_DEP_1)
	v_mad_u64_u32 v[5:6], null, s4, v57, v[2:3]
	v_lshlrev_b32_e32 v6, 4, v43
	v_add_co_u32 v10, s2, s2, v6
	s_delay_alu instid0(VALU_DEP_3) | instskip(SKIP_2) | instid1(VALU_DEP_3)
	v_mov_b32_e32 v2, v5
	v_mad_u64_u32 v[4:5], null, s4, v7, v[0:1]
	v_add_co_ci_u32_e64 v11, null, s3, 0, s2
	v_lshlrev_b64 v[0:1], 2, v[1:2]
	s_mov_b32 s3, 0
	s_delay_alu instid0(VALU_DEP_3) | instskip(NEXT) | instid1(VALU_DEP_2)
	v_lshlrev_b64 v[8:9], 2, v[3:4]
	v_add_co_u32 v5, vcc_lo, v10, v0
	s_delay_alu instid0(VALU_DEP_3) | instskip(NEXT) | instid1(VALU_DEP_3)
	v_add_co_ci_u32_e32 v6, vcc_lo, v11, v1, vcc_lo
	v_add_co_u32 v12, vcc_lo, v10, v8
	s_delay_alu instid0(VALU_DEP_4)
	v_add_co_ci_u32_e32 v13, vcc_lo, v11, v9, vcc_lo
	s_clause 0x3
	global_load_b128 v[0:3], v[5:6], off
	global_load_b128 v[4:7], v[5:6], off offset:512
	global_load_b128 v[8:11], v[12:13], off
	global_load_b128 v[12:15], v[12:13], off offset:512
	s_waitcnt vmcnt(3)
	v_fma_mixlo_f16 v17, v2, s8, 0
	v_fma_mixlo_f16 v16, v0, s8, 0
	s_waitcnt vmcnt(2)
	v_fma_mixlo_f16 v19, v6, s8, 0
	v_add_nc_u32_e32 v6, 0x4000, v18
	v_fma_mixlo_f16 v18, v4, s8, 0
	v_fma_mixhi_f16 v17, v3, s8, 0
	v_fma_mixhi_f16 v16, v1, s8, 0
	s_waitcnt vmcnt(1)
	v_fma_mixlo_f16 v1, v10, s8, 0
	v_fma_mixlo_f16 v0, v8, s8, 0
	s_waitcnt vmcnt(0)
	v_fma_mixlo_f16 v3, v14, s8, 0
	v_fma_mixlo_f16 v2, v12, s8, 0
	v_fma_mixhi_f16 v19, v7, s8, 0
	v_fma_mixhi_f16 v18, v5, s8, 0
	;; [unrolled: 1-line block ×6, first 2 shown]
	ds_store_2addr_b64 v20, v[16:17], v[18:19] offset0:64 offset1:96
	ds_store_2addr_b64 v6, v[0:1], v[2:3] offset0:64 offset1:96
	s_waitcnt lgkmcnt(0)
	s_barrier
	buffer_gl0_inv
	s_cbranch_scc1 .LBB49_6
; %bb.5:
	s_load_b32 s2, s[0:1], 0xd0
	s_waitcnt lgkmcnt(0)
	s_mul_i32 s2, s2, s12
	s_delay_alu instid0(SALU_CYCLE_1) | instskip(NEXT) | instid1(SALU_CYCLE_1)
	s_add_i32 s2, s2, s13
	s_lshl_b64 s[2:3], s[2:3], 2
	s_delay_alu instid0(SALU_CYCLE_1)
	s_add_u32 s2, s26, s2
	s_addc_u32 s3, s27, s3
	s_load_b32 s42, s[2:3], 0x0
.LBB49_6:
	s_clause 0x2
	s_load_b64 s[2:3], s[0:1], 0x8c
	s_load_b128 s[4:7], s[0:1], 0x98
	s_load_b64 s[16:17], s[0:1], 0xa8
	s_ashr_i32 s11, s12, 31
	s_ashr_i32 s22, s45, 1
	s_mul_i32 s23, s9, s33
	v_dual_mov_b32 v61, 0 :: v_dual_mov_b32 v54, 0
	v_lshlrev_b32_e32 v48, 2, v40
	v_mul_u32_u24_e32 v60, 0x210, v43
	v_lshlrev_b32_e32 v46, 2, v51
	v_mbcnt_lo_u32_b32 v44, -1, 0
	s_mov_b32 s26, 0xfeffffff
	s_waitcnt lgkmcnt(0)
	s_ashr_i32 s8, s2, 2
	s_mul_i32 s2, s12, s5
	s_mul_hi_u32 s5, s12, s4
	s_ashr_i32 s13, s6, 2
	s_mul_i32 s6, s11, s4
	s_add_i32 s2, s5, s2
	s_mul_i32 s4, s12, s4
	s_add_i32 s2, s2, s6
	s_add_u32 s4, s18, s4
	s_addc_u32 s2, s19, s2
	s_sub_i32 s6, s43, s23
	s_xor_b32 s5, s35, s10
	s_add_i32 s10, s9, 1
	s_sub_i32 s18, s6, s33
	s_cmp_ge_u32 s6, s33
	s_mul_i32 s11, s11, s16
	s_cselect_b32 s9, s10, s9
	s_cselect_b32 s6, s18, s6
	s_add_i32 s10, s9, 1
	s_cmp_ge_u32 s6, s33
	s_mul_hi_u32 s6, s12, s16
	s_cselect_b32 s9, s10, s9
	s_mul_i32 s10, s12, s16
	s_xor_b32 s9, s9, s5
	v_mul_lo_u32 v4, s8, v47
	s_sub_i32 s16, s9, s5
	v_mul_lo_u32 v0, s13, v47
	s_mul_i32 s3, s16, s3
	s_mul_i32 s17, s12, s17
	s_ashr_i32 s9, s3, 31
	s_add_u32 s5, s4, s3
	s_addc_u32 s9, s2, s9
	s_add_i32 s2, s6, s17
	s_mul_i32 s16, s16, s7
	s_add_i32 s2, s2, s11
	s_add_u32 s3, s20, s10
	s_addc_u32 s2, s21, s2
	s_ashr_i32 s4, s16, 31
	s_add_u32 s16, s3, s16
	v_ashrrev_i32_e32 v5, 31, v4
	v_ashrrev_i32_e32 v1, 31, v0
	s_addc_u32 s17, s2, s4
	s_lshl_b32 s18, s14, 5
	s_sub_i32 s10, s42, 32
	s_delay_alu instid0(SALU_CYCLE_1)
	s_cmp_ge_i32 s18, s10
	s_cbranch_scc1 .LBB49_15
; %bb.7:
	s_lshl_b32 s2, s8, 2
	s_cmp_lg_u64 s[40:41], 0
	v_dual_mov_b32 v85, 0xfeffffff :: v_dual_add_nc_u32 v2, s2, v4
	s_cselect_b32 s11, -1, 0
	s_lshl_b32 s3, s13, 2
	v_or_b32_e32 v6, 1, v42
	v_add_nc_u32_e32 v24, s3, v0
	v_dual_mov_b32 v45, 0 :: v_dual_add_nc_u32 v10, s2, v2
	v_mad_u32_u24 v62, 0x210, v47, v48
	s_delay_alu instid0(VALU_DEP_4) | instskip(NEXT) | instid1(VALU_DEP_4)
	v_mul_hi_u32 v3, s36, v6
	v_add_nc_u32_e32 v26, s3, v24
	s_delay_alu instid0(VALU_DEP_4) | instskip(SKIP_2) | instid1(VALU_DEP_4)
	v_dual_mov_b32 v53, 0 :: v_dual_add_nc_u32 v12, s2, v10
	v_mov_b32_e32 v58, 0
	v_ashrrev_i32_e32 v11, 31, v10
	v_add_nc_u32_e32 v28, s3, v26
	s_delay_alu instid0(VALU_DEP_4) | instskip(SKIP_2) | instid1(VALU_DEP_4)
	v_dual_mov_b32 v59, 0 :: v_dual_add_nc_u32 v14, s2, v12
	v_add_nc_u32_e32 v3, v6, v3
	v_ashrrev_i32_e32 v13, 31, v12
	v_add_nc_u32_e32 v30, s3, v28
	s_delay_alu instid0(VALU_DEP_4)
	v_add_nc_u32_e32 v16, s2, v14
	v_ashrrev_i32_e32 v15, 31, v14
	v_lshrrev_b32_e32 v3, s37, v3
	v_ashrrev_i32_e32 v25, 31, v24
	v_add_nc_u32_e32 v32, s3, v30
	v_add_nc_u32_e32 v18, s2, v16
	v_ashrrev_i32_e32 v17, 31, v16
	v_mul_lo_u32 v7, v3, s38
	v_ashrrev_i32_e32 v3, 31, v2
	v_add_nc_u32_e32 v34, s3, v32
	v_add_nc_u32_e32 v20, s2, v18
	v_ashrrev_i32_e32 v19, 31, v18
	v_ashrrev_i32_e32 v27, 31, v26
	;; [unrolled: 1-line block ×3, first 2 shown]
	v_add_nc_u32_e32 v36, s3, v34
	v_sub_nc_u32_e32 v6, v6, v7
	v_ashrrev_i32_e32 v21, 31, v20
	v_ashrrev_i32_e32 v31, 31, v30
	v_ashrrev_i32_e32 v33, 31, v32
	v_ashrrev_i32_e32 v35, 31, v34
	v_ashrrev_i32_e32 v37, 31, v36
	v_lshl_add_u32 v64, v47, 7, 0x5200
	v_lshl_add_u32 v65, v47, 9, v48
	v_mul_lo_u32 v73, v57, s22
	v_mul_lo_u32 v74, v6, s22
	v_lshlrev_b64 v[6:7], 2, v[4:5]
	v_lshlrev_b64 v[8:9], 2, v[2:3]
	;; [unrolled: 1-line block ×16, first 2 shown]
	v_lshl_add_u32 v63, v47, 10, 0x4200
	v_dual_mov_b32 v55, 0 :: v_dual_add_nc_u32 v66, 0x840, v62
	v_dual_mov_b32 v52, 0 :: v_dual_add_nc_u32 v67, 0x1080, v62
	;; [unrolled: 1-line block ×4, first 2 shown]
	v_add_nc_u32_e32 v70, 0x2940, v62
	v_dual_mov_b32 v54, 0 :: v_dual_add_nc_u32 v71, 0x3180, v62
	v_add_nc_u32_e32 v72, 0x39c0, v62
	v_lshl_add_u32 v75, v51, 1, v64
	v_add_nc_u32_e32 v76, 0x800, v65
	v_dual_mov_b32 v84, 0 :: v_dual_add_nc_u32 v77, 0x1000, v65
	v_add_nc_u32_e32 v78, 0x1800, v65
	v_add_nc_u32_e32 v79, 0x2000, v65
	;; [unrolled: 1-line block ×5, first 2 shown]
	v_mbcnt_lo_u32_b32 v83, -1, 0
	v_mov_b32_e32 v86, 0xfeffffff
	s_add_u32 s6, s0, 0xd0
	s_addc_u32 s7, s1, 0
.LBB49_8:                               ; =>This Inner Loop Header: Depth=1
	s_mul_hi_i32 s3, s18, s8
	s_mul_i32 s2, s18, s8
	s_delay_alu instid0(SALU_CYCLE_1) | instskip(NEXT) | instid1(SALU_CYCLE_1)
	s_lshl_b64 s[2:3], s[2:3], 2
	s_add_u32 s2, s5, s2
	s_addc_u32 s3, s9, s3
	v_add_co_u32 v2, vcc_lo, s2, v6
	v_add_co_ci_u32_e32 v3, vcc_lo, s3, v7, vcc_lo
	v_add_co_u32 v61, vcc_lo, s2, v8
	v_add_co_ci_u32_e32 v87, vcc_lo, s3, v9, vcc_lo
	s_delay_alu instid0(VALU_DEP_4) | instskip(NEXT) | instid1(VALU_DEP_4)
	v_add_co_u32 v2, vcc_lo, v2, v48
	v_add_co_ci_u32_e32 v3, vcc_lo, 0, v3, vcc_lo
	s_delay_alu instid0(VALU_DEP_4) | instskip(NEXT) | instid1(VALU_DEP_4)
	v_add_co_u32 v91, vcc_lo, v61, v48
	v_add_co_ci_u32_e32 v92, vcc_lo, 0, v87, vcc_lo
	s_clause 0x1
	global_load_b128 v[87:90], v[2:3], off
	global_load_b128 v[91:94], v[91:92], off
	v_add_co_u32 v2, vcc_lo, s2, v10
	v_add_co_ci_u32_e32 v3, vcc_lo, s3, v11, vcc_lo
	v_add_co_u32 v61, vcc_lo, s2, v12
	v_add_co_ci_u32_e32 v95, vcc_lo, s3, v13, vcc_lo
	s_delay_alu instid0(VALU_DEP_4) | instskip(NEXT) | instid1(VALU_DEP_4)
	v_add_co_u32 v2, vcc_lo, v2, v48
	v_add_co_ci_u32_e32 v3, vcc_lo, 0, v3, vcc_lo
	s_delay_alu instid0(VALU_DEP_4) | instskip(NEXT) | instid1(VALU_DEP_4)
	v_add_co_u32 v99, vcc_lo, v61, v48
	v_add_co_ci_u32_e32 v100, vcc_lo, 0, v95, vcc_lo
	v_add_co_u32 v61, vcc_lo, s2, v14
	v_add_co_ci_u32_e32 v95, vcc_lo, s3, v15, vcc_lo
	v_add_co_u32 v96, vcc_lo, s2, v16
	v_add_co_ci_u32_e32 v97, vcc_lo, s3, v17, vcc_lo
	s_delay_alu instid0(VALU_DEP_4) | instskip(NEXT) | instid1(VALU_DEP_4)
	v_add_co_u32 v103, vcc_lo, v61, v48
	v_add_co_ci_u32_e32 v104, vcc_lo, 0, v95, vcc_lo
	s_delay_alu instid0(VALU_DEP_4) | instskip(NEXT) | instid1(VALU_DEP_4)
	v_add_co_u32 v107, vcc_lo, v96, v48
	v_add_co_ci_u32_e32 v108, vcc_lo, 0, v97, vcc_lo
	;; [unrolled: 10-line block ×3, first 2 shown]
	s_clause 0x5
	global_load_b128 v[95:98], v[2:3], off
	global_load_b128 v[99:102], v[99:100], off
	;; [unrolled: 1-line block ×6, first 2 shown]
	v_dual_mov_b32 v3, 0 :: v_dual_mov_b32 v2, 0
	v_mov_b32_e32 v61, 0
	s_and_not1_b32 vcc_lo, exec_lo, s11
	s_waitcnt vmcnt(7)
	ds_store_b128 v62, v[87:90]
	s_waitcnt vmcnt(6)
	ds_store_b128 v66, v[91:94]
	;; [unrolled: 2-line block ×8, first 2 shown]
	s_waitcnt lgkmcnt(0)
	s_barrier
	buffer_gl0_inv
	ds_load_b128 v[87:90], v60
	ds_load_b128 v[91:94], v63
	ds_load_b128 v[95:98], v63 offset:512
	s_waitcnt lgkmcnt(1)
	;;#ASMSTART
	v_dot2_f32_f16 v3, v87, v91, v3
	;;#ASMEND
	;;#ASMSTART
	v_dot2_f32_f16 v3, v88, v92, v3
	;;#ASMEND
	;;#ASMSTART
	v_dot2_f32_f16 v3, v89, v93, v3
	;;#ASMEND
	;;#ASMSTART
	v_dot2_f32_f16 v3, v90, v94, v3
	;;#ASMEND
	s_waitcnt lgkmcnt(0)
	;;#ASMSTART
	v_dot2_f32_f16 v2, v87, v95, v2
	;;#ASMEND
	;;#ASMSTART
	v_dot2_f32_f16 v2, v88, v96, v2
	;;#ASMEND
	;;#ASMSTART
	v_dot2_f32_f16 v2, v89, v97, v2
	;;#ASMEND
	;;#ASMSTART
	v_dot2_f32_f16 v2, v90, v98, v2
	;;#ASMEND
	ds_load_b128 v[87:90], v60 offset:16
	ds_load_b128 v[91:94], v63 offset:16
	ds_load_b128 v[95:98], v63 offset:528
	s_waitcnt lgkmcnt(1)
	;;#ASMSTART
	v_dot2_f32_f16 v3, v87, v91, v3
	;;#ASMEND
	;;#ASMSTART
	v_dot2_f32_f16 v3, v88, v92, v3
	;;#ASMEND
	;;#ASMSTART
	v_dot2_f32_f16 v3, v89, v93, v3
	;;#ASMEND
	;;#ASMSTART
	v_dot2_f32_f16 v3, v90, v94, v3
	;;#ASMEND
	s_waitcnt lgkmcnt(0)
	;;#ASMSTART
	v_dot2_f32_f16 v2, v87, v95, v2
	;;#ASMEND
	;;#ASMSTART
	v_dot2_f32_f16 v2, v88, v96, v2
	;;#ASMEND
	;;#ASMSTART
	v_dot2_f32_f16 v2, v89, v97, v2
	;;#ASMEND
	;;#ASMSTART
	v_dot2_f32_f16 v2, v90, v98, v2
	;;#ASMEND
	ds_load_b128 v[87:90], v60 offset:32
	ds_load_b128 v[91:94], v63 offset:32
	;; [unrolled: 29-line block ×31, first 2 shown]
	ds_load_b128 v[96:99], v63 offset:1008
	s_waitcnt lgkmcnt(1)
	;;#ASMSTART
	v_dot2_f32_f16 v3, v88, v92, v3
	;;#ASMEND
	v_add_nc_u32_e32 v87, s18, v43
	;;#ASMSTART
	v_dot2_f32_f16 v3, v89, v93, v3
	;;#ASMEND
	;;#ASMSTART
	v_dot2_f32_f16 v3, v90, v94, v3
	;;#ASMEND
	;; [unrolled: 3-line block ×3, first 2 shown]
	s_waitcnt lgkmcnt(0)
	;;#ASMSTART
	v_dot2_f32_f16 v2, v88, v96, v2
	;;#ASMEND
	;;#ASMSTART
	v_dot2_f32_f16 v2, v89, v97, v2
	;;#ASMEND
	;; [unrolled: 3-line block ×4, first 2 shown]
	s_cbranch_vccnz .LBB49_10
; %bb.9:                                ;   in Loop: Header=BB49_8 Depth=1
	v_add_nc_u32_e32 v88, v87, v73
	s_delay_alu instid0(VALU_DEP_1) | instskip(NEXT) | instid1(VALU_DEP_1)
	v_ashrrev_i32_e32 v89, 31, v88
	v_lshlrev_b64 v[88:89], 1, v[88:89]
	s_delay_alu instid0(VALU_DEP_1) | instskip(NEXT) | instid1(VALU_DEP_2)
	v_add_co_u32 v88, vcc_lo, s40, v88
	v_add_co_ci_u32_e32 v89, vcc_lo, s41, v89, vcc_lo
	flat_load_u16 v61, v[88:89]
	s_waitcnt vmcnt(0) lgkmcnt(0)
	v_cvt_f32_f16_e32 v61, v61
	s_delay_alu instid0(VALU_DEP_1)
	v_mul_f32_e32 v61, v50, v61
.LBB49_10:                              ;   in Loop: Header=BB49_8 Depth=1
	v_xor_b32_e32 v88, 16, v83
	s_delay_alu instid0(VALU_DEP_2) | instskip(SKIP_1) | instid1(VALU_DEP_3)
	v_add_f32_e32 v61, v3, v61
	v_xor_b32_e32 v90, 8, v83
	v_cmp_gt_i32_e32 vcc_lo, 32, v88
	s_delay_alu instid0(VALU_DEP_3) | instskip(NEXT) | instid1(VALU_DEP_3)
	v_dual_cndmask_b32 v3, v83, v88 :: v_dual_add_f32 v88, 0x40051340, v61
	v_cmp_gt_i32_e32 vcc_lo, 32, v90
	v_max_f32_e32 v89, v85, v85
	s_delay_alu instid0(VALU_DEP_3) | instskip(NEXT) | instid1(VALU_DEP_2)
	v_dual_cndmask_b32 v90, v83, v90 :: v_dual_lshlrev_b32 v3, 2, v3
	v_max_f32_e32 v89, v89, v88
	ds_bpermute_b32 v88, v3, v89
	s_waitcnt lgkmcnt(0)
	v_dual_max_f32 v91, v88, v88 :: v_dual_lshlrev_b32 v88, 2, v90
	s_delay_alu instid0(VALU_DEP_1)
	v_max_f32_e32 v90, v89, v91
	v_xor_b32_e32 v91, 4, v83
	ds_bpermute_b32 v89, v88, v90
	v_cmp_gt_i32_e32 vcc_lo, 32, v91
	s_waitcnt lgkmcnt(0)
	v_dual_max_f32 v92, v89, v89 :: v_dual_cndmask_b32 v91, v83, v91
	s_delay_alu instid0(VALU_DEP_1) | instskip(SKIP_1) | instid1(VALU_DEP_1)
	v_max_f32_e32 v90, v90, v92
	v_xor_b32_e32 v92, 2, v83
	v_cmp_gt_i32_e32 vcc_lo, 32, v92
	s_delay_alu instid0(VALU_DEP_4) | instskip(SKIP_3) | instid1(VALU_DEP_1)
	v_dual_cndmask_b32 v92, v83, v92 :: v_dual_lshlrev_b32 v89, 2, v91
	ds_bpermute_b32 v91, v89, v90
	s_waitcnt lgkmcnt(0)
	v_max_f32_e32 v93, v91, v91
	v_dual_max_f32 v90, v90, v93 :: v_dual_lshlrev_b32 v91, 2, v92
	v_xor_b32_e32 v93, 1, v83
	ds_bpermute_b32 v92, v91, v90
	v_cmp_gt_i32_e32 vcc_lo, 32, v93
	s_waitcnt lgkmcnt(0)
	v_dual_max_f32 v92, v92, v92 :: v_dual_cndmask_b32 v93, v83, v93
	s_and_not1_b32 vcc_lo, exec_lo, s11
	s_delay_alu instid0(VALU_DEP_1)
	v_dual_max_f32 v90, v90, v92 :: v_dual_lshlrev_b32 v93, 2, v93
	ds_bpermute_b32 v92, v93, v90
	s_cbranch_vccnz .LBB49_12
; %bb.11:                               ;   in Loop: Header=BB49_8 Depth=1
	v_add_nc_u32_e32 v94, v87, v74
	s_delay_alu instid0(VALU_DEP_1) | instskip(NEXT) | instid1(VALU_DEP_1)
	v_ashrrev_i32_e32 v95, 31, v94
	v_lshlrev_b64 v[94:95], 1, v[94:95]
	s_delay_alu instid0(VALU_DEP_1) | instskip(NEXT) | instid1(VALU_DEP_2)
	v_add_co_u32 v94, vcc_lo, s40, v94
	v_add_co_ci_u32_e32 v95, vcc_lo, s41, v95, vcc_lo
	flat_load_u16 v87, v[94:95]
	s_waitcnt vmcnt(0) lgkmcnt(0)
	v_cvt_f32_f16_e32 v87, v87
	s_delay_alu instid0(VALU_DEP_1)
	v_mul_f32_e32 v87, v50, v87
	s_branch .LBB49_13
.LBB49_12:                              ;   in Loop: Header=BB49_8 Depth=1
	v_mov_b32_e32 v87, 0
.LBB49_13:                              ;   in Loop: Header=BB49_8 Depth=1
	s_delay_alu instid0(VALU_DEP_1)
	v_add_f32_e32 v87, v2, v87
	v_max_f32_e32 v2, v86, v86
	s_waitcnt lgkmcnt(0)
	s_barrier
	buffer_gl0_inv
	v_add_f32_e32 v94, 0x40051340, v87
	s_delay_alu instid0(VALU_DEP_1) | instskip(SKIP_3) | instid1(VALU_DEP_1)
	v_max_f32_e32 v2, v2, v94
	ds_bpermute_b32 v3, v3, v2
	s_waitcnt lgkmcnt(0)
	v_max_f32_e32 v3, v3, v3
	v_max_f32_e32 v2, v2, v3
	ds_bpermute_b32 v3, v88, v2
	s_waitcnt lgkmcnt(0)
	v_dual_max_f32 v88, v92, v92 :: v_dual_max_f32 v3, v3, v3
	s_delay_alu instid0(VALU_DEP_1) | instskip(SKIP_4) | instid1(VALU_DEP_1)
	v_max_f32_e32 v2, v2, v3
	ds_bpermute_b32 v3, v89, v2
	v_max_f32_e32 v89, v90, v90
	s_waitcnt lgkmcnt(0)
	v_max_f32_e32 v3, v3, v3
	v_max_f32_e32 v2, v2, v3
	ds_bpermute_b32 v3, v91, v2
	s_waitcnt lgkmcnt(0)
	v_max_f32_e32 v3, v3, v3
	s_delay_alu instid0(VALU_DEP_1) | instskip(SKIP_4) | instid1(VALU_DEP_1)
	v_max_f32_e32 v3, v2, v3
	ds_bpermute_b32 v2, v93, v3
	s_waitcnt lgkmcnt(0)
	v_max_f32_e32 v90, v2, v2
	v_max_f32_e32 v2, v89, v88
	v_sub_f32_e32 v61, v61, v2
	s_delay_alu instid0(VALU_DEP_1) | instskip(SKIP_3) | instid1(VALU_DEP_4)
	v_dual_sub_f32 v85, v85, v2 :: v_dual_mul_f32 v88, 0x3fb8aa3b, v61
	v_cmp_ngt_f32_e32 vcc_lo, 0xc2ce8ed0, v61
	v_cmp_nlt_f32_e64 s2, 0x42b17218, v61
	v_max_f32_e32 v3, v3, v90
	v_fma_f32 v89, 0x3fb8aa3b, v61, -v88
	s_delay_alu instid0(VALU_DEP_2) | instskip(NEXT) | instid1(VALU_DEP_2)
	v_sub_f32_e32 v87, v87, v3
	v_dual_sub_f32 v86, v86, v3 :: v_dual_fmac_f32 v89, 0x32a5705f, v61
	v_rndne_f32_e32 v61, v88
	s_delay_alu instid0(VALU_DEP_3) | instskip(SKIP_1) | instid1(VALU_DEP_3)
	v_cmp_ngt_f32_e64 s3, 0xc2ce8ed0, v87
	v_cmp_nlt_f32_e64 s4, 0x42b17218, v87
	v_sub_f32_e32 v88, v88, v61
	v_cvt_i32_f32_e32 v61, v61
	s_delay_alu instid0(VALU_DEP_2) | instskip(NEXT) | instid1(VALU_DEP_1)
	v_dual_add_f32 v88, v88, v89 :: v_dual_mul_f32 v89, 0x3fb8aa3b, v87
	v_exp_f32_e32 v88, v88
	s_delay_alu instid0(VALU_DEP_1) | instskip(SKIP_1) | instid1(VALU_DEP_1)
	v_fma_f32 v90, 0x3fb8aa3b, v87, -v89
	v_rndne_f32_e32 v91, v89
	v_sub_f32_e32 v89, v89, v91
	s_waitcnt_depctr 0xfff
	v_ldexp_f32 v61, v88, v61
	s_delay_alu instid0(VALU_DEP_1) | instskip(NEXT) | instid1(VALU_DEP_1)
	v_dual_fmac_f32 v90, 0x32a5705f, v87 :: v_dual_cndmask_b32 v61, 0, v61
	v_add_f32_e32 v89, v89, v90
	s_delay_alu instid0(VALU_DEP_2) | instskip(NEXT) | instid1(VALU_DEP_2)
	v_cndmask_b32_e64 v87, 0x7f800000, v61, s2
	v_exp_f32_e32 v88, v89
	v_cvt_i32_f32_e32 v89, v91
	s_mul_i32 s2, s18, s13
	s_waitcnt_depctr 0xfff
	v_ldexp_f32 v88, v88, v89
	s_delay_alu instid0(VALU_DEP_1) | instskip(SKIP_1) | instid1(SALU_CYCLE_1)
	v_cndmask_b32_e64 v88, 0, v88, s3
	s_mul_hi_i32 s3, s18, s13
	s_lshl_b64 s[2:3], s[2:3], 2
	s_delay_alu instid0(VALU_DEP_1)
	v_cndmask_b32_e64 v61, 0x7f800000, v88, s4
	v_cvt_f16_f32_e32 v88, v87
	s_add_u32 s2, s16, s2
	s_addc_u32 s3, s17, s3
	v_cmp_nlt_f32_e64 s4, 0x42b17218, v86
	v_cvt_f16_f32_e32 v89, v61
	s_delay_alu instid0(VALU_DEP_1)
	v_pack_b32_f16 v90, v88, v89
	v_add_co_u32 v88, vcc_lo, s2, v22
	v_add_co_ci_u32_e32 v89, vcc_lo, s3, v23, vcc_lo
	ds_store_b32 v75, v90
	v_add_co_u32 v88, vcc_lo, v88, v48
	v_add_co_ci_u32_e32 v89, vcc_lo, 0, v89, vcc_lo
	global_load_b128 v[88:91], v[88:89], off
	s_waitcnt vmcnt(0)
	ds_store_b128 v65, v[88:91]
	v_add_co_u32 v88, vcc_lo, s2, v24
	v_add_co_ci_u32_e32 v89, vcc_lo, s3, v25, vcc_lo
	s_delay_alu instid0(VALU_DEP_2) | instskip(NEXT) | instid1(VALU_DEP_2)
	v_add_co_u32 v88, vcc_lo, v88, v48
	v_add_co_ci_u32_e32 v89, vcc_lo, 0, v89, vcc_lo
	global_load_b128 v[88:91], v[88:89], off
	s_waitcnt vmcnt(0)
	ds_store_b128 v76, v[88:91]
	v_add_co_u32 v88, vcc_lo, s2, v26
	v_add_co_ci_u32_e32 v89, vcc_lo, s3, v27, vcc_lo
	s_delay_alu instid0(VALU_DEP_2) | instskip(NEXT) | instid1(VALU_DEP_2)
	;; [unrolled: 8-line block ×6, first 2 shown]
	v_add_co_u32 v88, vcc_lo, v88, v48
	v_add_co_ci_u32_e32 v89, vcc_lo, 0, v89, vcc_lo
	global_load_b128 v[88:91], v[88:89], off
	s_waitcnt vmcnt(0)
	ds_store_b128 v81, v[88:91]
	v_add_co_u32 v88, vcc_lo, s2, v36
	v_add_co_ci_u32_e32 v89, vcc_lo, s3, v37, vcc_lo
	v_cmp_nlt_f32_e64 s2, 0x42b17218, v85
	s_delay_alu instid0(VALU_DEP_3) | instskip(NEXT) | instid1(VALU_DEP_3)
	v_add_co_u32 v88, vcc_lo, v88, v48
	v_add_co_ci_u32_e32 v89, vcc_lo, 0, v89, vcc_lo
	v_cmp_ngt_f32_e32 vcc_lo, 0xc2ce8ed0, v85
	v_cmp_ngt_f32_e64 s3, 0xc2ce8ed0, v86
	global_load_b128 v[88:91], v[88:89], off
	s_waitcnt vmcnt(0)
	ds_store_b128 v82, v[88:91]
	v_mul_f32_e32 v88, 0x3fb8aa3b, v85
	s_waitcnt lgkmcnt(0)
	s_barrier
	buffer_gl0_inv
	v_fma_f32 v89, 0x3fb8aa3b, v85, -v88
	s_delay_alu instid0(VALU_DEP_1) | instskip(SKIP_1) | instid1(VALU_DEP_1)
	v_fmac_f32_e32 v89, 0x32a5705f, v85
	v_rndne_f32_e32 v85, v88
	v_sub_f32_e32 v88, v88, v85
	v_cvt_i32_f32_e32 v85, v85
	s_delay_alu instid0(VALU_DEP_2) | instskip(NEXT) | instid1(VALU_DEP_1)
	v_dual_add_f32 v88, v88, v89 :: v_dual_mul_f32 v89, 0x3fb8aa3b, v86
	v_exp_f32_e32 v88, v88
	s_delay_alu instid0(VALU_DEP_1) | instskip(SKIP_1) | instid1(VALU_DEP_1)
	v_fma_f32 v90, 0x3fb8aa3b, v86, -v89
	v_rndne_f32_e32 v91, v89
	v_dual_fmac_f32 v90, 0x32a5705f, v86 :: v_dual_sub_f32 v89, v89, v91
	s_waitcnt_depctr 0xfff
	v_ldexp_f32 v85, v88, v85
	v_cvt_i32_f32_e32 v88, v91
	v_add_f32_e32 v89, v89, v90
	s_delay_alu instid0(VALU_DEP_3) | instskip(NEXT) | instid1(VALU_DEP_2)
	v_cndmask_b32_e32 v85, 0, v85, vcc_lo
	v_exp_f32_e32 v86, v89
	s_delay_alu instid0(VALU_DEP_1) | instskip(NEXT) | instid1(VALU_DEP_1)
	v_cndmask_b32_e64 v85, 0x7f800000, v85, s2
	v_cvt_f16_f32_e32 v96, v85
	v_fma_f32 v45, v45, v85, v87
	s_waitcnt_depctr 0xfff
	v_ldexp_f32 v86, v86, v88
	ds_load_2addr_b64 v[88:91], v46 offset1:32
	ds_load_b128 v[92:95], v64
	v_pk_mul_f16 v58, v96, v58 op_sel_hi:[0,1]
	v_pk_mul_f16 v59, v96, v59 op_sel_hi:[0,1]
	v_cndmask_b32_e64 v86, 0, v86, s3
	s_delay_alu instid0(VALU_DEP_1) | instskip(NEXT) | instid1(VALU_DEP_1)
	v_cndmask_b32_e64 v86, 0x7f800000, v86, s4
	v_cvt_f16_f32_e32 v97, v86
	v_fmac_f32_e32 v61, v84, v86
	s_delay_alu instid0(VALU_DEP_2)
	v_pk_mul_f16 v55, v97, v55 op_sel_hi:[0,1]
	v_pk_mul_f16 v53, v97, v53 op_sel_hi:[0,1]
	;; [unrolled: 1-line block ×3, first 2 shown]
	s_waitcnt lgkmcnt(0)
	v_pk_fma_f16 v58, v90, v92, v58 op_sel_hi:[1,0,1]
	v_pk_fma_f16 v59, v91, v92, v59 op_sel_hi:[1,0,1]
	v_pk_fma_f16 v98, v89, v92, v55 op_sel:[0,1,0]
	v_pk_fma_f16 v90, v90, v92, v53 op_sel:[0,1,0]
	;; [unrolled: 1-line block ×3, first 2 shown]
	v_pk_mul_f16 v52, v88, v92 op_sel:[0,1]
	v_pk_mul_f16 v53, v88, v92 op_sel_hi:[1,0]
	v_pk_mul_f16 v55, v89, v92 op_sel_hi:[1,0]
	s_delay_alu instid0(VALU_DEP_3) | instskip(NEXT) | instid1(VALU_DEP_3)
	v_pk_fma_f16 v49, v97, v49, v52 op_sel_hi:[0,1,1]
	v_pk_fma_f16 v88, v96, v54, v53 op_sel_hi:[0,1,1]
	s_delay_alu instid0(VALU_DEP_3)
	v_pk_fma_f16 v56, v96, v56, v55 op_sel_hi:[0,1,1]
	ds_load_2addr_b64 v[52:55], v46 offset0:64 offset1:96
	s_waitcnt lgkmcnt(0)
	v_pk_fma_f16 v89, v53, v93, v98 op_sel:[0,1,0]
	v_pk_fma_f16 v58, v54, v93, v58 op_sel_hi:[1,0,1]
	v_pk_fma_f16 v90, v54, v93, v90 op_sel:[0,1,0]
	v_pk_fma_f16 v59, v55, v93, v59 op_sel_hi:[1,0,1]
	v_pk_fma_f16 v91, v55, v93, v91 op_sel:[0,1,0]
	v_pk_fma_f16 v88, v52, v93, v88 op_sel_hi:[1,0,1]
	v_pk_fma_f16 v49, v52, v93, v49 op_sel:[0,1,0]
	v_pk_fma_f16 v56, v53, v93, v56 op_sel_hi:[1,0,1]
	ds_load_2addr_b64 v[52:55], v46 offset0:128 offset1:160
	s_waitcnt lgkmcnt(0)
	v_pk_fma_f16 v89, v53, v94, v89 op_sel:[0,1,0]
	v_pk_fma_f16 v58, v54, v94, v58 op_sel_hi:[1,0,1]
	v_pk_fma_f16 v90, v54, v94, v90 op_sel:[0,1,0]
	v_pk_fma_f16 v59, v55, v94, v59 op_sel_hi:[1,0,1]
	v_pk_fma_f16 v91, v55, v94, v91 op_sel:[0,1,0]
	v_pk_fma_f16 v88, v52, v94, v88 op_sel_hi:[1,0,1]
	v_pk_fma_f16 v49, v52, v94, v49 op_sel:[0,1,0]
	;; [unrolled: 10-line block ×3, first 2 shown]
	v_pk_fma_f16 v56, v53, v95, v56 op_sel_hi:[1,0,1]
	v_add_nc_u32_e32 v95, 0x800, v46
	ds_load_b128 v[52:55], v64 offset:16
	ds_load_2addr_b64 v[88:91], v95 offset1:32
	s_waitcnt lgkmcnt(0)
	v_pk_fma_f16 v92, v89, v52, v92 op_sel:[0,1,0]
	v_pk_fma_f16 v58, v90, v52, v58 op_sel_hi:[1,0,1]
	v_pk_fma_f16 v93, v90, v52, v93 op_sel:[0,1,0]
	v_pk_fma_f16 v59, v91, v52, v59 op_sel_hi:[1,0,1]
	;; [unrolled: 2-line block ×4, first 2 shown]
	ds_load_2addr_b64 v[88:91], v95 offset0:64 offset1:96
	s_waitcnt lgkmcnt(0)
	v_pk_fma_f16 v56, v89, v53, v92 op_sel:[0,1,0]
	v_pk_fma_f16 v58, v90, v53, v58 op_sel_hi:[1,0,1]
	v_pk_fma_f16 v92, v90, v53, v93 op_sel:[0,1,0]
	v_pk_fma_f16 v59, v91, v53, v59 op_sel_hi:[1,0,1]
	;; [unrolled: 2-line block ×3, first 2 shown]
	v_add_nc_u32_e32 v96, 0x1000, v46
	v_pk_fma_f16 v49, v88, v53, v49 op_sel:[0,1,0]
	v_pk_fma_f16 v52, v89, v53, v52 op_sel_hi:[1,0,1]
	ds_load_2addr_b64 v[88:91], v95 offset0:128 offset1:160
	s_waitcnt lgkmcnt(0)
	v_pk_fma_f16 v53, v89, v54, v56 op_sel:[0,1,0]
	v_pk_fma_f16 v56, v90, v54, v58 op_sel_hi:[1,0,1]
	v_pk_fma_f16 v58, v90, v54, v92 op_sel:[0,1,0]
	v_pk_fma_f16 v59, v91, v54, v59 op_sel_hi:[1,0,1]
	;; [unrolled: 2-line block ×4, first 2 shown]
	ds_load_2addr_b64 v[88:91], v95 offset0:192 offset1:224
	s_waitcnt lgkmcnt(0)
	v_pk_fma_f16 v94, v89, v55, v53 op_sel:[0,1,0]
	v_pk_fma_f16 v56, v90, v55, v56 op_sel_hi:[1,0,1]
	v_pk_fma_f16 v58, v90, v55, v58 op_sel:[0,1,0]
	v_pk_fma_f16 v59, v91, v55, v59 op_sel_hi:[1,0,1]
	;; [unrolled: 2-line block ×4, first 2 shown]
	ds_load_b128 v[52:55], v64 offset:32
	ds_load_2addr_b64 v[88:91], v96 offset1:32
	s_waitcnt lgkmcnt(0)
	v_pk_fma_f16 v94, v89, v52, v94 op_sel:[0,1,0]
	v_pk_fma_f16 v56, v90, v52, v56 op_sel_hi:[1,0,1]
	v_pk_fma_f16 v58, v90, v52, v58 op_sel:[0,1,0]
	v_pk_fma_f16 v59, v91, v52, v59 op_sel_hi:[1,0,1]
	v_pk_fma_f16 v92, v91, v52, v92 op_sel:[0,1,0]
	v_pk_fma_f16 v93, v88, v52, v93 op_sel_hi:[1,0,1]
	v_pk_fma_f16 v49, v88, v52, v49 op_sel:[0,1,0]
	v_pk_fma_f16 v52, v89, v52, v95 op_sel_hi:[1,0,1]
	ds_load_2addr_b64 v[88:91], v96 offset0:64 offset1:96
	s_waitcnt lgkmcnt(0)
	v_pk_fma_f16 v94, v89, v53, v94 op_sel:[0,1,0]
	v_pk_fma_f16 v56, v90, v53, v56 op_sel_hi:[1,0,1]
	v_pk_fma_f16 v58, v90, v53, v58 op_sel:[0,1,0]
	v_pk_fma_f16 v59, v91, v53, v59 op_sel_hi:[1,0,1]
	v_pk_fma_f16 v92, v91, v53, v92 op_sel:[0,1,0]
	v_pk_fma_f16 v93, v88, v53, v93 op_sel_hi:[1,0,1]
	v_pk_fma_f16 v49, v88, v53, v49 op_sel:[0,1,0]
	v_pk_fma_f16 v52, v89, v53, v52 op_sel_hi:[1,0,1]
	ds_load_2addr_b64 v[88:91], v96 offset0:128 offset1:160
	;; [unrolled: 10-line block ×3, first 2 shown]
	v_add_nc_u32_e32 v96, 0x1800, v46
	s_waitcnt lgkmcnt(0)
	v_pk_fma_f16 v94, v89, v55, v53 op_sel:[0,1,0]
	v_pk_fma_f16 v56, v90, v55, v56 op_sel_hi:[1,0,1]
	v_pk_fma_f16 v58, v90, v55, v58 op_sel:[0,1,0]
	v_pk_fma_f16 v59, v91, v55, v59 op_sel_hi:[1,0,1]
	;; [unrolled: 2-line block ×4, first 2 shown]
	ds_load_b128 v[52:55], v64 offset:48
	ds_load_2addr_b64 v[88:91], v96 offset1:32
	s_waitcnt lgkmcnt(0)
	v_pk_fma_f16 v94, v89, v52, v94 op_sel:[0,1,0]
	v_pk_fma_f16 v56, v90, v52, v56 op_sel_hi:[1,0,1]
	v_pk_fma_f16 v58, v90, v52, v58 op_sel:[0,1,0]
	v_pk_fma_f16 v59, v91, v52, v59 op_sel_hi:[1,0,1]
	v_pk_fma_f16 v92, v91, v52, v92 op_sel:[0,1,0]
	v_pk_fma_f16 v93, v88, v52, v93 op_sel_hi:[1,0,1]
	v_pk_fma_f16 v49, v88, v52, v49 op_sel:[0,1,0]
	v_pk_fma_f16 v52, v89, v52, v95 op_sel_hi:[1,0,1]
	ds_load_2addr_b64 v[88:91], v96 offset0:64 offset1:96
	s_waitcnt lgkmcnt(0)
	v_pk_fma_f16 v94, v89, v53, v94 op_sel:[0,1,0]
	v_pk_fma_f16 v56, v90, v53, v56 op_sel_hi:[1,0,1]
	v_pk_fma_f16 v58, v90, v53, v58 op_sel:[0,1,0]
	v_pk_fma_f16 v59, v91, v53, v59 op_sel_hi:[1,0,1]
	v_pk_fma_f16 v92, v91, v53, v92 op_sel:[0,1,0]
	v_pk_fma_f16 v93, v88, v53, v93 op_sel_hi:[1,0,1]
	v_pk_fma_f16 v49, v88, v53, v49 op_sel:[0,1,0]
	v_pk_fma_f16 v52, v89, v53, v52 op_sel_hi:[1,0,1]
	ds_load_2addr_b64 v[88:91], v96 offset0:128 offset1:160
	s_waitcnt lgkmcnt(0)
	v_pk_fma_f16 v53, v89, v54, v94 op_sel:[0,1,0]
	v_pk_fma_f16 v56, v90, v54, v56 op_sel_hi:[1,0,1]
	v_pk_fma_f16 v58, v90, v54, v58 op_sel:[0,1,0]
	v_pk_fma_f16 v59, v91, v54, v59 op_sel_hi:[1,0,1]
	v_pk_fma_f16 v92, v91, v54, v92 op_sel:[0,1,0]
	v_pk_fma_f16 v93, v88, v54, v93 op_sel_hi:[1,0,1]
	v_pk_fma_f16 v49, v88, v54, v49 op_sel:[0,1,0]
	v_pk_fma_f16 v52, v89, v54, v52 op_sel_hi:[1,0,1]
	ds_load_2addr_b64 v[88:91], v96 offset0:192 offset1:224
	v_add_nc_u32_e32 v96, 0x2000, v46
	s_waitcnt lgkmcnt(0)
	v_pk_fma_f16 v94, v89, v55, v53 op_sel:[0,1,0]
	v_pk_fma_f16 v56, v90, v55, v56 op_sel_hi:[1,0,1]
	v_pk_fma_f16 v58, v90, v55, v58 op_sel:[0,1,0]
	v_pk_fma_f16 v59, v91, v55, v59 op_sel_hi:[1,0,1]
	v_pk_fma_f16 v92, v91, v55, v92 op_sel:[0,1,0]
	v_pk_fma_f16 v93, v88, v55, v93 op_sel_hi:[1,0,1]
	v_pk_fma_f16 v49, v88, v55, v49 op_sel:[0,1,0]
	v_pk_fma_f16 v95, v89, v55, v52 op_sel_hi:[1,0,1]
	ds_load_2addr_b64 v[52:55], v96 offset1:32
	ds_load_b128 v[88:91], v64 offset:64
	s_waitcnt lgkmcnt(0)
	v_pk_fma_f16 v94, v53, v88, v94 op_sel:[0,1,0]
	v_pk_fma_f16 v56, v54, v88, v56 op_sel_hi:[1,0,1]
	v_pk_fma_f16 v58, v54, v88, v58 op_sel:[0,1,0]
	v_pk_fma_f16 v59, v55, v88, v59 op_sel_hi:[1,0,1]
	v_pk_fma_f16 v92, v55, v88, v92 op_sel:[0,1,0]
	v_pk_fma_f16 v93, v52, v88, v93 op_sel_hi:[1,0,1]
	v_pk_fma_f16 v49, v52, v88, v49 op_sel:[0,1,0]
	v_pk_fma_f16 v88, v53, v88, v95 op_sel_hi:[1,0,1]
	ds_load_2addr_b64 v[52:55], v96 offset0:64 offset1:96
	s_waitcnt lgkmcnt(0)
	v_pk_fma_f16 v94, v53, v89, v94 op_sel:[0,1,0]
	v_pk_fma_f16 v56, v54, v89, v56 op_sel_hi:[1,0,1]
	v_pk_fma_f16 v58, v54, v89, v58 op_sel:[0,1,0]
	v_pk_fma_f16 v59, v55, v89, v59 op_sel_hi:[1,0,1]
	v_pk_fma_f16 v92, v55, v89, v92 op_sel:[0,1,0]
	v_pk_fma_f16 v93, v52, v89, v93 op_sel_hi:[1,0,1]
	v_pk_fma_f16 v49, v52, v89, v49 op_sel:[0,1,0]
	v_pk_fma_f16 v88, v53, v89, v88 op_sel_hi:[1,0,1]
	ds_load_2addr_b64 v[52:55], v96 offset0:128 offset1:160
	s_waitcnt lgkmcnt(0)
	v_pk_fma_f16 v89, v53, v90, v94 op_sel:[0,1,0]
	v_pk_fma_f16 v56, v54, v90, v56 op_sel_hi:[1,0,1]
	v_pk_fma_f16 v58, v54, v90, v58 op_sel:[0,1,0]
	v_pk_fma_f16 v59, v55, v90, v59 op_sel_hi:[1,0,1]
	v_pk_fma_f16 v92, v55, v90, v92 op_sel:[0,1,0]
	v_pk_fma_f16 v93, v52, v90, v93 op_sel_hi:[1,0,1]
	v_pk_fma_f16 v49, v52, v90, v49 op_sel:[0,1,0]
	v_pk_fma_f16 v88, v53, v90, v88 op_sel_hi:[1,0,1]
	ds_load_2addr_b64 v[52:55], v96 offset0:192 offset1:224
	v_add_nc_u32_e32 v96, 0x2800, v46
	s_waitcnt lgkmcnt(0)
	v_pk_fma_f16 v94, v53, v91, v89 op_sel:[0,1,0]
	v_pk_fma_f16 v56, v54, v91, v56 op_sel_hi:[1,0,1]
	v_pk_fma_f16 v58, v54, v91, v58 op_sel:[0,1,0]
	v_pk_fma_f16 v59, v55, v91, v59 op_sel_hi:[1,0,1]
	v_pk_fma_f16 v92, v55, v91, v92 op_sel:[0,1,0]
	v_pk_fma_f16 v93, v52, v91, v93 op_sel_hi:[1,0,1]
	v_pk_fma_f16 v49, v52, v91, v49 op_sel:[0,1,0]
	v_pk_fma_f16 v95, v53, v91, v88 op_sel_hi:[1,0,1]
	ds_load_2addr_b64 v[52:55], v96 offset1:32
	ds_load_b128 v[88:91], v64 offset:80
	;; [unrolled: 42-line block ×4, first 2 shown]
	s_waitcnt lgkmcnt(0)
	v_pk_fma_f16 v94, v53, v88, v94 op_sel:[0,1,0]
	v_pk_fma_f16 v56, v54, v88, v56 op_sel_hi:[1,0,1]
	v_pk_fma_f16 v58, v54, v88, v58 op_sel:[0,1,0]
	v_pk_fma_f16 v59, v55, v88, v59 op_sel_hi:[1,0,1]
	;; [unrolled: 2-line block ×4, first 2 shown]
	ds_load_2addr_b64 v[52:55], v96 offset0:64 offset1:96
	s_waitcnt lgkmcnt(0)
	v_pk_fma_f16 v94, v53, v89, v94 op_sel:[0,1,0]
	v_pk_fma_f16 v56, v54, v89, v56 op_sel_hi:[1,0,1]
	v_pk_fma_f16 v58, v54, v89, v58 op_sel:[0,1,0]
	v_pk_fma_f16 v59, v55, v89, v59 op_sel_hi:[1,0,1]
	;; [unrolled: 2-line block ×4, first 2 shown]
	ds_load_2addr_b64 v[52:55], v96 offset0:128 offset1:160
	s_waitcnt lgkmcnt(0)
	v_pk_fma_f16 v89, v53, v90, v94 op_sel:[0,1,0]
	v_pk_fma_f16 v97, v55, v90, v92 op_sel:[0,1,0]
	v_pk_fma_f16 v98, v52, v90, v93 op_sel_hi:[1,0,1]
	ds_load_2addr_b64 v[92:95], v96 offset0:192 offset1:224
	s_waitcnt lgkmcnt(0)
	s_barrier
	buffer_gl0_inv
	s_load_b32 s2, s[6:7], 0x4
	v_pk_fma_f16 v56, v54, v90, v56 op_sel_hi:[1,0,1]
	v_pk_fma_f16 v54, v54, v90, v58 op_sel:[0,1,0]
	v_pk_fma_f16 v59, v55, v90, v59 op_sel_hi:[1,0,1]
	v_pk_fma_f16 v49, v52, v90, v49 op_sel:[0,1,0]
	;; [unrolled: 2-line block ×4, first 2 shown]
	v_pk_fma_f16 v59, v95, v91, v59 op_sel_hi:[1,0,1]
	s_waitcnt lgkmcnt(0)
	s_lshl_b32 s2, s2, 5
	v_pk_fma_f16 v52, v95, v91, v97 op_sel:[0,1,0]
	v_pk_fma_f16 v54, v92, v91, v98 op_sel_hi:[1,0,1]
	v_pk_fma_f16 v49, v92, v91, v49 op_sel:[0,1,0]
	v_pk_fma_f16 v56, v93, v91, v88 op_sel_hi:[1,0,1]
	s_add_i32 s18, s2, s18
	s_delay_alu instid0(SALU_CYCLE_1)
	s_cmp_lt_i32 s18, s10
	s_cbranch_scc0 .LBB49_16
; %bb.14:                               ;   in Loop: Header=BB49_8 Depth=1
	v_dual_mov_b32 v85, v2 :: v_dual_mov_b32 v86, v3
	v_mov_b32_e32 v84, v61
	s_branch .LBB49_8
.LBB49_15:
	s_mov_b32 s27, s26
	s_delay_alu instid0(SALU_CYCLE_1)
	v_dual_mov_b32 v2, s26 :: v_dual_mov_b32 v3, s27
	v_dual_mov_b32 v45, 0 :: v_dual_mov_b32 v56, 0
	v_dual_mov_b32 v58, 0 :: v_dual_mov_b32 v59, 0
	v_dual_mov_b32 v49, 0 :: v_dual_mov_b32 v52, 0
	v_mov_b32_e32 v55, 0
	v_mov_b32_e32 v53, 0
.LBB49_16:
	s_cmp_gt_i32 s42, s18
	s_cbranch_scc1 .LBB49_18
; %bb.17:
	v_mbcnt_lo_u32_b32 v6, -1, 0
	v_mov_b32_e32 v18, 32
	s_delay_alu instid0(VALU_DEP_2)
	v_xor_b32_e32 v15, 16, v6
	v_xor_b32_e32 v14, 8, v6
	;; [unrolled: 1-line block ×5, first 2 shown]
	s_cbranch_execz .LBB49_19
	s_branch .LBB49_29
.LBB49_18:
                                        ; implicit-def: $vgpr6
                                        ; implicit-def: $vgpr18
                                        ; implicit-def: $vgpr15
                                        ; implicit-def: $vgpr14
                                        ; implicit-def: $vgpr16
                                        ; implicit-def: $vgpr17
                                        ; implicit-def: $vgpr19
.LBB49_19:
	s_mul_hi_i32 s3, s18, s8
	s_mul_i32 s2, s18, s8
	v_lshlrev_b64 v[5:6], 2, v[4:5]
	s_lshl_b64 s[2:3], s[2:3], 2
	s_sub_i32 s19, s42, s18
	s_add_u32 s20, s5, s2
	s_addc_u32 s9, s9, s3
	s_mov_b32 s4, 0
	v_add_co_u32 v5, vcc_lo, s20, v5
	v_add_co_ci_u32_e32 v6, vcc_lo, s9, v6, vcc_lo
	v_cmp_gt_i32_e64 s2, s19, v47
	s_delay_alu instid0(VALU_DEP_3) | instskip(NEXT) | instid1(VALU_DEP_3)
	v_add_co_u32 v5, vcc_lo, v5, v48
	v_add_co_ci_u32_e32 v6, vcc_lo, 0, v6, vcc_lo
	s_mov_b32 s6, s4
	s_mov_b64 s[10:11], src_private_base
	s_mov_b32 s5, s4
	v_dual_mov_b32 v14, 0 :: v_dual_mov_b32 v21, s6
	v_dual_mov_b32 v20, s5 :: v_dual_mov_b32 v19, s4
	v_cndmask_b32_e64 v6, s11, v6, s2
	v_cndmask_b32_e64 v5, 0, v5, s2
	s_clause 0x1
	scratch_store_b32 off, v14, off
	scratch_store_b96 off, v[19:21], off offset:4
	s_lshl_b32 s10, s8, 2
	v_add_nc_u32_e32 v7, 4, v47
	flat_load_b128 v[8:11], v[5:6]
	v_add_nc_u32_e32 v4, s10, v4
	v_mad_u32_u24 v22, 0x210, v47, v48
	s_clause 0x1
	scratch_store_b32 off, v14, off
	scratch_store_b96 off, v[19:21], off offset:4
	v_cmp_gt_i32_e64 s3, s19, v7
	s_cmp_lg_u64 s[40:41], 0
	v_ashrrev_i32_e32 v5, 31, v4
	s_delay_alu instid0(VALU_DEP_1) | instskip(SKIP_1) | instid1(VALU_DEP_2)
	v_lshlrev_b64 v[5:6], 2, v[4:5]
	v_add_nc_u32_e32 v4, s10, v4
	v_add_co_u32 v5, vcc_lo, s20, v5
	s_delay_alu instid0(VALU_DEP_3) | instskip(NEXT) | instid1(VALU_DEP_2)
	v_add_co_ci_u32_e32 v6, vcc_lo, s9, v6, vcc_lo
	v_add_co_u32 v5, vcc_lo, v5, v48
	s_delay_alu instid0(VALU_DEP_2) | instskip(NEXT) | instid1(VALU_DEP_2)
	v_add_co_ci_u32_e32 v6, vcc_lo, 0, v6, vcc_lo
	v_cndmask_b32_e64 v5, 0, v5, s3
	s_delay_alu instid0(VALU_DEP_2)
	v_cndmask_b32_e64 v6, s11, v6, s3
	s_waitcnt vmcnt(0) lgkmcnt(0)
	ds_store_b128 v22, v[8:11]
	flat_load_b128 v[9:12], v[5:6]
	v_ashrrev_i32_e32 v5, 31, v4
	v_add_nc_u32_e32 v8, 8, v47
	s_clause 0x1
	scratch_store_b32 off, v14, off
	scratch_store_b96 off, v[19:21], off offset:4
	v_lshlrev_b64 v[5:6], 2, v[4:5]
	v_cmp_gt_i32_e64 s4, s19, v8
	v_add_nc_u32_e32 v4, s10, v4
	s_delay_alu instid0(VALU_DEP_3) | instskip(NEXT) | instid1(VALU_DEP_4)
	v_add_co_u32 v5, vcc_lo, s20, v5
	v_add_co_ci_u32_e32 v6, vcc_lo, s9, v6, vcc_lo
	s_delay_alu instid0(VALU_DEP_2) | instskip(NEXT) | instid1(VALU_DEP_2)
	v_add_co_u32 v5, vcc_lo, v5, v48
	v_add_co_ci_u32_e32 v6, vcc_lo, 0, v6, vcc_lo
	s_delay_alu instid0(VALU_DEP_2) | instskip(NEXT) | instid1(VALU_DEP_2)
	v_cndmask_b32_e64 v5, 0, v5, s4
	v_cndmask_b32_e64 v6, s11, v6, s4
	s_waitcnt vmcnt(0) lgkmcnt(0)
	ds_store_b128 v22, v[9:12] offset:2112
	flat_load_b128 v[10:13], v[5:6]
	v_ashrrev_i32_e32 v5, 31, v4
	v_add_nc_u32_e32 v9, 12, v47
	s_clause 0x1
	scratch_store_b32 off, v14, off
	scratch_store_b96 off, v[19:21], off offset:4
	v_lshlrev_b64 v[5:6], 2, v[4:5]
	v_cmp_gt_i32_e64 s5, s19, v9
	v_add_nc_u32_e32 v4, s10, v4
	s_delay_alu instid0(VALU_DEP_3) | instskip(NEXT) | instid1(VALU_DEP_4)
	v_add_co_u32 v5, vcc_lo, s20, v5
	v_add_co_ci_u32_e32 v6, vcc_lo, s9, v6, vcc_lo
	s_delay_alu instid0(VALU_DEP_2) | instskip(NEXT) | instid1(VALU_DEP_2)
	v_add_co_u32 v5, vcc_lo, v5, v48
	v_add_co_ci_u32_e32 v6, vcc_lo, 0, v6, vcc_lo
	s_delay_alu instid0(VALU_DEP_2) | instskip(NEXT) | instid1(VALU_DEP_2)
	v_cndmask_b32_e64 v5, 0, v5, s5
	v_cndmask_b32_e64 v6, s11, v6, s5
	s_waitcnt vmcnt(0) lgkmcnt(0)
	ds_store_b128 v22, v[10:13] offset:4224
	flat_load_b128 v[15:18], v[5:6]
	v_ashrrev_i32_e32 v5, 31, v4
	v_add_nc_u32_e32 v10, 16, v47
	s_clause 0x1
	scratch_store_b32 off, v14, off
	scratch_store_b96 off, v[19:21], off offset:4
	v_add_nc_u32_e32 v11, 20, v47
	v_add_nc_u32_e32 v12, 24, v47
	v_lshlrev_b64 v[5:6], 2, v[4:5]
	v_cmp_gt_i32_e64 s6, s19, v10
	v_add_nc_u32_e32 v4, s10, v4
	v_cmp_gt_i32_e64 s7, s19, v11
	v_cmp_gt_i32_e64 s8, s19, v12
	v_mov_b32_e32 v13, 0
	v_add_co_u32 v5, vcc_lo, s20, v5
	v_add_co_ci_u32_e32 v6, vcc_lo, s9, v6, vcc_lo
	s_delay_alu instid0(VALU_DEP_2) | instskip(NEXT) | instid1(VALU_DEP_2)
	v_add_co_u32 v5, vcc_lo, v5, v48
	v_add_co_ci_u32_e32 v6, vcc_lo, 0, v6, vcc_lo
	s_delay_alu instid0(VALU_DEP_2) | instskip(NEXT) | instid1(VALU_DEP_2)
	v_cndmask_b32_e64 v5, 0, v5, s6
	v_cndmask_b32_e64 v6, s11, v6, s6
	s_waitcnt vmcnt(0) lgkmcnt(0)
	ds_store_b128 v22, v[15:18] offset:6336
	flat_load_b128 v[15:18], v[5:6]
	v_ashrrev_i32_e32 v5, 31, v4
	s_clause 0x1
	scratch_store_b32 off, v14, off
	scratch_store_b96 off, v[19:21], off offset:4
	v_lshlrev_b64 v[5:6], 2, v[4:5]
	v_add_nc_u32_e32 v4, s10, v4
	s_delay_alu instid0(VALU_DEP_2) | instskip(NEXT) | instid1(VALU_DEP_3)
	v_add_co_u32 v5, vcc_lo, s20, v5
	v_add_co_ci_u32_e32 v6, vcc_lo, s9, v6, vcc_lo
	s_delay_alu instid0(VALU_DEP_2) | instskip(NEXT) | instid1(VALU_DEP_2)
	v_add_co_u32 v5, vcc_lo, v5, v48
	v_add_co_ci_u32_e32 v6, vcc_lo, 0, v6, vcc_lo
	s_delay_alu instid0(VALU_DEP_2) | instskip(NEXT) | instid1(VALU_DEP_2)
	v_cndmask_b32_e64 v5, 0, v5, s7
	v_cndmask_b32_e64 v6, s11, v6, s7
	s_waitcnt vmcnt(0) lgkmcnt(0)
	ds_store_b128 v22, v[15:18] offset:8448
	flat_load_b128 v[15:18], v[5:6]
	v_ashrrev_i32_e32 v5, 31, v4
	s_clause 0x1
	scratch_store_b32 off, v14, off
	scratch_store_b96 off, v[19:21], off offset:4
	v_lshlrev_b64 v[5:6], 2, v[4:5]
	v_add_nc_u32_e32 v4, s10, v4
	v_cmp_gt_i32_e64 s10, s19, v43
	s_delay_alu instid0(VALU_DEP_3) | instskip(NEXT) | instid1(VALU_DEP_4)
	v_add_co_u32 v5, vcc_lo, s20, v5
	v_add_co_ci_u32_e32 v6, vcc_lo, s9, v6, vcc_lo
	s_delay_alu instid0(VALU_DEP_2) | instskip(NEXT) | instid1(VALU_DEP_2)
	v_add_co_u32 v5, vcc_lo, v5, v48
	v_add_co_ci_u32_e32 v6, vcc_lo, 0, v6, vcc_lo
	s_delay_alu instid0(VALU_DEP_2) | instskip(NEXT) | instid1(VALU_DEP_2)
	v_cndmask_b32_e64 v5, 0, v5, s8
	v_cndmask_b32_e64 v6, s11, v6, s8
	s_waitcnt vmcnt(0) lgkmcnt(0)
	ds_store_b128 v22, v[15:18] offset:10560
	flat_load_b128 v[15:18], v[5:6]
	v_ashrrev_i32_e32 v5, 31, v4
	v_add_nc_u32_e32 v6, 28, v47
	s_clause 0x1
	scratch_store_b32 off, v14, off
	scratch_store_b96 off, v[19:21], off offset:4
	v_mov_b32_e32 v20, 0
	v_lshlrev_b64 v[4:5], 2, v[4:5]
	s_delay_alu instid0(VALU_DEP_1) | instskip(NEXT) | instid1(VALU_DEP_2)
	v_add_co_u32 v4, vcc_lo, s20, v4
	v_add_co_ci_u32_e32 v5, vcc_lo, s9, v5, vcc_lo
	v_cmp_gt_i32_e64 s9, s19, v6
	s_delay_alu instid0(VALU_DEP_3) | instskip(NEXT) | instid1(VALU_DEP_3)
	v_add_co_u32 v4, vcc_lo, v4, v48
	v_add_co_ci_u32_e32 v5, vcc_lo, 0, v5, vcc_lo
	s_cselect_b32 s20, -1, 0
	s_delay_alu instid0(VALU_DEP_2) | instskip(NEXT) | instid1(VALU_DEP_2)
	v_cndmask_b32_e64 v4, 0, v4, s9
	v_cndmask_b32_e64 v5, s11, v5, s9
	s_waitcnt vmcnt(0) lgkmcnt(0)
	ds_store_b128 v22, v[15:18] offset:12672
	flat_load_b128 v[15:18], v[4:5]
	v_lshlrev_b32_e32 v4, 10, v47
	v_add_nc_u32_e32 v5, s18, v43
	s_waitcnt vmcnt(0) lgkmcnt(0)
	ds_store_b128 v22, v[15:18] offset:14784
	s_waitcnt lgkmcnt(0)
	s_waitcnt_vscnt null, 0x0
	s_barrier
	buffer_gl0_inv
	ds_load_b128 v[15:18], v60
	ds_load_b128 v[21:24], v4 offset:16896
	ds_load_b128 v[25:28], v4 offset:17408
	s_waitcnt lgkmcnt(1)
	;;#ASMSTART
	v_dot2_f32_f16 v20, v15, v21, v20
	;;#ASMEND
	;;#ASMSTART
	v_dot2_f32_f16 v20, v16, v22, v20
	;;#ASMEND
	;;#ASMSTART
	v_dot2_f32_f16 v20, v17, v23, v20
	;;#ASMEND
	;;#ASMSTART
	v_dot2_f32_f16 v20, v18, v24, v20
	;;#ASMEND
	s_waitcnt lgkmcnt(0)
	;;#ASMSTART
	v_dot2_f32_f16 v13, v15, v25, v13
	;;#ASMEND
	;;#ASMSTART
	v_dot2_f32_f16 v13, v16, v26, v13
	;;#ASMEND
	;;#ASMSTART
	v_dot2_f32_f16 v13, v17, v27, v13
	;;#ASMEND
	;;#ASMSTART
	v_dot2_f32_f16 v13, v18, v28, v13
	;;#ASMEND
	ds_load_b128 v[15:18], v60 offset:16
	ds_load_b128 v[21:24], v4 offset:16912
	ds_load_b128 v[25:28], v4 offset:17424
	s_waitcnt lgkmcnt(1)
	;;#ASMSTART
	v_dot2_f32_f16 v20, v15, v21, v20
	;;#ASMEND
	;;#ASMSTART
	v_dot2_f32_f16 v20, v16, v22, v20
	;;#ASMEND
	;;#ASMSTART
	v_dot2_f32_f16 v20, v17, v23, v20
	;;#ASMEND
	;;#ASMSTART
	v_dot2_f32_f16 v20, v18, v24, v20
	;;#ASMEND
	s_waitcnt lgkmcnt(0)
	;;#ASMSTART
	v_dot2_f32_f16 v13, v15, v25, v13
	;;#ASMEND
	;;#ASMSTART
	v_dot2_f32_f16 v13, v16, v26, v13
	;;#ASMEND
	;;#ASMSTART
	v_dot2_f32_f16 v13, v17, v27, v13
	;;#ASMEND
	;;#ASMSTART
	v_dot2_f32_f16 v13, v18, v28, v13
	;;#ASMEND
	ds_load_b128 v[15:18], v60 offset:32
	ds_load_b128 v[21:24], v4 offset:16928
	ds_load_b128 v[25:28], v4 offset:17440
	s_waitcnt lgkmcnt(1)
	;;#ASMSTART
	v_dot2_f32_f16 v20, v15, v21, v20
	;;#ASMEND
	;;#ASMSTART
	v_dot2_f32_f16 v20, v16, v22, v20
	;;#ASMEND
	;;#ASMSTART
	v_dot2_f32_f16 v20, v17, v23, v20
	;;#ASMEND
	;;#ASMSTART
	v_dot2_f32_f16 v20, v18, v24, v20
	;;#ASMEND
	s_waitcnt lgkmcnt(0)
	;;#ASMSTART
	v_dot2_f32_f16 v13, v15, v25, v13
	;;#ASMEND
	;;#ASMSTART
	v_dot2_f32_f16 v13, v16, v26, v13
	;;#ASMEND
	;;#ASMSTART
	v_dot2_f32_f16 v13, v17, v27, v13
	;;#ASMEND
	;;#ASMSTART
	v_dot2_f32_f16 v13, v18, v28, v13
	;;#ASMEND
	ds_load_b128 v[15:18], v60 offset:48
	ds_load_b128 v[21:24], v4 offset:16944
	ds_load_b128 v[25:28], v4 offset:17456
	s_waitcnt lgkmcnt(1)
	;;#ASMSTART
	v_dot2_f32_f16 v20, v15, v21, v20
	;;#ASMEND
	;;#ASMSTART
	v_dot2_f32_f16 v20, v16, v22, v20
	;;#ASMEND
	;;#ASMSTART
	v_dot2_f32_f16 v20, v17, v23, v20
	;;#ASMEND
	;;#ASMSTART
	v_dot2_f32_f16 v20, v18, v24, v20
	;;#ASMEND
	s_waitcnt lgkmcnt(0)
	;;#ASMSTART
	v_dot2_f32_f16 v13, v15, v25, v13
	;;#ASMEND
	;;#ASMSTART
	v_dot2_f32_f16 v13, v16, v26, v13
	;;#ASMEND
	;;#ASMSTART
	v_dot2_f32_f16 v13, v17, v27, v13
	;;#ASMEND
	;;#ASMSTART
	v_dot2_f32_f16 v13, v18, v28, v13
	;;#ASMEND
	ds_load_b128 v[15:18], v60 offset:64
	ds_load_b128 v[21:24], v4 offset:16960
	ds_load_b128 v[25:28], v4 offset:17472
	s_waitcnt lgkmcnt(1)
	;;#ASMSTART
	v_dot2_f32_f16 v20, v15, v21, v20
	;;#ASMEND
	;;#ASMSTART
	v_dot2_f32_f16 v20, v16, v22, v20
	;;#ASMEND
	;;#ASMSTART
	v_dot2_f32_f16 v20, v17, v23, v20
	;;#ASMEND
	;;#ASMSTART
	v_dot2_f32_f16 v20, v18, v24, v20
	;;#ASMEND
	s_waitcnt lgkmcnt(0)
	;;#ASMSTART
	v_dot2_f32_f16 v13, v15, v25, v13
	;;#ASMEND
	;;#ASMSTART
	v_dot2_f32_f16 v13, v16, v26, v13
	;;#ASMEND
	;;#ASMSTART
	v_dot2_f32_f16 v13, v17, v27, v13
	;;#ASMEND
	;;#ASMSTART
	v_dot2_f32_f16 v13, v18, v28, v13
	;;#ASMEND
	ds_load_b128 v[15:18], v60 offset:80
	ds_load_b128 v[21:24], v4 offset:16976
	ds_load_b128 v[25:28], v4 offset:17488
	s_waitcnt lgkmcnt(1)
	;;#ASMSTART
	v_dot2_f32_f16 v20, v15, v21, v20
	;;#ASMEND
	;;#ASMSTART
	v_dot2_f32_f16 v20, v16, v22, v20
	;;#ASMEND
	;;#ASMSTART
	v_dot2_f32_f16 v20, v17, v23, v20
	;;#ASMEND
	;;#ASMSTART
	v_dot2_f32_f16 v20, v18, v24, v20
	;;#ASMEND
	s_waitcnt lgkmcnt(0)
	;;#ASMSTART
	v_dot2_f32_f16 v13, v15, v25, v13
	;;#ASMEND
	;;#ASMSTART
	v_dot2_f32_f16 v13, v16, v26, v13
	;;#ASMEND
	;;#ASMSTART
	v_dot2_f32_f16 v13, v17, v27, v13
	;;#ASMEND
	;;#ASMSTART
	v_dot2_f32_f16 v13, v18, v28, v13
	;;#ASMEND
	ds_load_b128 v[15:18], v60 offset:96
	ds_load_b128 v[21:24], v4 offset:16992
	ds_load_b128 v[25:28], v4 offset:17504
	s_waitcnt lgkmcnt(1)
	;;#ASMSTART
	v_dot2_f32_f16 v20, v15, v21, v20
	;;#ASMEND
	;;#ASMSTART
	v_dot2_f32_f16 v20, v16, v22, v20
	;;#ASMEND
	;;#ASMSTART
	v_dot2_f32_f16 v20, v17, v23, v20
	;;#ASMEND
	;;#ASMSTART
	v_dot2_f32_f16 v20, v18, v24, v20
	;;#ASMEND
	s_waitcnt lgkmcnt(0)
	;;#ASMSTART
	v_dot2_f32_f16 v13, v15, v25, v13
	;;#ASMEND
	;;#ASMSTART
	v_dot2_f32_f16 v13, v16, v26, v13
	;;#ASMEND
	;;#ASMSTART
	v_dot2_f32_f16 v13, v17, v27, v13
	;;#ASMEND
	;;#ASMSTART
	v_dot2_f32_f16 v13, v18, v28, v13
	;;#ASMEND
	ds_load_b128 v[15:18], v60 offset:112
	ds_load_b128 v[21:24], v4 offset:17008
	ds_load_b128 v[25:28], v4 offset:17520
	s_waitcnt lgkmcnt(1)
	;;#ASMSTART
	v_dot2_f32_f16 v20, v15, v21, v20
	;;#ASMEND
	;;#ASMSTART
	v_dot2_f32_f16 v20, v16, v22, v20
	;;#ASMEND
	;;#ASMSTART
	v_dot2_f32_f16 v20, v17, v23, v20
	;;#ASMEND
	;;#ASMSTART
	v_dot2_f32_f16 v20, v18, v24, v20
	;;#ASMEND
	s_waitcnt lgkmcnt(0)
	;;#ASMSTART
	v_dot2_f32_f16 v13, v15, v25, v13
	;;#ASMEND
	;;#ASMSTART
	v_dot2_f32_f16 v13, v16, v26, v13
	;;#ASMEND
	;;#ASMSTART
	v_dot2_f32_f16 v13, v17, v27, v13
	;;#ASMEND
	;;#ASMSTART
	v_dot2_f32_f16 v13, v18, v28, v13
	;;#ASMEND
	ds_load_b128 v[15:18], v60 offset:128
	ds_load_b128 v[21:24], v4 offset:17024
	ds_load_b128 v[25:28], v4 offset:17536
	s_waitcnt lgkmcnt(1)
	;;#ASMSTART
	v_dot2_f32_f16 v20, v15, v21, v20
	;;#ASMEND
	;;#ASMSTART
	v_dot2_f32_f16 v20, v16, v22, v20
	;;#ASMEND
	;;#ASMSTART
	v_dot2_f32_f16 v20, v17, v23, v20
	;;#ASMEND
	;;#ASMSTART
	v_dot2_f32_f16 v20, v18, v24, v20
	;;#ASMEND
	s_waitcnt lgkmcnt(0)
	;;#ASMSTART
	v_dot2_f32_f16 v13, v15, v25, v13
	;;#ASMEND
	;;#ASMSTART
	v_dot2_f32_f16 v13, v16, v26, v13
	;;#ASMEND
	;;#ASMSTART
	v_dot2_f32_f16 v13, v17, v27, v13
	;;#ASMEND
	;;#ASMSTART
	v_dot2_f32_f16 v13, v18, v28, v13
	;;#ASMEND
	ds_load_b128 v[15:18], v60 offset:144
	ds_load_b128 v[21:24], v4 offset:17040
	ds_load_b128 v[25:28], v4 offset:17552
	s_waitcnt lgkmcnt(1)
	;;#ASMSTART
	v_dot2_f32_f16 v20, v15, v21, v20
	;;#ASMEND
	;;#ASMSTART
	v_dot2_f32_f16 v20, v16, v22, v20
	;;#ASMEND
	;;#ASMSTART
	v_dot2_f32_f16 v20, v17, v23, v20
	;;#ASMEND
	;;#ASMSTART
	v_dot2_f32_f16 v20, v18, v24, v20
	;;#ASMEND
	s_waitcnt lgkmcnt(0)
	;;#ASMSTART
	v_dot2_f32_f16 v13, v15, v25, v13
	;;#ASMEND
	;;#ASMSTART
	v_dot2_f32_f16 v13, v16, v26, v13
	;;#ASMEND
	;;#ASMSTART
	v_dot2_f32_f16 v13, v17, v27, v13
	;;#ASMEND
	;;#ASMSTART
	v_dot2_f32_f16 v13, v18, v28, v13
	;;#ASMEND
	ds_load_b128 v[15:18], v60 offset:160
	ds_load_b128 v[21:24], v4 offset:17056
	ds_load_b128 v[25:28], v4 offset:17568
	s_waitcnt lgkmcnt(1)
	;;#ASMSTART
	v_dot2_f32_f16 v20, v15, v21, v20
	;;#ASMEND
	;;#ASMSTART
	v_dot2_f32_f16 v20, v16, v22, v20
	;;#ASMEND
	;;#ASMSTART
	v_dot2_f32_f16 v20, v17, v23, v20
	;;#ASMEND
	;;#ASMSTART
	v_dot2_f32_f16 v20, v18, v24, v20
	;;#ASMEND
	s_waitcnt lgkmcnt(0)
	;;#ASMSTART
	v_dot2_f32_f16 v13, v15, v25, v13
	;;#ASMEND
	;;#ASMSTART
	v_dot2_f32_f16 v13, v16, v26, v13
	;;#ASMEND
	;;#ASMSTART
	v_dot2_f32_f16 v13, v17, v27, v13
	;;#ASMEND
	;;#ASMSTART
	v_dot2_f32_f16 v13, v18, v28, v13
	;;#ASMEND
	ds_load_b128 v[15:18], v60 offset:176
	ds_load_b128 v[21:24], v4 offset:17072
	ds_load_b128 v[25:28], v4 offset:17584
	s_waitcnt lgkmcnt(1)
	;;#ASMSTART
	v_dot2_f32_f16 v20, v15, v21, v20
	;;#ASMEND
	;;#ASMSTART
	v_dot2_f32_f16 v20, v16, v22, v20
	;;#ASMEND
	;;#ASMSTART
	v_dot2_f32_f16 v20, v17, v23, v20
	;;#ASMEND
	;;#ASMSTART
	v_dot2_f32_f16 v20, v18, v24, v20
	;;#ASMEND
	s_waitcnt lgkmcnt(0)
	;;#ASMSTART
	v_dot2_f32_f16 v13, v15, v25, v13
	;;#ASMEND
	;;#ASMSTART
	v_dot2_f32_f16 v13, v16, v26, v13
	;;#ASMEND
	;;#ASMSTART
	v_dot2_f32_f16 v13, v17, v27, v13
	;;#ASMEND
	;;#ASMSTART
	v_dot2_f32_f16 v13, v18, v28, v13
	;;#ASMEND
	ds_load_b128 v[15:18], v60 offset:192
	ds_load_b128 v[21:24], v4 offset:17088
	ds_load_b128 v[25:28], v4 offset:17600
	s_waitcnt lgkmcnt(1)
	;;#ASMSTART
	v_dot2_f32_f16 v20, v15, v21, v20
	;;#ASMEND
	;;#ASMSTART
	v_dot2_f32_f16 v20, v16, v22, v20
	;;#ASMEND
	;;#ASMSTART
	v_dot2_f32_f16 v20, v17, v23, v20
	;;#ASMEND
	;;#ASMSTART
	v_dot2_f32_f16 v20, v18, v24, v20
	;;#ASMEND
	s_waitcnt lgkmcnt(0)
	;;#ASMSTART
	v_dot2_f32_f16 v13, v15, v25, v13
	;;#ASMEND
	;;#ASMSTART
	v_dot2_f32_f16 v13, v16, v26, v13
	;;#ASMEND
	;;#ASMSTART
	v_dot2_f32_f16 v13, v17, v27, v13
	;;#ASMEND
	;;#ASMSTART
	v_dot2_f32_f16 v13, v18, v28, v13
	;;#ASMEND
	ds_load_b128 v[15:18], v60 offset:208
	ds_load_b128 v[21:24], v4 offset:17104
	ds_load_b128 v[25:28], v4 offset:17616
	s_waitcnt lgkmcnt(1)
	;;#ASMSTART
	v_dot2_f32_f16 v20, v15, v21, v20
	;;#ASMEND
	;;#ASMSTART
	v_dot2_f32_f16 v20, v16, v22, v20
	;;#ASMEND
	;;#ASMSTART
	v_dot2_f32_f16 v20, v17, v23, v20
	;;#ASMEND
	;;#ASMSTART
	v_dot2_f32_f16 v20, v18, v24, v20
	;;#ASMEND
	s_waitcnt lgkmcnt(0)
	;;#ASMSTART
	v_dot2_f32_f16 v13, v15, v25, v13
	;;#ASMEND
	;;#ASMSTART
	v_dot2_f32_f16 v13, v16, v26, v13
	;;#ASMEND
	;;#ASMSTART
	v_dot2_f32_f16 v13, v17, v27, v13
	;;#ASMEND
	;;#ASMSTART
	v_dot2_f32_f16 v13, v18, v28, v13
	;;#ASMEND
	ds_load_b128 v[15:18], v60 offset:224
	ds_load_b128 v[21:24], v4 offset:17120
	ds_load_b128 v[25:28], v4 offset:17632
	s_waitcnt lgkmcnt(1)
	;;#ASMSTART
	v_dot2_f32_f16 v20, v15, v21, v20
	;;#ASMEND
	;;#ASMSTART
	v_dot2_f32_f16 v20, v16, v22, v20
	;;#ASMEND
	;;#ASMSTART
	v_dot2_f32_f16 v20, v17, v23, v20
	;;#ASMEND
	;;#ASMSTART
	v_dot2_f32_f16 v20, v18, v24, v20
	;;#ASMEND
	s_waitcnt lgkmcnt(0)
	;;#ASMSTART
	v_dot2_f32_f16 v13, v15, v25, v13
	;;#ASMEND
	;;#ASMSTART
	v_dot2_f32_f16 v13, v16, v26, v13
	;;#ASMEND
	;;#ASMSTART
	v_dot2_f32_f16 v13, v17, v27, v13
	;;#ASMEND
	;;#ASMSTART
	v_dot2_f32_f16 v13, v18, v28, v13
	;;#ASMEND
	ds_load_b128 v[15:18], v60 offset:240
	ds_load_b128 v[21:24], v4 offset:17136
	ds_load_b128 v[25:28], v4 offset:17648
	s_waitcnt lgkmcnt(1)
	;;#ASMSTART
	v_dot2_f32_f16 v20, v15, v21, v20
	;;#ASMEND
	;;#ASMSTART
	v_dot2_f32_f16 v20, v16, v22, v20
	;;#ASMEND
	;;#ASMSTART
	v_dot2_f32_f16 v20, v17, v23, v20
	;;#ASMEND
	;;#ASMSTART
	v_dot2_f32_f16 v20, v18, v24, v20
	;;#ASMEND
	s_waitcnt lgkmcnt(0)
	;;#ASMSTART
	v_dot2_f32_f16 v13, v15, v25, v13
	;;#ASMEND
	;;#ASMSTART
	v_dot2_f32_f16 v13, v16, v26, v13
	;;#ASMEND
	;;#ASMSTART
	v_dot2_f32_f16 v13, v17, v27, v13
	;;#ASMEND
	;;#ASMSTART
	v_dot2_f32_f16 v13, v18, v28, v13
	;;#ASMEND
	ds_load_b128 v[15:18], v60 offset:256
	ds_load_b128 v[21:24], v4 offset:17152
	ds_load_b128 v[25:28], v4 offset:17664
	s_waitcnt lgkmcnt(1)
	;;#ASMSTART
	v_dot2_f32_f16 v20, v15, v21, v20
	;;#ASMEND
	;;#ASMSTART
	v_dot2_f32_f16 v20, v16, v22, v20
	;;#ASMEND
	;;#ASMSTART
	v_dot2_f32_f16 v20, v17, v23, v20
	;;#ASMEND
	;;#ASMSTART
	v_dot2_f32_f16 v20, v18, v24, v20
	;;#ASMEND
	s_waitcnt lgkmcnt(0)
	;;#ASMSTART
	v_dot2_f32_f16 v13, v15, v25, v13
	;;#ASMEND
	;;#ASMSTART
	v_dot2_f32_f16 v13, v16, v26, v13
	;;#ASMEND
	;;#ASMSTART
	v_dot2_f32_f16 v13, v17, v27, v13
	;;#ASMEND
	;;#ASMSTART
	v_dot2_f32_f16 v13, v18, v28, v13
	;;#ASMEND
	ds_load_b128 v[15:18], v60 offset:272
	ds_load_b128 v[21:24], v4 offset:17168
	ds_load_b128 v[25:28], v4 offset:17680
	s_waitcnt lgkmcnt(1)
	;;#ASMSTART
	v_dot2_f32_f16 v20, v15, v21, v20
	;;#ASMEND
	;;#ASMSTART
	v_dot2_f32_f16 v20, v16, v22, v20
	;;#ASMEND
	;;#ASMSTART
	v_dot2_f32_f16 v20, v17, v23, v20
	;;#ASMEND
	;;#ASMSTART
	v_dot2_f32_f16 v20, v18, v24, v20
	;;#ASMEND
	s_waitcnt lgkmcnt(0)
	;;#ASMSTART
	v_dot2_f32_f16 v13, v15, v25, v13
	;;#ASMEND
	;;#ASMSTART
	v_dot2_f32_f16 v13, v16, v26, v13
	;;#ASMEND
	;;#ASMSTART
	v_dot2_f32_f16 v13, v17, v27, v13
	;;#ASMEND
	;;#ASMSTART
	v_dot2_f32_f16 v13, v18, v28, v13
	;;#ASMEND
	ds_load_b128 v[15:18], v60 offset:288
	ds_load_b128 v[21:24], v4 offset:17184
	ds_load_b128 v[25:28], v4 offset:17696
	s_waitcnt lgkmcnt(1)
	;;#ASMSTART
	v_dot2_f32_f16 v20, v15, v21, v20
	;;#ASMEND
	;;#ASMSTART
	v_dot2_f32_f16 v20, v16, v22, v20
	;;#ASMEND
	;;#ASMSTART
	v_dot2_f32_f16 v20, v17, v23, v20
	;;#ASMEND
	;;#ASMSTART
	v_dot2_f32_f16 v20, v18, v24, v20
	;;#ASMEND
	s_waitcnt lgkmcnt(0)
	;;#ASMSTART
	v_dot2_f32_f16 v13, v15, v25, v13
	;;#ASMEND
	;;#ASMSTART
	v_dot2_f32_f16 v13, v16, v26, v13
	;;#ASMEND
	;;#ASMSTART
	v_dot2_f32_f16 v13, v17, v27, v13
	;;#ASMEND
	;;#ASMSTART
	v_dot2_f32_f16 v13, v18, v28, v13
	;;#ASMEND
	ds_load_b128 v[15:18], v60 offset:304
	ds_load_b128 v[21:24], v4 offset:17200
	ds_load_b128 v[25:28], v4 offset:17712
	s_waitcnt lgkmcnt(1)
	;;#ASMSTART
	v_dot2_f32_f16 v20, v15, v21, v20
	;;#ASMEND
	;;#ASMSTART
	v_dot2_f32_f16 v20, v16, v22, v20
	;;#ASMEND
	;;#ASMSTART
	v_dot2_f32_f16 v20, v17, v23, v20
	;;#ASMEND
	;;#ASMSTART
	v_dot2_f32_f16 v20, v18, v24, v20
	;;#ASMEND
	s_waitcnt lgkmcnt(0)
	;;#ASMSTART
	v_dot2_f32_f16 v13, v15, v25, v13
	;;#ASMEND
	;;#ASMSTART
	v_dot2_f32_f16 v13, v16, v26, v13
	;;#ASMEND
	;;#ASMSTART
	v_dot2_f32_f16 v13, v17, v27, v13
	;;#ASMEND
	;;#ASMSTART
	v_dot2_f32_f16 v13, v18, v28, v13
	;;#ASMEND
	ds_load_b128 v[15:18], v60 offset:320
	ds_load_b128 v[21:24], v4 offset:17216
	ds_load_b128 v[25:28], v4 offset:17728
	s_waitcnt lgkmcnt(1)
	;;#ASMSTART
	v_dot2_f32_f16 v20, v15, v21, v20
	;;#ASMEND
	;;#ASMSTART
	v_dot2_f32_f16 v20, v16, v22, v20
	;;#ASMEND
	;;#ASMSTART
	v_dot2_f32_f16 v20, v17, v23, v20
	;;#ASMEND
	;;#ASMSTART
	v_dot2_f32_f16 v20, v18, v24, v20
	;;#ASMEND
	s_waitcnt lgkmcnt(0)
	;;#ASMSTART
	v_dot2_f32_f16 v13, v15, v25, v13
	;;#ASMEND
	;;#ASMSTART
	v_dot2_f32_f16 v13, v16, v26, v13
	;;#ASMEND
	;;#ASMSTART
	v_dot2_f32_f16 v13, v17, v27, v13
	;;#ASMEND
	;;#ASMSTART
	v_dot2_f32_f16 v13, v18, v28, v13
	;;#ASMEND
	ds_load_b128 v[15:18], v60 offset:336
	ds_load_b128 v[21:24], v4 offset:17232
	ds_load_b128 v[25:28], v4 offset:17744
	s_waitcnt lgkmcnt(1)
	;;#ASMSTART
	v_dot2_f32_f16 v20, v15, v21, v20
	;;#ASMEND
	;;#ASMSTART
	v_dot2_f32_f16 v20, v16, v22, v20
	;;#ASMEND
	;;#ASMSTART
	v_dot2_f32_f16 v20, v17, v23, v20
	;;#ASMEND
	;;#ASMSTART
	v_dot2_f32_f16 v20, v18, v24, v20
	;;#ASMEND
	s_waitcnt lgkmcnt(0)
	;;#ASMSTART
	v_dot2_f32_f16 v13, v15, v25, v13
	;;#ASMEND
	;;#ASMSTART
	v_dot2_f32_f16 v13, v16, v26, v13
	;;#ASMEND
	;;#ASMSTART
	v_dot2_f32_f16 v13, v17, v27, v13
	;;#ASMEND
	;;#ASMSTART
	v_dot2_f32_f16 v13, v18, v28, v13
	;;#ASMEND
	ds_load_b128 v[15:18], v60 offset:352
	ds_load_b128 v[21:24], v4 offset:17248
	ds_load_b128 v[25:28], v4 offset:17760
	s_waitcnt lgkmcnt(1)
	;;#ASMSTART
	v_dot2_f32_f16 v20, v15, v21, v20
	;;#ASMEND
	;;#ASMSTART
	v_dot2_f32_f16 v20, v16, v22, v20
	;;#ASMEND
	;;#ASMSTART
	v_dot2_f32_f16 v20, v17, v23, v20
	;;#ASMEND
	;;#ASMSTART
	v_dot2_f32_f16 v20, v18, v24, v20
	;;#ASMEND
	s_waitcnt lgkmcnt(0)
	;;#ASMSTART
	v_dot2_f32_f16 v13, v15, v25, v13
	;;#ASMEND
	;;#ASMSTART
	v_dot2_f32_f16 v13, v16, v26, v13
	;;#ASMEND
	;;#ASMSTART
	v_dot2_f32_f16 v13, v17, v27, v13
	;;#ASMEND
	;;#ASMSTART
	v_dot2_f32_f16 v13, v18, v28, v13
	;;#ASMEND
	ds_load_b128 v[15:18], v60 offset:368
	ds_load_b128 v[21:24], v4 offset:17264
	ds_load_b128 v[25:28], v4 offset:17776
	s_waitcnt lgkmcnt(1)
	;;#ASMSTART
	v_dot2_f32_f16 v20, v15, v21, v20
	;;#ASMEND
	;;#ASMSTART
	v_dot2_f32_f16 v20, v16, v22, v20
	;;#ASMEND
	;;#ASMSTART
	v_dot2_f32_f16 v20, v17, v23, v20
	;;#ASMEND
	;;#ASMSTART
	v_dot2_f32_f16 v20, v18, v24, v20
	;;#ASMEND
	s_waitcnt lgkmcnt(0)
	;;#ASMSTART
	v_dot2_f32_f16 v13, v15, v25, v13
	;;#ASMEND
	;;#ASMSTART
	v_dot2_f32_f16 v13, v16, v26, v13
	;;#ASMEND
	;;#ASMSTART
	v_dot2_f32_f16 v13, v17, v27, v13
	;;#ASMEND
	;;#ASMSTART
	v_dot2_f32_f16 v13, v18, v28, v13
	;;#ASMEND
	ds_load_b128 v[15:18], v60 offset:384
	ds_load_b128 v[21:24], v4 offset:17280
	ds_load_b128 v[25:28], v4 offset:17792
	s_waitcnt lgkmcnt(1)
	;;#ASMSTART
	v_dot2_f32_f16 v20, v15, v21, v20
	;;#ASMEND
	;;#ASMSTART
	v_dot2_f32_f16 v20, v16, v22, v20
	;;#ASMEND
	;;#ASMSTART
	v_dot2_f32_f16 v20, v17, v23, v20
	;;#ASMEND
	;;#ASMSTART
	v_dot2_f32_f16 v20, v18, v24, v20
	;;#ASMEND
	s_waitcnt lgkmcnt(0)
	;;#ASMSTART
	v_dot2_f32_f16 v13, v15, v25, v13
	;;#ASMEND
	;;#ASMSTART
	v_dot2_f32_f16 v13, v16, v26, v13
	;;#ASMEND
	;;#ASMSTART
	v_dot2_f32_f16 v13, v17, v27, v13
	;;#ASMEND
	;;#ASMSTART
	v_dot2_f32_f16 v13, v18, v28, v13
	;;#ASMEND
	ds_load_b128 v[15:18], v60 offset:400
	ds_load_b128 v[21:24], v4 offset:17296
	ds_load_b128 v[25:28], v4 offset:17808
	s_waitcnt lgkmcnt(1)
	;;#ASMSTART
	v_dot2_f32_f16 v20, v15, v21, v20
	;;#ASMEND
	;;#ASMSTART
	v_dot2_f32_f16 v20, v16, v22, v20
	;;#ASMEND
	;;#ASMSTART
	v_dot2_f32_f16 v20, v17, v23, v20
	;;#ASMEND
	;;#ASMSTART
	v_dot2_f32_f16 v20, v18, v24, v20
	;;#ASMEND
	s_waitcnt lgkmcnt(0)
	;;#ASMSTART
	v_dot2_f32_f16 v13, v15, v25, v13
	;;#ASMEND
	;;#ASMSTART
	v_dot2_f32_f16 v13, v16, v26, v13
	;;#ASMEND
	;;#ASMSTART
	v_dot2_f32_f16 v13, v17, v27, v13
	;;#ASMEND
	;;#ASMSTART
	v_dot2_f32_f16 v13, v18, v28, v13
	;;#ASMEND
	ds_load_b128 v[15:18], v60 offset:416
	ds_load_b128 v[21:24], v4 offset:17312
	ds_load_b128 v[25:28], v4 offset:17824
	s_waitcnt lgkmcnt(1)
	;;#ASMSTART
	v_dot2_f32_f16 v20, v15, v21, v20
	;;#ASMEND
	;;#ASMSTART
	v_dot2_f32_f16 v20, v16, v22, v20
	;;#ASMEND
	;;#ASMSTART
	v_dot2_f32_f16 v20, v17, v23, v20
	;;#ASMEND
	;;#ASMSTART
	v_dot2_f32_f16 v20, v18, v24, v20
	;;#ASMEND
	s_waitcnt lgkmcnt(0)
	;;#ASMSTART
	v_dot2_f32_f16 v13, v15, v25, v13
	;;#ASMEND
	;;#ASMSTART
	v_dot2_f32_f16 v13, v16, v26, v13
	;;#ASMEND
	;;#ASMSTART
	v_dot2_f32_f16 v13, v17, v27, v13
	;;#ASMEND
	;;#ASMSTART
	v_dot2_f32_f16 v13, v18, v28, v13
	;;#ASMEND
	ds_load_b128 v[15:18], v60 offset:432
	ds_load_b128 v[21:24], v4 offset:17328
	ds_load_b128 v[25:28], v4 offset:17840
	s_waitcnt lgkmcnt(1)
	;;#ASMSTART
	v_dot2_f32_f16 v20, v15, v21, v20
	;;#ASMEND
	;;#ASMSTART
	v_dot2_f32_f16 v20, v16, v22, v20
	;;#ASMEND
	;;#ASMSTART
	v_dot2_f32_f16 v20, v17, v23, v20
	;;#ASMEND
	;;#ASMSTART
	v_dot2_f32_f16 v20, v18, v24, v20
	;;#ASMEND
	s_waitcnt lgkmcnt(0)
	;;#ASMSTART
	v_dot2_f32_f16 v13, v15, v25, v13
	;;#ASMEND
	;;#ASMSTART
	v_dot2_f32_f16 v13, v16, v26, v13
	;;#ASMEND
	;;#ASMSTART
	v_dot2_f32_f16 v13, v17, v27, v13
	;;#ASMEND
	;;#ASMSTART
	v_dot2_f32_f16 v13, v18, v28, v13
	;;#ASMEND
	ds_load_b128 v[15:18], v60 offset:448
	ds_load_b128 v[21:24], v4 offset:17344
	ds_load_b128 v[25:28], v4 offset:17856
	s_waitcnt lgkmcnt(1)
	;;#ASMSTART
	v_dot2_f32_f16 v20, v15, v21, v20
	;;#ASMEND
	;;#ASMSTART
	v_dot2_f32_f16 v20, v16, v22, v20
	;;#ASMEND
	;;#ASMSTART
	v_dot2_f32_f16 v20, v17, v23, v20
	;;#ASMEND
	;;#ASMSTART
	v_dot2_f32_f16 v20, v18, v24, v20
	;;#ASMEND
	s_waitcnt lgkmcnt(0)
	;;#ASMSTART
	v_dot2_f32_f16 v13, v15, v25, v13
	;;#ASMEND
	;;#ASMSTART
	v_dot2_f32_f16 v13, v16, v26, v13
	;;#ASMEND
	;;#ASMSTART
	v_dot2_f32_f16 v13, v17, v27, v13
	;;#ASMEND
	;;#ASMSTART
	v_dot2_f32_f16 v13, v18, v28, v13
	;;#ASMEND
	ds_load_b128 v[15:18], v60 offset:464
	ds_load_b128 v[21:24], v4 offset:17360
	ds_load_b128 v[25:28], v4 offset:17872
	s_waitcnt lgkmcnt(1)
	;;#ASMSTART
	v_dot2_f32_f16 v20, v15, v21, v20
	;;#ASMEND
	;;#ASMSTART
	v_dot2_f32_f16 v20, v16, v22, v20
	;;#ASMEND
	;;#ASMSTART
	v_dot2_f32_f16 v20, v17, v23, v20
	;;#ASMEND
	;;#ASMSTART
	v_dot2_f32_f16 v20, v18, v24, v20
	;;#ASMEND
	s_waitcnt lgkmcnt(0)
	;;#ASMSTART
	v_dot2_f32_f16 v13, v15, v25, v13
	;;#ASMEND
	;;#ASMSTART
	v_dot2_f32_f16 v13, v16, v26, v13
	;;#ASMEND
	;;#ASMSTART
	v_dot2_f32_f16 v13, v17, v27, v13
	;;#ASMEND
	;;#ASMSTART
	v_dot2_f32_f16 v13, v18, v28, v13
	;;#ASMEND
	ds_load_b128 v[15:18], v60 offset:480
	ds_load_b128 v[21:24], v4 offset:17376
	ds_load_b128 v[25:28], v4 offset:17888
	s_waitcnt lgkmcnt(1)
	;;#ASMSTART
	v_dot2_f32_f16 v20, v15, v21, v20
	;;#ASMEND
	;;#ASMSTART
	v_dot2_f32_f16 v20, v16, v22, v20
	;;#ASMEND
	;;#ASMSTART
	v_dot2_f32_f16 v20, v17, v23, v20
	;;#ASMEND
	;;#ASMSTART
	v_dot2_f32_f16 v20, v18, v24, v20
	;;#ASMEND
	s_waitcnt lgkmcnt(0)
	;;#ASMSTART
	v_dot2_f32_f16 v13, v15, v25, v13
	;;#ASMEND
	;;#ASMSTART
	v_dot2_f32_f16 v13, v16, v26, v13
	;;#ASMEND
	;;#ASMSTART
	v_dot2_f32_f16 v13, v17, v27, v13
	;;#ASMEND
	;;#ASMSTART
	v_dot2_f32_f16 v13, v18, v28, v13
	;;#ASMEND
	ds_load_b128 v[15:18], v60 offset:496
	ds_load_b128 v[22:25], v4 offset:17392
	ds_load_b128 v[26:29], v4 offset:17904
	v_mov_b32_e32 v4, v2
	s_waitcnt lgkmcnt(1)
	;;#ASMSTART
	v_dot2_f32_f16 v20, v15, v22, v20
	;;#ASMEND
	v_cndmask_b32_e64 v21, 0, 1, s20
	;;#ASMSTART
	v_dot2_f32_f16 v20, v16, v23, v20
	;;#ASMEND
	;;#ASMSTART
	v_dot2_f32_f16 v20, v17, v24, v20
	;;#ASMEND
	;; [unrolled: 3-line block ×3, first 2 shown]
	s_waitcnt lgkmcnt(0)
	;;#ASMSTART
	v_dot2_f32_f16 v13, v15, v26, v13
	;;#ASMEND
	;;#ASMSTART
	v_dot2_f32_f16 v13, v16, v27, v13
	;;#ASMEND
	;; [unrolled: 3-line block ×4, first 2 shown]
	s_and_saveexec_b32 s11, s10
	s_cbranch_execz .LBB49_23
; %bb.20:
	s_and_not1_b32 vcc_lo, exec_lo, s20
	s_cbranch_vccnz .LBB49_22
; %bb.21:
	v_mad_u64_u32 v[14:15], null, v57, s22, v[5:6]
	s_delay_alu instid0(VALU_DEP_1) | instskip(NEXT) | instid1(VALU_DEP_1)
	v_ashrrev_i32_e32 v15, 31, v14
	v_lshlrev_b64 v[14:15], 1, v[14:15]
	s_delay_alu instid0(VALU_DEP_1) | instskip(NEXT) | instid1(VALU_DEP_2)
	v_add_co_u32 v14, vcc_lo, s40, v14
	v_add_co_ci_u32_e32 v15, vcc_lo, s41, v15, vcc_lo
	flat_load_u16 v4, v[14:15]
	s_waitcnt vmcnt(0) lgkmcnt(0)
	v_cvt_f32_f16_e32 v4, v4
	s_delay_alu instid0(VALU_DEP_1)
	v_mul_f32_e32 v14, v50, v4
.LBB49_22:
	s_delay_alu instid0(VALU_DEP_1) | instskip(SKIP_1) | instid1(VALU_DEP_2)
	v_add_f32_e32 v20, v20, v14
	v_max_f32_e32 v14, v2, v2
	v_add_f32_e32 v4, 0x40051340, v20
	s_delay_alu instid0(VALU_DEP_1)
	v_max_f32_e32 v4, v14, v4
.LBB49_23:
	s_or_b32 exec_lo, exec_lo, s11
	v_xor_b32_e32 v15, 16, v44
	s_delay_alu instid0(VALU_DEP_1) | instskip(SKIP_1) | instid1(VALU_DEP_1)
	v_cmp_gt_i32_e32 vcc_lo, 32, v15
	v_cndmask_b32_e32 v14, v44, v15, vcc_lo
	v_lshlrev_b32_e32 v22, 2, v14
	v_xor_b32_e32 v14, 8, v44
	ds_bpermute_b32 v16, v22, v4
	v_cmp_gt_i32_e32 vcc_lo, 32, v14
	v_max_f32_e32 v4, v4, v4
	v_cndmask_b32_e32 v17, v44, v14, vcc_lo
	s_waitcnt lgkmcnt(0)
	s_delay_alu instid0(VALU_DEP_1) | instskip(NEXT) | instid1(VALU_DEP_1)
	v_dual_max_f32 v16, v16, v16 :: v_dual_lshlrev_b32 v23, 2, v17
	v_max_f32_e32 v4, v4, v16
	v_xor_b32_e32 v16, 4, v44
	ds_bpermute_b32 v17, v23, v4
	v_cmp_gt_i32_e32 vcc_lo, 32, v16
	s_waitcnt lgkmcnt(0)
	v_dual_cndmask_b32 v18, v44, v16 :: v_dual_max_f32 v17, v17, v17
	s_delay_alu instid0(VALU_DEP_1) | instskip(SKIP_1) | instid1(VALU_DEP_1)
	v_max_f32_e32 v4, v4, v17
	v_xor_b32_e32 v17, 2, v44
	v_cmp_gt_i32_e32 vcc_lo, 32, v17
	s_delay_alu instid0(VALU_DEP_4) | instskip(SKIP_3) | instid1(VALU_DEP_1)
	v_dual_cndmask_b32 v19, v44, v17 :: v_dual_lshlrev_b32 v24, 2, v18
	ds_bpermute_b32 v18, v24, v4
	v_lshlrev_b32_e32 v25, 2, v19
	v_xor_b32_e32 v19, 1, v44
	v_cmp_gt_i32_e32 vcc_lo, 32, v19
	v_cndmask_b32_e32 v26, v44, v19, vcc_lo
	s_waitcnt lgkmcnt(0)
	v_max_f32_e32 v18, v18, v18
	s_delay_alu instid0(VALU_DEP_2) | instskip(NEXT) | instid1(VALU_DEP_2)
	v_lshlrev_b32_e32 v26, 2, v26
	v_max_f32_e32 v4, v4, v18
	ds_bpermute_b32 v18, v25, v4
	s_waitcnt lgkmcnt(0)
	v_max_f32_e32 v18, v18, v18
	s_delay_alu instid0(VALU_DEP_1) | instskip(SKIP_3) | instid1(VALU_DEP_1)
	v_max_f32_e32 v4, v4, v18
	ds_bpermute_b32 v18, v26, v4
	s_waitcnt lgkmcnt(0)
	v_dual_max_f32 v27, v18, v18 :: v_dual_mov_b32 v18, 32
	v_dual_max_f32 v4, v4, v27 :: v_dual_mov_b32 v27, v3
	s_and_saveexec_b32 s11, s10
	s_cbranch_execz .LBB49_28
; %bb.24:
	v_cmp_ne_u32_e32 vcc_lo, 1, v21
	s_cbranch_vccnz .LBB49_26
; %bb.25:
	v_or_b32_e32 v21, 1, v42
	s_delay_alu instid0(VALU_DEP_1) | instskip(NEXT) | instid1(VALU_DEP_1)
	v_mul_hi_u32 v27, s36, v21
	v_add_nc_u32_e32 v27, v21, v27
	s_delay_alu instid0(VALU_DEP_1) | instskip(NEXT) | instid1(VALU_DEP_1)
	v_lshrrev_b32_e32 v27, s37, v27
	v_mul_lo_u32 v27, v27, s38
	s_delay_alu instid0(VALU_DEP_1) | instskip(NEXT) | instid1(VALU_DEP_1)
	v_sub_nc_u32_e32 v21, v21, v27
	v_mad_u64_u32 v[27:28], null, v21, s22, v[5:6]
	s_delay_alu instid0(VALU_DEP_1) | instskip(NEXT) | instid1(VALU_DEP_1)
	v_ashrrev_i32_e32 v28, 31, v27
	v_lshlrev_b64 v[27:28], 1, v[27:28]
	s_delay_alu instid0(VALU_DEP_1) | instskip(NEXT) | instid1(VALU_DEP_2)
	v_add_co_u32 v27, vcc_lo, s40, v27
	v_add_co_ci_u32_e32 v28, vcc_lo, s41, v28, vcc_lo
	flat_load_u16 v5, v[27:28]
	s_waitcnt vmcnt(0) lgkmcnt(0)
	v_cvt_f32_f16_e32 v5, v5
	s_delay_alu instid0(VALU_DEP_1)
	v_mul_f32_e32 v5, v50, v5
	s_branch .LBB49_27
.LBB49_26:
	v_mov_b32_e32 v5, 0
.LBB49_27:
	s_delay_alu instid0(VALU_DEP_1) | instskip(SKIP_1) | instid1(VALU_DEP_2)
	v_add_f32_e32 v13, v13, v5
	v_max_f32_e32 v21, v3, v3
	v_add_f32_e32 v5, 0x40051340, v13
	s_delay_alu instid0(VALU_DEP_1)
	v_max_f32_e32 v27, v21, v5
.LBB49_28:
	s_or_b32 exec_lo, exec_lo, s11
	ds_bpermute_b32 v5, v22, v27
	v_dual_max_f32 v21, v27, v27 :: v_dual_sub_f32 v20, v20, v4
	s_mul_hi_i32 s23, s18, s13
	s_mul_i32 s22, s18, s13
	s_mov_b32 s20, 0
	s_lshl_b64 s[26:27], s[22:23], 2
	s_mov_b32 s21, s20
	s_mov_b32 s22, s20
	v_cmp_ngt_f32_e32 vcc_lo, 0xc2ce8ed0, v20
	s_mov_b64 s[10:11], src_private_base
	s_add_u32 s10, s16, s26
	s_addc_u32 s16, s17, s27
	v_mov_b32_e32 v31, 0
	s_waitcnt lgkmcnt(0)
	s_barrier
	buffer_gl0_inv
	v_lshl_add_u32 v32, v47, 9, v48
	v_lshl_add_u32 v7, v7, 9, v48
	;; [unrolled: 1-line block ×3, first 2 shown]
	v_max_f32_e32 v5, v5, v5
	v_lshl_add_u32 v6, v6, 9, v48
	v_add_nc_u32_e32 v37, 0x1000, v46
	v_lshlrev_b32_e32 v28, 1, v51
	s_delay_alu instid0(VALU_DEP_4) | instskip(SKIP_4) | instid1(VALU_DEP_1)
	v_dual_max_f32 v5, v21, v5 :: v_dual_add_nc_u32 v36, 0x800, v46
	v_add_nc_u32_e32 v162, 0x3000, v46
	ds_bpermute_b32 v21, v23, v5
	s_waitcnt lgkmcnt(0)
	v_max_f32_e32 v21, v21, v21
	v_max_f32_e32 v5, v5, v21
	ds_bpermute_b32 v21, v24, v5
	s_waitcnt lgkmcnt(0)
	v_max_f32_e32 v21, v21, v21
	s_delay_alu instid0(VALU_DEP_1) | instskip(SKIP_3) | instid1(VALU_DEP_1)
	v_max_f32_e32 v5, v5, v21
	ds_bpermute_b32 v21, v25, v5
	s_waitcnt lgkmcnt(0)
	v_max_f32_e32 v21, v21, v21
	v_max_f32_e32 v5, v5, v21
	ds_bpermute_b32 v21, v26, v5
	s_waitcnt lgkmcnt(0)
	v_max_f32_e32 v21, v21, v21
	s_delay_alu instid0(VALU_DEP_1) | instskip(NEXT) | instid1(VALU_DEP_1)
	v_max_f32_e32 v5, v5, v21
	v_sub_f32_e32 v23, v13, v5
	v_mul_f32_e32 v13, 0x3fb8aa3b, v20
	s_delay_alu instid0(VALU_DEP_1) | instskip(SKIP_1) | instid1(VALU_DEP_2)
	v_fma_f32 v22, 0x3fb8aa3b, v20, -v13
	v_rndne_f32_e32 v24, v13
	v_fmac_f32_e32 v22, 0x32a5705f, v20
	s_delay_alu instid0(VALU_DEP_2) | instskip(SKIP_2) | instid1(VALU_DEP_3)
	v_sub_f32_e32 v13, v13, v24
	v_mul_f32_e32 v21, 0x3fb8aa3b, v23
	v_cvt_i32_f32_e32 v24, v24
	v_add_f32_e32 v22, v13, v22
	s_delay_alu instid0(VALU_DEP_3) | instskip(SKIP_3) | instid1(VALU_DEP_4)
	v_fma_f32 v25, 0x3fb8aa3b, v23, -v21
	v_rndne_f32_e32 v26, v21
	v_lshlrev_b32_e32 v13, 7, v47
	v_add_nc_u32_e32 v47, 0x2000, v46
	v_fmac_f32_e32 v25, 0x32a5705f, v23
	s_delay_alu instid0(VALU_DEP_4) | instskip(SKIP_2) | instid1(VALU_DEP_3)
	v_sub_f32_e32 v21, v21, v26
	v_cvt_i32_f32_e32 v26, v26
	v_add3_u32 v28, 0x5200, v13, v28
	v_add_f32_e32 v21, v21, v25
	v_exp_f32_e32 v25, v22
	s_delay_alu instid0(VALU_DEP_1) | instskip(SKIP_4) | instid1(VALU_DEP_2)
	v_exp_f32_e32 v27, v21
	v_lshlrev_b64 v[21:22], 2, v[0:1]
	s_waitcnt_depctr 0xfff
	v_ldexp_f32 v1, v25, v24
	v_ldexp_f32 v24, v27, v26
	v_cndmask_b32_e32 v1, 0, v1, vcc_lo
	v_cmp_ngt_f32_e32 vcc_lo, 0xc2ce8ed0, v23
	v_dual_mov_b32 v27, s22 :: v_dual_mov_b32 v26, s21
	v_mov_b32_e32 v25, s20
	s_clause 0x1
	scratch_store_b32 off, v31, off
	scratch_store_b96 off, v[25:27], off offset:4
	v_cndmask_b32_e32 v24, 0, v24, vcc_lo
	v_cmp_nlt_f32_e32 vcc_lo, 0x42b17218, v20
	v_cndmask_b32_e32 v1, 0x7f800000, v1, vcc_lo
	v_cmp_nlt_f32_e32 vcc_lo, 0x42b17218, v23
	s_delay_alu instid0(VALU_DEP_4) | instskip(SKIP_1) | instid1(VALU_DEP_2)
	v_cndmask_b32_e32 v23, 0x7f800000, v24, vcc_lo
	v_cmp_gt_u32_e32 vcc_lo, s19, v43
	v_dual_cndmask_b32 v20, 0, v1 :: v_dual_cndmask_b32 v1, 0, v23
	v_add_co_u32 v21, vcc_lo, s10, v21
	v_add_co_ci_u32_e32 v22, vcc_lo, s16, v22, vcc_lo
	s_delay_alu instid0(VALU_DEP_3) | instskip(NEXT) | instid1(VALU_DEP_3)
	v_cvt_f16_f32_e32 v23, v20
	v_add_co_u32 v21, vcc_lo, v21, v48
	v_cvt_f16_f32_e32 v24, v1
	s_delay_alu instid0(VALU_DEP_4) | instskip(NEXT) | instid1(VALU_DEP_3)
	v_add_co_ci_u32_e32 v22, vcc_lo, 0, v22, vcc_lo
	v_cndmask_b32_e64 v21, 0, v21, s2
	s_delay_alu instid0(VALU_DEP_3) | instskip(NEXT) | instid1(VALU_DEP_3)
	v_pack_b32_f16 v23, v23, v24
	v_cndmask_b32_e64 v22, s11, v22, s2
	s_lshl_b32 s2, s13, 2
	ds_store_b32 v28, v23
	flat_load_b128 v[21:24], v[21:22]
	v_add_nc_u32_e32 v28, s2, v0
	s_clause 0x1
	scratch_store_b32 off, v31, off
	scratch_store_b96 off, v[25:27], off offset:4
	v_ashrrev_i32_e32 v29, 31, v28
	s_delay_alu instid0(VALU_DEP_1) | instskip(SKIP_1) | instid1(VALU_DEP_2)
	v_lshlrev_b64 v[29:30], 2, v[28:29]
	v_add_nc_u32_e32 v28, s2, v28
	v_add_co_u32 v0, vcc_lo, s10, v29
	s_delay_alu instid0(VALU_DEP_3) | instskip(NEXT) | instid1(VALU_DEP_2)
	v_add_co_ci_u32_e32 v29, vcc_lo, s16, v30, vcc_lo
	v_add_co_u32 v0, vcc_lo, v0, v48
	s_delay_alu instid0(VALU_DEP_2) | instskip(NEXT) | instid1(VALU_DEP_1)
	v_add_co_ci_u32_e32 v29, vcc_lo, 0, v29, vcc_lo
	v_cndmask_b32_e64 v30, s11, v29, s3
	s_delay_alu instid0(VALU_DEP_3)
	v_cndmask_b32_e64 v29, 0, v0, s3
	s_waitcnt vmcnt(0) lgkmcnt(0)
	ds_store_b128 v32, v[21:24]
	flat_load_b128 v[21:24], v[29:30]
	v_ashrrev_i32_e32 v29, 31, v28
	s_clause 0x1
	scratch_store_b32 off, v31, off
	scratch_store_b96 off, v[25:27], off offset:4
	v_lshlrev_b64 v[29:30], 2, v[28:29]
	v_add_nc_u32_e32 v28, s2, v28
	s_delay_alu instid0(VALU_DEP_2) | instskip(NEXT) | instid1(VALU_DEP_3)
	v_add_co_u32 v0, vcc_lo, s10, v29
	v_add_co_ci_u32_e32 v29, vcc_lo, s16, v30, vcc_lo
	s_delay_alu instid0(VALU_DEP_2) | instskip(NEXT) | instid1(VALU_DEP_2)
	v_add_co_u32 v0, vcc_lo, v0, v48
	v_add_co_ci_u32_e32 v29, vcc_lo, 0, v29, vcc_lo
	s_delay_alu instid0(VALU_DEP_1) | instskip(NEXT) | instid1(VALU_DEP_3)
	v_cndmask_b32_e64 v30, s11, v29, s4
	v_cndmask_b32_e64 v29, 0, v0, s4
	s_waitcnt vmcnt(0) lgkmcnt(0)
	ds_store_b128 v7, v[21:24]
	flat_load_b128 v[21:24], v[29:30]
	v_ashrrev_i32_e32 v29, 31, v28
	s_clause 0x1
	scratch_store_b32 off, v31, off
	scratch_store_b96 off, v[25:27], off offset:4
	v_lshlrev_b64 v[29:30], 2, v[28:29]
	s_delay_alu instid0(VALU_DEP_1) | instskip(NEXT) | instid1(VALU_DEP_2)
	v_add_co_u32 v0, vcc_lo, s10, v29
	v_add_co_ci_u32_e32 v7, vcc_lo, s16, v30, vcc_lo
	v_lshl_add_u32 v29, v8, 9, v48
	s_delay_alu instid0(VALU_DEP_3) | instskip(NEXT) | instid1(VALU_DEP_3)
	v_add_co_u32 v0, vcc_lo, v0, v48
	v_add_co_ci_u32_e32 v7, vcc_lo, 0, v7, vcc_lo
	s_delay_alu instid0(VALU_DEP_1) | instskip(NEXT) | instid1(VALU_DEP_3)
	v_cndmask_b32_e64 v8, s11, v7, s5
	v_cndmask_b32_e64 v7, 0, v0, s5
	s_waitcnt vmcnt(0) lgkmcnt(0)
	ds_store_b128 v29, v[21:24]
	flat_load_b128 v[21:24], v[7:8]
	v_add_nc_u32_e32 v7, s2, v28
	s_clause 0x1
	scratch_store_b32 off, v31, off
	scratch_store_b96 off, v[25:27], off offset:4
	v_ashrrev_i32_e32 v8, 31, v7
	s_delay_alu instid0(VALU_DEP_1) | instskip(NEXT) | instid1(VALU_DEP_1)
	v_lshlrev_b64 v[28:29], 2, v[7:8]
	v_add_co_u32 v0, vcc_lo, s10, v28
	s_delay_alu instid0(VALU_DEP_2) | instskip(SKIP_1) | instid1(VALU_DEP_3)
	v_add_co_ci_u32_e32 v8, vcc_lo, s16, v29, vcc_lo
	v_lshl_add_u32 v28, v9, 9, v48
	v_add_co_u32 v0, vcc_lo, v0, v48
	s_delay_alu instid0(VALU_DEP_3) | instskip(NEXT) | instid1(VALU_DEP_1)
	v_add_co_ci_u32_e32 v8, vcc_lo, 0, v8, vcc_lo
	v_cndmask_b32_e64 v9, s11, v8, s6
	s_delay_alu instid0(VALU_DEP_3)
	v_cndmask_b32_e64 v8, 0, v0, s6
	s_waitcnt vmcnt(0) lgkmcnt(0)
	ds_store_b128 v28, v[21:24]
	flat_load_b128 v[21:24], v[8:9]
	v_add_nc_u32_e32 v28, s2, v7
	v_lshl_add_u32 v9, v10, 9, v48
	s_clause 0x1
	scratch_store_b32 off, v31, off
	scratch_store_b96 off, v[25:27], off offset:4
	v_ashrrev_i32_e32 v29, 31, v28
	s_delay_alu instid0(VALU_DEP_1) | instskip(NEXT) | instid1(VALU_DEP_1)
	v_lshlrev_b64 v[7:8], 2, v[28:29]
	v_add_co_u32 v0, vcc_lo, s10, v7
	s_delay_alu instid0(VALU_DEP_2) | instskip(NEXT) | instid1(VALU_DEP_2)
	v_add_co_ci_u32_e32 v7, vcc_lo, s16, v8, vcc_lo
	v_add_co_u32 v0, vcc_lo, v0, v48
	s_delay_alu instid0(VALU_DEP_2) | instskip(NEXT) | instid1(VALU_DEP_1)
	v_add_co_ci_u32_e32 v7, vcc_lo, 0, v7, vcc_lo
	v_cndmask_b32_e64 v8, s11, v7, s7
	s_delay_alu instid0(VALU_DEP_3)
	v_cndmask_b32_e64 v7, 0, v0, s7
	s_waitcnt vmcnt(0) lgkmcnt(0)
	ds_store_b128 v9, v[21:24]
	flat_load_b128 v[7:10], v[7:8]
	v_add_nc_u32_e32 v21, s2, v28
	s_clause 0x1
	scratch_store_b32 off, v31, off
	scratch_store_b96 off, v[25:27], off offset:4
	v_ashrrev_i32_e32 v22, 31, v21
	s_delay_alu instid0(VALU_DEP_1) | instskip(SKIP_1) | instid1(VALU_DEP_2)
	v_lshlrev_b64 v[22:23], 2, v[21:22]
	v_add_nc_u32_e32 v21, s2, v21
	v_add_co_u32 v0, vcc_lo, s10, v22
	s_delay_alu instid0(VALU_DEP_3) | instskip(NEXT) | instid1(VALU_DEP_2)
	v_add_co_ci_u32_e32 v22, vcc_lo, s16, v23, vcc_lo
	v_add_co_u32 v0, vcc_lo, v0, v48
	s_delay_alu instid0(VALU_DEP_2) | instskip(NEXT) | instid1(VALU_DEP_1)
	v_add_co_ci_u32_e32 v22, vcc_lo, 0, v22, vcc_lo
	v_cndmask_b32_e64 v23, s11, v22, s8
	s_delay_alu instid0(VALU_DEP_3)
	v_cndmask_b32_e64 v22, 0, v0, s8
	s_waitcnt vmcnt(0) lgkmcnt(0)
	ds_store_b128 v11, v[7:10]
	flat_load_b128 v[7:10], v[22:23]
	v_ashrrev_i32_e32 v22, 31, v21
	s_clause 0x1
	scratch_store_b32 off, v31, off
	scratch_store_b96 off, v[25:27], off offset:4
	v_lshlrev_b64 v[21:22], 2, v[21:22]
	s_delay_alu instid0(VALU_DEP_1) | instskip(NEXT) | instid1(VALU_DEP_2)
	v_add_co_u32 v0, vcc_lo, s10, v21
	v_add_co_ci_u32_e32 v11, vcc_lo, s16, v22, vcc_lo
	v_lshl_add_u32 v21, v12, 9, v48
	s_delay_alu instid0(VALU_DEP_3) | instskip(NEXT) | instid1(VALU_DEP_3)
	v_add_co_u32 v0, vcc_lo, v0, v48
	v_add_co_ci_u32_e32 v11, vcc_lo, 0, v11, vcc_lo
	v_add_nc_u32_e32 v48, 0x2800, v46
	s_delay_alu instid0(VALU_DEP_2) | instskip(NEXT) | instid1(VALU_DEP_4)
	v_cndmask_b32_e64 v12, s11, v11, s9
	v_cndmask_b32_e64 v11, 0, v0, s9
	v_sub_f32_e32 v0, v2, v4
	s_delay_alu instid0(VALU_DEP_1)
	v_dual_mul_f32 v2, 0x3fb8aa3b, v0 :: v_dual_sub_f32 v3, v3, v5
	v_cmp_ngt_f32_e32 vcc_lo, 0xc2ce8ed0, v0
	s_waitcnt vmcnt(0) lgkmcnt(0)
	ds_store_b128 v21, v[7:10]
	flat_load_b128 v[7:10], v[11:12]
	v_fma_f32 v11, 0x3fb8aa3b, v0, -v2
	v_rndne_f32_e32 v12, v2
	v_mul_f32_e32 v21, 0x3fb8aa3b, v3
	s_delay_alu instid0(VALU_DEP_3) | instskip(NEXT) | instid1(VALU_DEP_3)
	v_fmac_f32_e32 v11, 0x32a5705f, v0
	v_sub_f32_e32 v2, v2, v12
	s_delay_alu instid0(VALU_DEP_3) | instskip(SKIP_2) | instid1(VALU_DEP_4)
	v_fma_f32 v22, 0x3fb8aa3b, v3, -v21
	v_rndne_f32_e32 v23, v21
	v_cvt_i32_f32_e32 v12, v12
	v_add_f32_e32 v2, v2, v11
	s_delay_alu instid0(VALU_DEP_4) | instskip(NEXT) | instid1(VALU_DEP_4)
	v_fmac_f32_e32 v22, 0x32a5705f, v3
	v_sub_f32_e32 v11, v21, v23
	s_delay_alu instid0(VALU_DEP_3) | instskip(NEXT) | instid1(VALU_DEP_1)
	v_exp_f32_e32 v2, v2
	v_add_f32_e32 v11, v11, v22
	s_delay_alu instid0(VALU_DEP_1) | instskip(SKIP_3) | instid1(VALU_DEP_2)
	v_exp_f32_e32 v11, v11
	s_waitcnt_depctr 0xfff
	v_ldexp_f32 v2, v2, v12
	v_cvt_i32_f32_e32 v12, v23
	v_cndmask_b32_e32 v2, 0, v2, vcc_lo
	v_cmp_nlt_f32_e32 vcc_lo, 0x42b17218, v0
	s_delay_alu instid0(VALU_DEP_3) | instskip(SKIP_1) | instid1(VALU_DEP_4)
	v_ldexp_f32 v11, v11, v12
	v_add_nc_u32_e32 v12, 0x1800, v46
	v_cndmask_b32_e32 v0, 0x7f800000, v2, vcc_lo
	v_cmp_ngt_f32_e32 vcc_lo, 0xc2ce8ed0, v3
	s_delay_alu instid0(VALU_DEP_2)
	v_cvt_f16_f32_e64 v190, v0
	v_cndmask_b32_e32 v2, 0, v11, vcc_lo
	v_cmp_nlt_f32_e32 vcc_lo, 0x42b17218, v3
	v_fmac_f32_e32 v20, v45, v0
	v_add_nc_u32_e32 v0, 0x3800, v46
	v_pk_mul_f16 v191, v190, v58 op_sel_hi:[0,1]
	v_pk_mul_f16 v193, v190, v59 op_sel_hi:[0,1]
	s_delay_alu instid0(VALU_DEP_4) | instskip(NEXT) | instid1(VALU_DEP_1)
	v_dual_cndmask_b32 v2, 0x7f800000, v2 :: v_dual_mov_b32 v45, v20
	v_cvt_f16_f32_e64 v192, v2
	v_dual_fmac_f32 v1, v61, v2 :: v_dual_mov_b32 v2, v4
	v_mov_b32_e32 v3, v5
	s_delay_alu instid0(VALU_DEP_3)
	v_pk_mul_f16 v194, v192, v53 op_sel_hi:[0,1]
	v_pk_mul_f16 v195, v192, v52 op_sel_hi:[0,1]
	;; [unrolled: 1-line block ×3, first 2 shown]
	v_mov_b32_e32 v61, v1
	s_waitcnt vmcnt(0) lgkmcnt(0)
	ds_store_b128 v6, v[7:10]
	s_waitcnt lgkmcnt(0)
	s_waitcnt_vscnt null, 0x0
	s_barrier
	buffer_gl0_inv
	ds_load_2addr_b64 v[4:7], v46 offset1:32
	ds_load_b128 v[8:11], v13 offset:20992
	ds_load_b128 v[20:23], v13 offset:21008
	ds_load_b128 v[24:27], v13 offset:21024
	ds_load_b128 v[28:31], v13 offset:21040
	ds_load_2addr_b64 v[32:35], v46 offset0:64 offset1:96
	ds_load_2addr_b64 v[50:53], v46 offset0:128 offset1:160
	ds_load_2addr_b64 v[57:60], v46 offset0:192 offset1:224
	ds_load_2addr_b64 v[62:65], v36 offset1:32
	ds_load_2addr_b64 v[66:69], v36 offset0:64 offset1:96
	ds_load_2addr_b64 v[70:73], v36 offset0:128 offset1:160
	ds_load_2addr_b64 v[74:77], v36 offset0:192 offset1:224
	ds_load_2addr_b64 v[78:81], v37 offset1:32
	;; [unrolled: 4-line block ×5, first 2 shown]
	ds_load_b128 v[130:133], v13 offset:21056
	ds_load_b128 v[134:137], v13 offset:21072
	ds_load_2addr_b64 v[138:141], v48 offset0:64 offset1:96
	ds_load_2addr_b64 v[142:145], v48 offset0:128 offset1:160
	;; [unrolled: 1-line block ×3, first 2 shown]
	ds_load_2addr_b64 v[150:153], v162 offset1:32
	ds_load_2addr_b64 v[154:157], v162 offset0:64 offset1:96
	ds_load_2addr_b64 v[158:161], v162 offset0:128 offset1:160
	;; [unrolled: 1-line block ×3, first 2 shown]
	ds_load_2addr_b64 v[166:169], v0 offset1:32
	ds_load_b128 v[170:173], v13 offset:21088
	ds_load_b128 v[174:177], v13 offset:21104
	ds_load_2addr_b64 v[178:181], v0 offset0:64 offset1:96
	ds_load_2addr_b64 v[182:185], v0 offset0:128 offset1:160
	;; [unrolled: 1-line block ×3, first 2 shown]
	s_waitcnt lgkmcnt(38)
	v_pk_mul_f16 v0, v4, v8 op_sel_hi:[1,0]
	v_pk_mul_f16 v1, v4, v8 op_sel:[0,1]
	v_pk_mul_f16 v4, v5, v8 op_sel_hi:[1,0]
	v_pk_fma_f16 v5, v5, v8, v55 op_sel:[0,1,0]
	v_pk_fma_f16 v12, v6, v8, v191 op_sel_hi:[1,0,1]
	v_pk_fma_f16 v6, v6, v8, v194 op_sel:[0,1,0]
	v_pk_fma_f16 v13, v7, v8, v193 op_sel_hi:[1,0,1]
	;; [unrolled: 2-line block ×3, first 2 shown]
	v_pk_fma_f16 v1, v192, v49, v1 op_sel_hi:[0,1,1]
	v_pk_fma_f16 v4, v190, v56, v4 op_sel_hi:[0,1,1]
	s_waitcnt lgkmcnt(34)
	v_pk_fma_f16 v5, v33, v9, v5 op_sel:[0,1,0]
	v_pk_fma_f16 v8, v34, v9, v12 op_sel_hi:[1,0,1]
	v_pk_fma_f16 v6, v34, v9, v6 op_sel:[0,1,0]
	v_pk_fma_f16 v12, v35, v9, v13 op_sel_hi:[1,0,1]
	v_pk_fma_f16 v7, v35, v9, v7 op_sel:[0,1,0]
	v_pk_fma_f16 v0, v32, v9, v0 op_sel_hi:[1,0,1]
	v_pk_fma_f16 v1, v32, v9, v1 op_sel:[0,1,0]
	v_pk_fma_f16 v4, v33, v9, v4 op_sel_hi:[1,0,1]
	s_waitcnt lgkmcnt(33)
	v_pk_fma_f16 v5, v51, v10, v5 op_sel:[0,1,0]
	v_pk_fma_f16 v8, v52, v10, v8 op_sel_hi:[1,0,1]
	v_pk_fma_f16 v6, v52, v10, v6 op_sel:[0,1,0]
	v_pk_fma_f16 v9, v53, v10, v12 op_sel_hi:[1,0,1]
	v_pk_fma_f16 v7, v53, v10, v7 op_sel:[0,1,0]
	v_pk_fma_f16 v0, v50, v10, v0 op_sel_hi:[1,0,1]
	v_pk_fma_f16 v1, v50, v10, v1 op_sel:[0,1,0]
	;; [unrolled: 9-line block ×16, first 2 shown]
	v_pk_fma_f16 v4, v111, v130, v4 op_sel_hi:[1,0,1]
	v_pk_fma_f16 v5, v115, v131, v5 op_sel:[0,1,0]
	v_pk_fma_f16 v8, v116, v131, v8 op_sel_hi:[1,0,1]
	v_pk_fma_f16 v6, v116, v131, v6 op_sel:[0,1,0]
	v_pk_fma_f16 v9, v117, v131, v9 op_sel_hi:[1,0,1]
	v_pk_fma_f16 v7, v117, v131, v7 op_sel:[0,1,0]
	v_pk_fma_f16 v0, v114, v131, v0 op_sel_hi:[1,0,1]
	v_pk_fma_f16 v1, v114, v131, v1 op_sel:[0,1,0]
	v_pk_fma_f16 v4, v115, v131, v4 op_sel_hi:[1,0,1]
	v_pk_fma_f16 v5, v119, v132, v5 op_sel:[0,1,0]
	v_pk_fma_f16 v8, v120, v132, v8 op_sel_hi:[1,0,1]
	v_pk_fma_f16 v6, v120, v132, v6 op_sel:[0,1,0]
	v_pk_fma_f16 v9, v121, v132, v9 op_sel_hi:[1,0,1]
	v_pk_fma_f16 v7, v121, v132, v7 op_sel:[0,1,0]
	v_pk_fma_f16 v0, v118, v132, v0 op_sel_hi:[1,0,1]
	v_pk_fma_f16 v1, v118, v132, v1 op_sel:[0,1,0]
	v_pk_fma_f16 v4, v119, v132, v4 op_sel_hi:[1,0,1]
	v_pk_fma_f16 v5, v123, v133, v5 op_sel:[0,1,0]
	v_pk_fma_f16 v8, v124, v133, v8 op_sel_hi:[1,0,1]
	v_pk_fma_f16 v6, v124, v133, v6 op_sel:[0,1,0]
	v_pk_fma_f16 v9, v125, v133, v9 op_sel_hi:[1,0,1]
	v_pk_fma_f16 v7, v125, v133, v7 op_sel:[0,1,0]
	v_pk_fma_f16 v0, v122, v133, v0 op_sel_hi:[1,0,1]
	v_pk_fma_f16 v1, v122, v133, v1 op_sel:[0,1,0]
	v_pk_fma_f16 v4, v123, v133, v4 op_sel_hi:[1,0,1]
	s_waitcnt lgkmcnt(13)
	v_pk_fma_f16 v5, v127, v134, v5 op_sel:[0,1,0]
	v_pk_fma_f16 v8, v128, v134, v8 op_sel_hi:[1,0,1]
	v_pk_fma_f16 v6, v128, v134, v6 op_sel:[0,1,0]
	v_pk_fma_f16 v9, v129, v134, v9 op_sel_hi:[1,0,1]
	v_pk_fma_f16 v7, v129, v134, v7 op_sel:[0,1,0]
	v_pk_fma_f16 v0, v126, v134, v0 op_sel_hi:[1,0,1]
	v_pk_fma_f16 v1, v126, v134, v1 op_sel:[0,1,0]
	v_pk_fma_f16 v4, v127, v134, v4 op_sel_hi:[1,0,1]
	s_waitcnt lgkmcnt(12)
	v_pk_fma_f16 v5, v139, v135, v5 op_sel:[0,1,0]
	v_pk_fma_f16 v8, v140, v135, v8 op_sel_hi:[1,0,1]
	v_pk_fma_f16 v6, v140, v135, v6 op_sel:[0,1,0]
	v_pk_fma_f16 v9, v141, v135, v9 op_sel_hi:[1,0,1]
	v_pk_fma_f16 v7, v141, v135, v7 op_sel:[0,1,0]
	v_pk_fma_f16 v0, v138, v135, v0 op_sel_hi:[1,0,1]
	v_pk_fma_f16 v1, v138, v135, v1 op_sel:[0,1,0]
	;; [unrolled: 9-line block ×5, first 2 shown]
	v_pk_fma_f16 v4, v151, v170, v4 op_sel_hi:[1,0,1]
	v_pk_fma_f16 v5, v155, v171, v5 op_sel:[0,1,0]
	v_pk_fma_f16 v8, v156, v171, v8 op_sel_hi:[1,0,1]
	v_pk_fma_f16 v6, v156, v171, v6 op_sel:[0,1,0]
	;; [unrolled: 2-line block ×12, first 2 shown]
	v_pk_fma_f16 v4, v163, v173, v4 op_sel_hi:[1,0,1]
	s_waitcnt lgkmcnt(3)
	v_pk_fma_f16 v5, v167, v174, v5 op_sel:[0,1,0]
	v_pk_fma_f16 v8, v168, v174, v8 op_sel_hi:[1,0,1]
	v_pk_fma_f16 v6, v168, v174, v6 op_sel:[0,1,0]
	v_pk_fma_f16 v9, v169, v174, v9 op_sel_hi:[1,0,1]
	v_pk_fma_f16 v7, v169, v174, v7 op_sel:[0,1,0]
	v_pk_fma_f16 v0, v166, v174, v0 op_sel_hi:[1,0,1]
	v_pk_fma_f16 v1, v166, v174, v1 op_sel:[0,1,0]
	v_pk_fma_f16 v4, v167, v174, v4 op_sel_hi:[1,0,1]
	s_waitcnt lgkmcnt(2)
	v_pk_fma_f16 v5, v179, v175, v5 op_sel:[0,1,0]
	v_pk_fma_f16 v8, v180, v175, v8 op_sel_hi:[1,0,1]
	v_pk_fma_f16 v6, v180, v175, v6 op_sel:[0,1,0]
	v_pk_fma_f16 v9, v181, v175, v9 op_sel_hi:[1,0,1]
	v_pk_fma_f16 v7, v181, v175, v7 op_sel:[0,1,0]
	v_pk_fma_f16 v0, v178, v175, v0 op_sel_hi:[1,0,1]
	v_pk_fma_f16 v1, v178, v175, v1 op_sel:[0,1,0]
	v_pk_fma_f16 v4, v179, v175, v4 op_sel_hi:[1,0,1]
	s_waitcnt lgkmcnt(1)
	v_pk_fma_f16 v5, v183, v176, v5 op_sel:[0,1,0]
	v_pk_fma_f16 v8, v184, v176, v8 op_sel_hi:[1,0,1]
	v_pk_fma_f16 v6, v184, v176, v6 op_sel:[0,1,0]
	v_pk_fma_f16 v9, v185, v176, v9 op_sel_hi:[1,0,1]
	v_pk_fma_f16 v7, v185, v176, v7 op_sel:[0,1,0]
	v_pk_fma_f16 v0, v182, v176, v0 op_sel_hi:[1,0,1]
	v_pk_fma_f16 v1, v182, v176, v1 op_sel:[0,1,0]
	v_pk_fma_f16 v4, v183, v176, v4 op_sel_hi:[1,0,1]
	s_waitcnt lgkmcnt(0)
	v_pk_fma_f16 v55, v187, v177, v5 op_sel:[0,1,0]
	v_pk_fma_f16 v58, v188, v177, v8 op_sel_hi:[1,0,1]
	v_pk_fma_f16 v53, v188, v177, v6 op_sel:[0,1,0]
	v_pk_fma_f16 v59, v189, v177, v9 op_sel_hi:[1,0,1]
	v_pk_fma_f16 v52, v189, v177, v7 op_sel:[0,1,0]
	v_pk_fma_f16 v54, v186, v177, v0 op_sel_hi:[1,0,1]
	v_pk_fma_f16 v49, v186, v177, v1 op_sel:[0,1,0]
	v_pk_fma_f16 v56, v187, v177, v4 op_sel_hi:[1,0,1]
	v_mov_b32_e32 v6, v44
	s_barrier
	buffer_gl0_inv
.LBB49_29:
	v_cmp_lt_i32_e32 vcc_lo, v15, v18
	s_cmp_eq_u64 s[24:25], 0
	s_cselect_b32 s2, -1, 0
	s_cmp_lg_u32 s14, 0
	v_cndmask_b32_e32 v0, v6, v15, vcc_lo
	v_cmp_lt_i32_e32 vcc_lo, v14, v18
	s_cselect_b32 s3, -1, 0
	s_delay_alu instid0(SALU_CYCLE_1) | instskip(NEXT) | instid1(VALU_DEP_2)
	s_or_b32 s2, s3, s2
	v_lshlrev_b32_e32 v0, 2, v0
	v_cndmask_b32_e32 v4, v6, v14, vcc_lo
	v_cmp_lt_i32_e32 vcc_lo, v16, v18
	ds_bpermute_b32 v1, v0, v45
	v_cndmask_b32_e32 v7, v6, v16, vcc_lo
	v_cmp_lt_i32_e32 vcc_lo, v17, v18
	s_delay_alu instid0(VALU_DEP_2)
	v_lshlrev_b32_e32 v7, 2, v7
	s_waitcnt lgkmcnt(0)
	v_dual_add_f32 v1, v45, v1 :: v_dual_lshlrev_b32 v4, 2, v4
	ds_bpermute_b32 v5, v4, v1
	s_waitcnt lgkmcnt(0)
	v_add_f32_e32 v1, v1, v5
	ds_bpermute_b32 v0, v0, v61
	s_waitcnt lgkmcnt(0)
	v_add_f32_e32 v0, v61, v0
	ds_bpermute_b32 v4, v4, v0
	s_waitcnt lgkmcnt(0)
	v_add_f32_e32 v0, v0, v4
	ds_bpermute_b32 v4, v7, v1
	ds_bpermute_b32 v5, v7, v0
	v_cndmask_b32_e32 v7, v6, v17, vcc_lo
	v_cmp_lt_i32_e32 vcc_lo, v19, v18
	s_delay_alu instid0(VALU_DEP_2)
	v_lshlrev_b32_e32 v7, 2, v7
	v_cndmask_b32_e32 v6, v6, v19, vcc_lo
	s_and_b32 vcc_lo, exec_lo, s2
	s_waitcnt lgkmcnt(0)
	v_dual_add_f32 v1, v1, v4 :: v_dual_add_f32 v0, v0, v5
	ds_bpermute_b32 v4, v7, v1
	v_lshlrev_b32_e32 v6, 2, v6
	ds_bpermute_b32 v5, v7, v0
	s_waitcnt lgkmcnt(0)
	v_dual_add_f32 v1, v1, v4 :: v_dual_add_f32 v4, v0, v5
	ds_bpermute_b32 v0, v6, v1
	ds_bpermute_b32 v5, v6, v4
	s_waitcnt lgkmcnt(0)
	v_dual_add_f32 v0, v1, v0 :: v_dual_add_f32 v1, v4, v5
	s_cbranch_vccnz .LBB49_32
; %bb.30:
	s_lshl_b64 s[2:3], s[34:35], 2
	v_dual_mov_b32 v4, 0 :: v_dual_max_f32 v5, v2, v2
	s_add_u32 s2, s24, s2
	s_addc_u32 s3, s25, s3
	v_max_f32_e32 v8, v3, v3
	global_load_b32 v4, v4, s[2:3]
	s_waitcnt vmcnt(0)
	v_max_f32_e32 v7, v4, v4
	s_delay_alu instid0(VALU_DEP_1) | instskip(NEXT) | instid1(VALU_DEP_1)
	v_max_f32_e32 v6, v5, v7
	v_sub_f32_e32 v5, v4, v6
	s_delay_alu instid0(VALU_DEP_1) | instskip(SKIP_1) | instid1(VALU_DEP_2)
	v_mul_f32_e32 v9, 0x3fb8aa3b, v5
	v_dual_max_f32 v7, v8, v7 :: v_dual_sub_f32 v2, v2, v6
	v_rndne_f32_e32 v15, v9
	s_delay_alu instid0(VALU_DEP_2) | instskip(SKIP_1) | instid1(VALU_DEP_4)
	v_sub_f32_e32 v3, v3, v7
	v_sub_f32_e32 v8, v4, v7
	v_mul_f32_e32 v4, 0x3fb8aa3b, v2
	v_cmp_ngt_f32_e32 vcc_lo, 0xc2ce8ed0, v2
	s_delay_alu instid0(VALU_DEP_4) | instskip(SKIP_1) | instid1(VALU_DEP_4)
	v_mul_f32_e32 v10, 0x3fb8aa3b, v3
	v_fma_f32 v14, 0x3fb8aa3b, v5, -v9
	v_fma_f32 v12, 0x3fb8aa3b, v2, -v4
	v_rndne_f32_e32 v13, v4
	v_sub_f32_e32 v9, v9, v15
	v_fma_f32 v16, 0x3fb8aa3b, v3, -v10
	v_fmac_f32_e32 v14, 0x32a5705f, v5
	v_fmac_f32_e32 v12, 0x32a5705f, v2
	v_sub_f32_e32 v4, v4, v13
	v_rndne_f32_e32 v17, v10
	s_delay_alu instid0(VALU_DEP_4) | instskip(SKIP_1) | instid1(VALU_DEP_4)
	v_add_f32_e32 v9, v9, v14
	v_mul_f32_e32 v11, 0x3fb8aa3b, v8
	v_add_f32_e32 v4, v4, v12
	v_cvt_i32_f32_e32 v12, v13
	v_cvt_i32_f32_e32 v13, v15
	v_exp_f32_e32 v9, v9
	v_fma_f32 v18, 0x3fb8aa3b, v8, -v11
	v_exp_f32_e32 v4, v4
	v_rndne_f32_e32 v19, v11
	v_cvt_i32_f32_e32 v14, v17
	s_delay_alu instid0(VALU_DEP_2) | instskip(SKIP_1) | instid1(TRANS32_DEP_2)
	v_sub_f32_e32 v11, v11, v19
	v_cvt_i32_f32_e32 v15, v19
	v_ldexp_f32 v9, v9, v13
	s_waitcnt_depctr 0xfff
	v_ldexp_f32 v4, v4, v12
	s_delay_alu instid0(VALU_DEP_1) | instskip(SKIP_2) | instid1(VALU_DEP_1)
	v_cndmask_b32_e32 v4, 0, v4, vcc_lo
	v_cmp_ngt_f32_e32 vcc_lo, 0xc2ce8ed0, v5
	v_dual_fmac_f32 v18, 0x32a5705f, v8 :: v_dual_cndmask_b32 v9, 0, v9
	v_dual_fmac_f32 v16, 0x32a5705f, v3 :: v_dual_add_f32 v11, v11, v18
	v_cmp_ngt_f32_e32 vcc_lo, 0xc2ce8ed0, v3
	s_delay_alu instid0(VALU_DEP_2) | instskip(SKIP_3) | instid1(VALU_DEP_1)
	v_exp_f32_e32 v11, v11
	s_waitcnt_depctr 0xfff
	v_ldexp_f32 v11, v11, v15
	v_sub_f32_e32 v10, v10, v17
	v_add_f32_e32 v10, v10, v16
	s_delay_alu instid0(VALU_DEP_1) | instskip(SKIP_2) | instid1(VALU_DEP_1)
	v_exp_f32_e32 v10, v10
	s_waitcnt_depctr 0xfff
	v_ldexp_f32 v10, v10, v14
	v_cndmask_b32_e32 v10, 0, v10, vcc_lo
	v_cmp_ngt_f32_e32 vcc_lo, 0xc2ce8ed0, v8
	v_cndmask_b32_e32 v11, 0, v11, vcc_lo
	v_cmp_nlt_f32_e32 vcc_lo, 0x42b17218, v2
	v_cndmask_b32_e32 v2, 0x7f800000, v4, vcc_lo
	v_cmp_nlt_f32_e32 vcc_lo, 0x42b17218, v5
	;; [unrolled: 2-line block ×3, first 2 shown]
	s_delay_alu instid0(VALU_DEP_2) | instskip(SKIP_3) | instid1(VALU_DEP_3)
	v_fmac_f32_e32 v4, v0, v2
	v_cndmask_b32_e32 v3, 0x7f800000, v10, vcc_lo
	v_cmp_nlt_f32_e32 vcc_lo, 0x42b17218, v8
	v_cvt_f16_f32_e32 v8, v2
	v_cvt_f16_f32_e32 v0, v3
	v_cndmask_b32_e32 v5, 0x7f800000, v11, vcc_lo
	s_delay_alu instid0(VALU_DEP_3)
	v_pk_mul_f16 v54, v8, v54 op_sel_hi:[0,1]
	v_pk_mul_f16 v56, v8, v56 op_sel_hi:[0,1]
	;; [unrolled: 1-line block ×4, first 2 shown]
	v_fmac_f32_e32 v5, v1, v3
	v_pk_mul_f16 v55, v0, v55 op_sel_hi:[0,1]
	v_pk_mul_f16 v53, v0, v53 op_sel_hi:[0,1]
	;; [unrolled: 1-line block ×3, first 2 shown]
	v_mov_b32_e32 v0, v4
	v_dual_mov_b32 v2, v6 :: v_dual_mov_b32 v3, v7
	v_pk_mul_f16 v59, v8, v59 op_sel_hi:[0,1]
	v_mov_b32_e32 v1, v5
	s_mov_b32 s2, exec_lo
	v_cmpx_gt_i32_e64 s38, v42
	s_cbranch_execnz .LBB49_33
.LBB49_31:
	s_nop 0
	s_sendmsg sendmsg(MSG_DEALLOC_VGPRS)
	s_endpgm
.LBB49_32:
	s_delay_alu instid0(VALU_DEP_1)
	v_dual_mov_b32 v4, v0 :: v_dual_mov_b32 v5, v1
	s_mov_b32 s2, exec_lo
	v_cmpx_gt_i32_e64 s38, v42
	s_cbranch_execz .LBB49_31
.LBB49_33:
	s_load_b32 s1, s[0:1], 0xd4
	v_mov_b32_e32 v8, 1.0
	s_waitcnt lgkmcnt(0)
	s_cmp_lg_u32 s1, 1
	s_cselect_b32 s4, -1, 0
	s_cmp_eq_u32 s1, 1
	s_cselect_b32 s2, -1, 0
	s_and_b32 vcc_lo, exec_lo, s4
	s_cbranch_vccnz .LBB49_35
; %bb.34:
	v_div_scale_f32 v6, null, v4, v4, 1.0
	s_delay_alu instid0(VALU_DEP_1) | instskip(SKIP_2) | instid1(VALU_DEP_1)
	v_rcp_f32_e32 v7, v6
	s_waitcnt_depctr 0xfff
	v_fma_f32 v8, -v6, v7, 1.0
	v_fmac_f32_e32 v7, v8, v7
	v_div_scale_f32 v8, vcc_lo, 1.0, v4, 1.0
	s_delay_alu instid0(VALU_DEP_1) | instskip(NEXT) | instid1(VALU_DEP_1)
	v_mul_f32_e32 v9, v8, v7
	v_fma_f32 v10, -v6, v9, v8
	s_delay_alu instid0(VALU_DEP_1) | instskip(NEXT) | instid1(VALU_DEP_1)
	v_fmac_f32_e32 v9, v10, v7
	v_fma_f32 v6, -v6, v9, v8
	s_delay_alu instid0(VALU_DEP_1) | instskip(NEXT) | instid1(VALU_DEP_1)
	v_div_fmas_f32 v6, v6, v7, v9
	v_div_fixup_f32 v8, v6, v4, 1.0
.LBB49_35:
	s_mul_i32 s3, s12, s38
	v_lshrrev_b32_e32 v12, 16, v54
	s_add_i32 s3, s3, s15
	v_cvt_f32_f16_e32 v13, v54
	v_add_nc_u32_e32 v4, s3, v41
	v_mov_b32_e32 v18, 0
	v_lshrrev_b32_e32 v14, 16, v59
	v_lshrrev_b32_e32 v16, 16, v58
	v_cvt_f32_f16_e32 v19, v58
	v_mad_u64_u32 v[9:10], null, v4, s39, s[34:35]
	v_lshrrev_b32_e32 v4, 16, v56
	v_cvt_f32_f16_e32 v10, v56
	v_cvt_f32_f16_e32 v14, v14
	v_cmp_eq_u32_e32 vcc_lo, 0, v43
	s_delay_alu instid0(VALU_DEP_4)
	v_cvt_f32_f16_e32 v4, v4
	v_mad_u64_u32 v[6:7], null, s1, v9, s[14:15]
	v_mul_f32_e32 v9, v8, v13
	v_cvt_f32_f16_e32 v7, v59
	v_mul_f32_e32 v11, v8, v10
	v_cvt_f32_f16_e32 v10, v12
	v_mul_f32_e32 v13, v8, v19
	v_mul_f32_e32 v12, v8, v4
	v_lshl_add_u32 v17, v6, 8, v40
	v_mul_f32_e32 v15, v8, v7
	v_cvt_f32_f16_e32 v7, v16
	v_mul_f32_e32 v10, v8, v10
	v_mul_f32_e32 v16, v8, v14
	v_lshlrev_b64 v[19:20], 2, v[17:18]
	s_delay_alu instid0(VALU_DEP_4) | instskip(NEXT) | instid1(VALU_DEP_1)
	v_dual_mul_f32 v14, v8, v7 :: v_dual_add_nc_u32 v17, 0x80, v17
	v_lshlrev_b64 v[7:8], 2, v[17:18]
	s_delay_alu instid0(VALU_DEP_3) | instskip(NEXT) | instid1(VALU_DEP_1)
	v_add_co_u32 v17, s0, s28, v19
	v_add_co_ci_u32_e64 v18, s0, s29, v20, s0
	s_delay_alu instid0(VALU_DEP_3) | instskip(NEXT) | instid1(VALU_DEP_1)
	v_add_co_u32 v7, s0, s28, v7
	v_add_co_ci_u32_e64 v8, s0, s29, v8, s0
	s_and_b32 s0, vcc_lo, s4
	s_clause 0x1
	global_store_b128 v[17:18], v[9:12], off
	global_store_b128 v[7:8], v[13:16], off
	s_and_saveexec_b32 s4, s0
	s_cbranch_execz .LBB49_37
; %bb.36:
	v_ashrrev_i32_e32 v7, 31, v6
	v_dual_mov_b32 v8, v2 :: v_dual_mov_b32 v9, v0
	s_delay_alu instid0(VALU_DEP_2) | instskip(NEXT) | instid1(VALU_DEP_1)
	v_lshlrev_b64 v[6:7], 3, v[6:7]
	v_add_co_u32 v6, vcc_lo, s30, v6
	s_delay_alu instid0(VALU_DEP_2)
	v_add_co_ci_u32_e32 v7, vcc_lo, s31, v7, vcc_lo
	global_store_b64 v[6:7], v[8:9], off
.LBB49_37:
	s_or_b32 exec_lo, exec_lo, s4
	v_cmp_gt_i32_e32 vcc_lo, s38, v39
	s_and_b32 exec_lo, exec_lo, vcc_lo
	s_cbranch_execz .LBB49_31
; %bb.38:
	v_mov_b32_e32 v0, 1.0
	s_and_not1_b32 vcc_lo, exec_lo, s2
	s_cbranch_vccnz .LBB49_40
; %bb.39:
	v_div_scale_f32 v0, null, v5, v5, 1.0
	s_delay_alu instid0(VALU_DEP_1) | instskip(SKIP_2) | instid1(VALU_DEP_1)
	v_rcp_f32_e32 v2, v0
	s_waitcnt_depctr 0xfff
	v_fma_f32 v4, -v0, v2, 1.0
	v_fmac_f32_e32 v2, v4, v2
	v_div_scale_f32 v4, vcc_lo, 1.0, v5, 1.0
	s_delay_alu instid0(VALU_DEP_1) | instskip(NEXT) | instid1(VALU_DEP_1)
	v_mul_f32_e32 v6, v4, v2
	v_fma_f32 v7, -v0, v6, v4
	s_delay_alu instid0(VALU_DEP_1) | instskip(NEXT) | instid1(VALU_DEP_1)
	v_fmac_f32_e32 v6, v7, v2
	v_fma_f32 v0, -v0, v6, v4
	s_delay_alu instid0(VALU_DEP_1) | instskip(NEXT) | instid1(VALU_DEP_1)
	v_div_fmas_f32 v0, v0, v2, v6
	v_div_fixup_f32 v0, v0, v5, 1.0
.LBB49_40:
	v_add_nc_u32_e32 v2, s3, v38
	v_cvt_f32_f16_e32 v9, v49
	v_mov_b32_e32 v14, 0
	v_cvt_f32_f16_e32 v15, v53
	v_lshrrev_b32_e32 v8, 16, v49
	v_mad_u64_u32 v[6:7], null, v2, s39, s[34:35]
	v_lshrrev_b32_e32 v2, 16, v55
	v_lshrrev_b32_e32 v10, 16, v52
	;; [unrolled: 1-line block ×3, first 2 shown]
	v_cvt_f32_f16_e32 v17, v8
	v_cvt_f32_f16_e32 v7, v55
	;; [unrolled: 1-line block ×3, first 2 shown]
	v_mad_u64_u32 v[4:5], null, s1, v6, s[14:15]
	v_mul_f32_e32 v5, v0, v9
	v_mul_f32_e32 v9, v0, v15
	v_cvt_f32_f16_e32 v6, v52
	v_cvt_f32_f16_e32 v10, v10
	;; [unrolled: 1-line block ×3, first 2 shown]
	v_mul_f32_e32 v7, v0, v7
	v_lshl_add_u32 v13, v4, 8, v40
	v_mul_f32_e32 v11, v0, v6
	v_mul_f32_e32 v6, v0, v17
	;; [unrolled: 1-line block ×4, first 2 shown]
	v_lshlrev_b64 v[15:16], 2, v[13:14]
	v_dual_mul_f32 v8, v0, v2 :: v_dual_add_nc_u32 v13, 0x80, v13
	s_delay_alu instid0(VALU_DEP_1) | instskip(NEXT) | instid1(VALU_DEP_3)
	v_lshlrev_b64 v[13:14], 2, v[13:14]
	v_add_co_u32 v15, vcc_lo, s28, v15
	s_delay_alu instid0(VALU_DEP_4) | instskip(NEXT) | instid1(VALU_DEP_3)
	v_add_co_ci_u32_e32 v16, vcc_lo, s29, v16, vcc_lo
	v_add_co_u32 v13, vcc_lo, s28, v13
	s_delay_alu instid0(VALU_DEP_4)
	v_add_co_ci_u32_e32 v14, vcc_lo, s29, v14, vcc_lo
	s_clause 0x1
	global_store_b128 v[15:16], v[5:8], off
	global_store_b128 v[13:14], v[9:12], off
	s_and_b32 exec_lo, exec_lo, s0
	s_cbranch_execz .LBB49_31
; %bb.41:
	v_ashrrev_i32_e32 v5, 31, v4
	v_mov_b32_e32 v0, v3
	s_delay_alu instid0(VALU_DEP_2) | instskip(NEXT) | instid1(VALU_DEP_1)
	v_lshlrev_b64 v[4:5], 3, v[4:5]
	v_add_co_u32 v4, vcc_lo, s30, v4
	s_delay_alu instid0(VALU_DEP_2)
	v_add_co_ci_u32_e32 v5, vcc_lo, s31, v5, vcc_lo
	global_store_b64 v[4:5], v[0:1], off
	s_nop 0
	s_sendmsg sendmsg(MSG_DEALLOC_VGPRS)
	s_endpgm
	.section	.rodata,"a",@progbits
	.p2align	6, 0x0
	.amdhsa_kernel _ZL15flash_attn_tileILi256ELi256ELi8ELi1ELb0EEvPKcS1_S1_S1_S1_PKiPfP15HIP_vector_typeIfLj2EEffffjfiS5_IjLj3EEiiiiiiiiiiiliiliiiiil
		.amdhsa_group_segment_fixed_size 21504
		.amdhsa_private_segment_fixed_size 32
		.amdhsa_kernarg_size 464
		.amdhsa_user_sgpr_count 13
		.amdhsa_user_sgpr_dispatch_ptr 0
		.amdhsa_user_sgpr_queue_ptr 0
		.amdhsa_user_sgpr_kernarg_segment_ptr 1
		.amdhsa_user_sgpr_dispatch_id 0
		.amdhsa_user_sgpr_private_segment_size 0
		.amdhsa_wavefront_size32 1
		.amdhsa_uses_dynamic_stack 0
		.amdhsa_enable_private_segment 1
		.amdhsa_system_sgpr_workgroup_id_x 1
		.amdhsa_system_sgpr_workgroup_id_y 1
		.amdhsa_system_sgpr_workgroup_id_z 1
		.amdhsa_system_sgpr_workgroup_info 0
		.amdhsa_system_vgpr_workitem_id 1
		.amdhsa_next_free_vgpr 196
		.amdhsa_next_free_sgpr 47
		.amdhsa_reserve_vcc 1
		.amdhsa_float_round_mode_32 0
		.amdhsa_float_round_mode_16_64 0
		.amdhsa_float_denorm_mode_32 3
		.amdhsa_float_denorm_mode_16_64 3
		.amdhsa_dx10_clamp 1
		.amdhsa_ieee_mode 1
		.amdhsa_fp16_overflow 0
		.amdhsa_workgroup_processor_mode 1
		.amdhsa_memory_ordered 1
		.amdhsa_forward_progress 0
		.amdhsa_shared_vgpr_count 0
		.amdhsa_exception_fp_ieee_invalid_op 0
		.amdhsa_exception_fp_denorm_src 0
		.amdhsa_exception_fp_ieee_div_zero 0
		.amdhsa_exception_fp_ieee_overflow 0
		.amdhsa_exception_fp_ieee_underflow 0
		.amdhsa_exception_fp_ieee_inexact 0
		.amdhsa_exception_int_div_zero 0
	.end_amdhsa_kernel
	.section	.text._ZL15flash_attn_tileILi256ELi256ELi8ELi1ELb0EEvPKcS1_S1_S1_S1_PKiPfP15HIP_vector_typeIfLj2EEffffjfiS5_IjLj3EEiiiiiiiiiiiliiliiiiil,"axG",@progbits,_ZL15flash_attn_tileILi256ELi256ELi8ELi1ELb0EEvPKcS1_S1_S1_S1_PKiPfP15HIP_vector_typeIfLj2EEffffjfiS5_IjLj3EEiiiiiiiiiiiliiliiiiil,comdat
.Lfunc_end49:
	.size	_ZL15flash_attn_tileILi256ELi256ELi8ELi1ELb0EEvPKcS1_S1_S1_S1_PKiPfP15HIP_vector_typeIfLj2EEffffjfiS5_IjLj3EEiiiiiiiiiiiliiliiiiil, .Lfunc_end49-_ZL15flash_attn_tileILi256ELi256ELi8ELi1ELb0EEvPKcS1_S1_S1_S1_PKiPfP15HIP_vector_typeIfLj2EEffffjfiS5_IjLj3EEiiiiiiiiiiiliiliiiiil
                                        ; -- End function
	.section	.AMDGPU.csdata,"",@progbits
; Kernel info:
; codeLenInByte = 27708
; NumSgprs: 49
; NumVgprs: 196
; ScratchSize: 32
; MemoryBound: 0
; FloatMode: 240
; IeeeMode: 1
; LDSByteSize: 21504 bytes/workgroup (compile time only)
; SGPRBlocks: 6
; VGPRBlocks: 24
; NumSGPRsForWavesPerEU: 49
; NumVGPRsForWavesPerEU: 196
; Occupancy: 6
; WaveLimiterHint : 1
; COMPUTE_PGM_RSRC2:SCRATCH_EN: 1
; COMPUTE_PGM_RSRC2:USER_SGPR: 13
; COMPUTE_PGM_RSRC2:TRAP_HANDLER: 0
; COMPUTE_PGM_RSRC2:TGID_X_EN: 1
; COMPUTE_PGM_RSRC2:TGID_Y_EN: 1
; COMPUTE_PGM_RSRC2:TGID_Z_EN: 1
; COMPUTE_PGM_RSRC2:TIDIG_COMP_CNT: 1
	.section	.text._ZL33flash_attn_stream_k_fixup_uniformILi256ELi8ELi1EEvPfPK15HIP_vector_typeIfLj2EEiiiiiiS1_IjLj3EES5_S5_,"axG",@progbits,_ZL33flash_attn_stream_k_fixup_uniformILi256ELi8ELi1EEvPfPK15HIP_vector_typeIfLj2EEiiiiiiS1_IjLj3EES5_S5_,comdat
	.globl	_ZL33flash_attn_stream_k_fixup_uniformILi256ELi8ELi1EEvPfPK15HIP_vector_typeIfLj2EEiiiiiiS1_IjLj3EES5_S5_ ; -- Begin function _ZL33flash_attn_stream_k_fixup_uniformILi256ELi8ELi1EEvPfPK15HIP_vector_typeIfLj2EEiiiiiiS1_IjLj3EES5_S5_
	.p2align	8
	.type	_ZL33flash_attn_stream_k_fixup_uniformILi256ELi8ELi1EEvPfPK15HIP_vector_typeIfLj2EEiiiiiiS1_IjLj3EES5_S5_,@function
_ZL33flash_attn_stream_k_fixup_uniformILi256ELi8ELi1EEvPfPK15HIP_vector_typeIfLj2EEiiiiiiS1_IjLj3EES5_S5_: ; @_ZL33flash_attn_stream_k_fixup_uniformILi256ELi8ELi1EEvPfPK15HIP_vector_typeIfLj2EEiiiiiiS1_IjLj3EES5_S5_
; %bb.0:
	s_clause 0x1
	s_load_b256 s[4:11], s[0:1], 0x1c
	s_load_b128 s[16:19], s[0:1], 0x3c
	s_waitcnt lgkmcnt(0)
	s_mul_hi_u32 s2, s7, s13
	s_delay_alu instid0(SALU_CYCLE_1) | instskip(NEXT) | instid1(SALU_CYCLE_1)
	s_add_i32 s2, s13, s2
	s_lshr_b32 s2, s2, s8
	s_delay_alu instid0(SALU_CYCLE_1) | instskip(SKIP_2) | instid1(SALU_CYCLE_1)
	s_mul_i32 s3, s2, s9
	s_load_b64 s[8:9], s[0:1], 0x10
	s_sub_i32 s7, s13, s3
	s_mul_hi_u32 s3, s7, s10
	s_delay_alu instid0(SALU_CYCLE_1) | instskip(NEXT) | instid1(SALU_CYCLE_1)
	s_add_i32 s3, s7, s3
	s_lshr_b32 s3, s3, s11
	s_delay_alu instid0(SALU_CYCLE_1) | instskip(NEXT) | instid1(SALU_CYCLE_1)
	s_mul_i32 s10, s3, s16
	s_sub_i32 s10, s7, s10
	s_delay_alu instid0(SALU_CYCLE_1) | instskip(NEXT) | instid1(SALU_CYCLE_1)
	s_mul_hi_u32 s7, s10, s17
	s_add_i32 s7, s10, s7
	s_delay_alu instid0(SALU_CYCLE_1) | instskip(NEXT) | instid1(SALU_CYCLE_1)
	s_lshr_b32 s7, s7, s18
	s_mul_i32 s11, s7, s19
	s_delay_alu instid0(SALU_CYCLE_1) | instskip(NEXT) | instid1(SALU_CYCLE_1)
	s_sub_i32 s10, s10, s11
	s_lshl_b32 s11, s10, 3
	s_delay_alu instid0(SALU_CYCLE_1) | instskip(SKIP_4) | instid1(SALU_CYCLE_1)
	s_add_i32 s11, s11, s14
	s_waitcnt lgkmcnt(0)
	s_cmp_lt_i32 s11, s8
	s_cselect_b32 s11, -1, 0
	s_add_i32 s12, s7, s15
	s_cmp_lt_i32 s12, s5
	s_cselect_b32 s12, -1, 0
	s_delay_alu instid0(SALU_CYCLE_1) | instskip(NEXT) | instid1(SALU_CYCLE_1)
	s_and_b32 s11, s11, s12
	s_and_not1_b32 vcc_lo, exec_lo, s11
	s_cbranch_vccnz .LBB50_6
; %bb.1:
	s_mul_i32 s2, s2, s8
	s_mul_i32 s5, s3, s5
	s_add_i32 s2, s2, s14
	s_delay_alu instid0(SALU_CYCLE_1) | instskip(NEXT) | instid1(SALU_CYCLE_1)
	s_mul_i32 s2, s2, s9
	s_add_i32 s8, s2, s15
	s_load_b128 s[0:3], s[0:1], 0x0
	s_add_i32 s5, s8, s5
	s_mul_i32 s8, s9, s10
	s_add_i32 s5, s5, s7
	s_lshl_b32 s7, s8, 11
	s_lshl_b32 s5, s5, 8
	s_add_i32 s10, s14, s15
	s_add_i32 s7, s7, s5
	s_mul_i32 s5, s13, s6
	v_or_b32_e32 v1, s7, v0
	s_add_i32 s9, s5, s6
	s_delay_alu instid0(VALU_DEP_1) | instskip(NEXT) | instid1(VALU_DEP_1)
	v_ashrrev_i32_e32 v2, 31, v1
	v_lshlrev_b64 v[1:2], 2, v[1:2]
	s_waitcnt lgkmcnt(0)
	s_delay_alu instid0(VALU_DEP_1) | instskip(NEXT) | instid1(VALU_DEP_2)
	v_add_co_u32 v1, vcc_lo, s0, v1
	v_add_co_ci_u32_e32 v2, vcc_lo, s1, v2, vcc_lo
	s_lshl_b32 s0, s9, 3
	s_delay_alu instid0(SALU_CYCLE_1) | instskip(SKIP_2) | instid1(SALU_CYCLE_1)
	s_add_i32 s0, s10, s0
	global_load_b32 v5, v[1:2], off
	s_add_i32 s0, s0, -8
	s_ashr_i32 s1, s0, 31
	s_delay_alu instid0(SALU_CYCLE_1) | instskip(NEXT) | instid1(SALU_CYCLE_1)
	s_lshl_b64 s[0:1], s[0:1], 3
	s_add_u32 s0, s2, s0
	s_addc_u32 s1, s3, s1
	s_add_i32 s7, s9, -2
	s_load_b32 s11, s[0:1], 0x4
	s_cmp_lt_i32 s7, s5
	s_cbranch_scc1 .LBB50_4
; %bb.2:
	s_lshl_b32 s14, s4, 5
	s_load_b32 s12, s[0:1], 0x0
	s_ashr_i32 s15, s14, 31
	s_delay_alu instid0(SALU_CYCLE_1) | instskip(NEXT) | instid1(SALU_CYCLE_1)
	s_lshl_b64 s[0:1], s[14:15], 2
	s_add_u32 s7, s2, s0
	s_addc_u32 s8, s3, s1
	s_add_i32 s13, s13, 1
	s_lshl_b32 s1, s10, 8
	s_mul_i32 s0, s6, s13
	s_delay_alu instid0(SALU_CYCLE_1)
	s_lshl_b32 s6, s0, 11
	s_lshl_b32 s0, s0, 3
	s_add_i32 s1, s1, s6
	s_add_i32 s0, s10, s0
	v_or_b32_e32 v0, s1, v0
	s_lshl_b32 s1, s4, 3
	s_waitcnt lgkmcnt(0)
	v_mov_b32_e32 v6, s11
	s_add_i32 s0, s0, s1
	s_add_i32 s4, s9, -1
	v_dual_mov_b32 v0, s12 :: v_dual_add_nc_u32 v3, 0xfffff000, v0
	s_add_i32 s0, s0, -16
.LBB50_3:                               ; =>This Inner Loop Header: Depth=1
	s_delay_alu instid0(VALU_DEP_1) | instskip(SKIP_1) | instid1(SALU_CYCLE_1)
	v_ashrrev_i32_e32 v4, 31, v3
	s_ashr_i32 s1, s0, 31
	s_lshl_b64 s[10:11], s[0:1], 3
	s_delay_alu instid0(SALU_CYCLE_1) | instskip(NEXT) | instid1(VALU_DEP_1)
	s_add_u32 s10, s2, s10
	v_lshlrev_b64 v[7:8], 2, v[3:4]
	s_addc_u32 s11, s3, s11
	s_add_i32 s4, s4, -1
	s_add_i32 s0, s0, -8
	s_cmp_le_i32 s4, s5
	s_load_b64 s[10:11], s[10:11], 0x0
	v_add_co_u32 v7, vcc_lo, s7, v7
	v_add_co_ci_u32_e32 v8, vcc_lo, s8, v8, vcc_lo
	global_load_b32 v4, v[7:8], off
	v_max_f32_e32 v7, v0, v0
	s_waitcnt lgkmcnt(0)
	v_max_f32_e64 v8, s10, s10
	s_delay_alu instid0(VALU_DEP_1) | instskip(NEXT) | instid1(VALU_DEP_1)
	v_max_f32_e32 v7, v7, v8
	v_sub_f32_e32 v8, s10, v7
	s_delay_alu instid0(VALU_DEP_1) | instskip(NEXT) | instid1(VALU_DEP_1)
	v_dual_sub_f32 v0, v0, v7 :: v_dual_mul_f32 v9, 0x3fb8aa3b, v8
	v_fma_f32 v10, 0x3fb8aa3b, v8, -v9
	v_rndne_f32_e32 v11, v9
	s_delay_alu instid0(VALU_DEP_3) | instskip(NEXT) | instid1(VALU_DEP_2)
	v_mul_f32_e32 v12, 0x3fb8aa3b, v0
	v_dual_fmac_f32 v10, 0x32a5705f, v8 :: v_dual_sub_f32 v9, v9, v11
	v_cvt_i32_f32_e32 v11, v11
	s_delay_alu instid0(VALU_DEP_3) | instskip(SKIP_1) | instid1(VALU_DEP_4)
	v_fma_f32 v13, 0x3fb8aa3b, v0, -v12
	v_rndne_f32_e32 v14, v12
	v_add_f32_e32 v9, v9, v10
	v_cmp_ngt_f32_e32 vcc_lo, 0xc2ce8ed0, v8
	s_delay_alu instid0(VALU_DEP_3) | instskip(NEXT) | instid1(VALU_DEP_3)
	v_sub_f32_e32 v10, v12, v14
	v_exp_f32_e32 v9, v9
	s_waitcnt_depctr 0xfff
	v_ldexp_f32 v9, v9, v11
	v_cvt_i32_f32_e32 v11, v14
	s_delay_alu instid0(VALU_DEP_2) | instskip(SKIP_1) | instid1(VALU_DEP_2)
	v_cndmask_b32_e32 v9, 0, v9, vcc_lo
	v_cmp_nlt_f32_e32 vcc_lo, 0x42b17218, v8
	v_cndmask_b32_e32 v9, 0x7f800000, v9, vcc_lo
	v_cmp_ngt_f32_e32 vcc_lo, 0xc2ce8ed0, v0
	v_fmac_f32_e32 v13, 0x32a5705f, v0
	s_delay_alu instid0(VALU_DEP_1) | instskip(NEXT) | instid1(VALU_DEP_1)
	v_add_f32_e32 v10, v10, v13
	v_exp_f32_e32 v10, v10
	s_waitcnt_depctr 0xfff
	v_ldexp_f32 v10, v10, v11
	s_delay_alu instid0(VALU_DEP_1)
	v_dual_mov_b32 v11, v6 :: v_dual_cndmask_b32 v10, 0, v10
	v_cmp_le_f32_e32 vcc_lo, 0xc1a00000, v8
	s_waitcnt vmcnt(1)
	v_dual_cndmask_b32 v8, 0, v9 :: v_dual_mov_b32 v9, v5
	v_cmp_nlt_f32_e32 vcc_lo, 0x42b17218, v0
	v_cndmask_b32_e32 v5, 0x7f800000, v10, vcc_lo
	s_delay_alu instid0(VALU_DEP_3) | instskip(SKIP_2) | instid1(VALU_DEP_3)
	v_mul_f32_e32 v10, s11, v8
	v_cmp_le_f32_e32 vcc_lo, 0xc1a00000, v0
	v_mov_b32_e32 v0, v7
	v_mov_b32_e32 v6, v10
	s_waitcnt vmcnt(0)
	v_dual_cndmask_b32 v12, 0, v5 :: v_dual_mul_f32 v5, v4, v8
	s_delay_alu instid0(VALU_DEP_1) | instskip(NEXT) | instid1(VALU_DEP_2)
	v_dual_fmac_f32 v6, v11, v12 :: v_dual_add_nc_u32 v3, 0xfffff800, v3
	v_fmac_f32_e32 v5, v9, v12
	s_cbranch_scc0 .LBB50_3
	s_branch .LBB50_5
.LBB50_4:
	s_waitcnt lgkmcnt(0)
	v_mov_b32_e32 v6, s11
.LBB50_5:
	s_waitcnt vmcnt(0)
	s_delay_alu instid0(VALU_DEP_1) | instskip(NEXT) | instid1(VALU_DEP_1)
	v_div_scale_f32 v0, null, v6, v6, v5
	v_rcp_f32_e32 v3, v0
	s_waitcnt_depctr 0xfff
	v_fma_f32 v4, -v0, v3, 1.0
	s_delay_alu instid0(VALU_DEP_1) | instskip(SKIP_1) | instid1(VALU_DEP_1)
	v_fmac_f32_e32 v3, v4, v3
	v_div_scale_f32 v4, vcc_lo, v5, v6, v5
	v_mul_f32_e32 v7, v4, v3
	s_delay_alu instid0(VALU_DEP_1) | instskip(NEXT) | instid1(VALU_DEP_1)
	v_fma_f32 v8, -v0, v7, v4
	v_fmac_f32_e32 v7, v8, v3
	s_delay_alu instid0(VALU_DEP_1) | instskip(NEXT) | instid1(VALU_DEP_1)
	v_fma_f32 v0, -v0, v7, v4
	v_div_fmas_f32 v0, v0, v3, v7
	s_delay_alu instid0(VALU_DEP_1)
	v_div_fixup_f32 v0, v0, v6, v5
	global_store_b32 v[1:2], v0, off
.LBB50_6:
	s_nop 0
	s_sendmsg sendmsg(MSG_DEALLOC_VGPRS)
	s_endpgm
	.section	.rodata,"a",@progbits
	.p2align	6, 0x0
	.amdhsa_kernel _ZL33flash_attn_stream_k_fixup_uniformILi256ELi8ELi1EEvPfPK15HIP_vector_typeIfLj2EEiiiiiiS1_IjLj3EES5_S5_
		.amdhsa_group_segment_fixed_size 0
		.amdhsa_private_segment_fixed_size 0
		.amdhsa_kernarg_size 76
		.amdhsa_user_sgpr_count 13
		.amdhsa_user_sgpr_dispatch_ptr 0
		.amdhsa_user_sgpr_queue_ptr 0
		.amdhsa_user_sgpr_kernarg_segment_ptr 1
		.amdhsa_user_sgpr_dispatch_id 0
		.amdhsa_user_sgpr_private_segment_size 0
		.amdhsa_wavefront_size32 1
		.amdhsa_uses_dynamic_stack 0
		.amdhsa_enable_private_segment 0
		.amdhsa_system_sgpr_workgroup_id_x 1
		.amdhsa_system_sgpr_workgroup_id_y 1
		.amdhsa_system_sgpr_workgroup_id_z 1
		.amdhsa_system_sgpr_workgroup_info 0
		.amdhsa_system_vgpr_workitem_id 0
		.amdhsa_next_free_vgpr 15
		.amdhsa_next_free_sgpr 20
		.amdhsa_reserve_vcc 1
		.amdhsa_float_round_mode_32 0
		.amdhsa_float_round_mode_16_64 0
		.amdhsa_float_denorm_mode_32 3
		.amdhsa_float_denorm_mode_16_64 3
		.amdhsa_dx10_clamp 1
		.amdhsa_ieee_mode 1
		.amdhsa_fp16_overflow 0
		.amdhsa_workgroup_processor_mode 1
		.amdhsa_memory_ordered 1
		.amdhsa_forward_progress 0
		.amdhsa_shared_vgpr_count 0
		.amdhsa_exception_fp_ieee_invalid_op 0
		.amdhsa_exception_fp_denorm_src 0
		.amdhsa_exception_fp_ieee_div_zero 0
		.amdhsa_exception_fp_ieee_overflow 0
		.amdhsa_exception_fp_ieee_underflow 0
		.amdhsa_exception_fp_ieee_inexact 0
		.amdhsa_exception_int_div_zero 0
	.end_amdhsa_kernel
	.section	.text._ZL33flash_attn_stream_k_fixup_uniformILi256ELi8ELi1EEvPfPK15HIP_vector_typeIfLj2EEiiiiiiS1_IjLj3EES5_S5_,"axG",@progbits,_ZL33flash_attn_stream_k_fixup_uniformILi256ELi8ELi1EEvPfPK15HIP_vector_typeIfLj2EEiiiiiiS1_IjLj3EES5_S5_,comdat
.Lfunc_end50:
	.size	_ZL33flash_attn_stream_k_fixup_uniformILi256ELi8ELi1EEvPfPK15HIP_vector_typeIfLj2EEiiiiiiS1_IjLj3EES5_S5_, .Lfunc_end50-_ZL33flash_attn_stream_k_fixup_uniformILi256ELi8ELi1EEvPfPK15HIP_vector_typeIfLj2EEiiiiiiS1_IjLj3EES5_S5_
                                        ; -- End function
	.section	.AMDGPU.csdata,"",@progbits
; Kernel info:
; codeLenInByte = 976
; NumSgprs: 22
; NumVgprs: 15
; ScratchSize: 0
; MemoryBound: 0
; FloatMode: 240
; IeeeMode: 1
; LDSByteSize: 0 bytes/workgroup (compile time only)
; SGPRBlocks: 2
; VGPRBlocks: 1
; NumSGPRsForWavesPerEU: 22
; NumVGPRsForWavesPerEU: 15
; Occupancy: 16
; WaveLimiterHint : 0
; COMPUTE_PGM_RSRC2:SCRATCH_EN: 0
; COMPUTE_PGM_RSRC2:USER_SGPR: 13
; COMPUTE_PGM_RSRC2:TRAP_HANDLER: 0
; COMPUTE_PGM_RSRC2:TGID_X_EN: 1
; COMPUTE_PGM_RSRC2:TGID_Y_EN: 1
; COMPUTE_PGM_RSRC2:TGID_Z_EN: 1
; COMPUTE_PGM_RSRC2:TIDIG_COMP_CNT: 0
	.section	.text._ZL33flash_attn_stream_k_fixup_generalILi256ELi8ELi1EEvPfPK15HIP_vector_typeIfLj2EEiiiiS1_IjLj3EES5_S5_S5_,"axG",@progbits,_ZL33flash_attn_stream_k_fixup_generalILi256ELi8ELi1EEvPfPK15HIP_vector_typeIfLj2EEiiiiS1_IjLj3EES5_S5_S5_,comdat
	.globl	_ZL33flash_attn_stream_k_fixup_generalILi256ELi8ELi1EEvPfPK15HIP_vector_typeIfLj2EEiiiiS1_IjLj3EES5_S5_S5_ ; -- Begin function _ZL33flash_attn_stream_k_fixup_generalILi256ELi8ELi1EEvPfPK15HIP_vector_typeIfLj2EEiiiiS1_IjLj3EES5_S5_S5_
	.p2align	8
	.type	_ZL33flash_attn_stream_k_fixup_generalILi256ELi8ELi1EEvPfPK15HIP_vector_typeIfLj2EEiiiiS1_IjLj3EES5_S5_S5_,@function
_ZL33flash_attn_stream_k_fixup_generalILi256ELi8ELi1EEvPfPK15HIP_vector_typeIfLj2EEiiiiS1_IjLj3EES5_S5_S5_: ; @_ZL33flash_attn_stream_k_fixup_generalILi256ELi8ELi1EEvPfPK15HIP_vector_typeIfLj2EEiiiiS1_IjLj3EES5_S5_S5_
; %bb.0:
	s_clause 0x1
	s_load_b128 s[4:7], s[0:1], 0x10
	s_load_b32 s20, s[0:1], 0x50
	s_mov_b32 s2, 0
	s_waitcnt lgkmcnt(0)
	s_mul_hi_i32 s3, s7, s13
	s_mul_i32 s12, s7, s13
	s_cmp_lg_u64 s[2:3], 0
	s_cbranch_scc0 .LBB51_21
; %bb.1:
	v_cvt_f32_ubyte0_e32 v1, 0
	v_cvt_f32_u32_e32 v2, s20
	s_sub_u32 s10, 0, s20
	s_subb_u32 s11, 0, 0
	s_delay_alu instid0(VALU_DEP_1) | instskip(NEXT) | instid1(VALU_DEP_1)
	v_fmamk_f32 v1, v1, 0x4f800000, v2
	v_rcp_f32_e32 v1, v1
	s_waitcnt_depctr 0xfff
	v_mul_f32_e32 v1, 0x5f7ffffc, v1
	s_delay_alu instid0(VALU_DEP_1) | instskip(NEXT) | instid1(VALU_DEP_1)
	v_mul_f32_e32 v2, 0x2f800000, v1
	v_trunc_f32_e32 v2, v2
	s_delay_alu instid0(VALU_DEP_1) | instskip(SKIP_1) | instid1(VALU_DEP_2)
	v_fmamk_f32 v1, v2, 0xcf800000, v1
	v_cvt_u32_f32_e32 v2, v2
	v_cvt_u32_f32_e32 v1, v1
	s_delay_alu instid0(VALU_DEP_2) | instskip(NEXT) | instid1(VALU_DEP_2)
	v_readfirstlane_b32 s8, v2
	v_readfirstlane_b32 s9, v1
	s_delay_alu instid0(VALU_DEP_2) | instskip(NEXT) | instid1(VALU_DEP_1)
	s_mul_i32 s16, s10, s8
	s_mul_hi_u32 s18, s10, s9
	s_mul_i32 s17, s11, s9
	s_add_i32 s16, s18, s16
	s_mul_i32 s19, s10, s9
	s_add_i32 s16, s16, s17
	s_mul_hi_u32 s18, s9, s19
	s_mul_hi_u32 s21, s8, s19
	s_mul_i32 s17, s8, s19
	s_mul_hi_u32 s19, s9, s16
	s_mul_i32 s9, s9, s16
	s_mul_hi_u32 s22, s8, s16
	s_add_u32 s9, s18, s9
	s_addc_u32 s18, 0, s19
	s_add_u32 s9, s9, s17
	s_mul_i32 s16, s8, s16
	s_addc_u32 s9, s18, s21
	s_addc_u32 s17, s22, 0
	s_add_u32 s9, s9, s16
	s_addc_u32 s16, 0, s17
	v_add_co_u32 v1, s9, v1, s9
	s_delay_alu instid0(VALU_DEP_1) | instskip(SKIP_1) | instid1(VALU_DEP_1)
	s_cmp_lg_u32 s9, 0
	s_addc_u32 s8, s8, s16
	v_readfirstlane_b32 s9, v1
	s_mul_i32 s16, s10, s8
	s_delay_alu instid0(VALU_DEP_1)
	s_mul_hi_u32 s17, s10, s9
	s_mul_i32 s11, s11, s9
	s_add_i32 s16, s17, s16
	s_mul_i32 s10, s10, s9
	s_add_i32 s16, s16, s11
	s_mul_hi_u32 s17, s8, s10
	s_mul_i32 s18, s8, s10
	s_mul_hi_u32 s10, s9, s10
	s_mul_hi_u32 s19, s9, s16
	s_mul_i32 s9, s9, s16
	s_mul_hi_u32 s11, s8, s16
	s_add_u32 s9, s10, s9
	s_addc_u32 s10, 0, s19
	s_add_u32 s9, s9, s18
	s_mul_i32 s16, s8, s16
	s_addc_u32 s9, s10, s17
	s_addc_u32 s10, s11, 0
	s_add_u32 s9, s9, s16
	s_addc_u32 s10, 0, s10
	v_add_co_u32 v1, s9, v1, s9
	s_delay_alu instid0(VALU_DEP_1) | instskip(SKIP_2) | instid1(SALU_CYCLE_1)
	s_cmp_lg_u32 s9, 0
	s_addc_u32 s16, s8, s10
	s_ashr_i32 s8, s3, 31
	s_add_u32 s10, s12, s8
	s_addc_u32 s11, s3, s8
	v_readfirstlane_b32 s3, v1
	s_mov_b32 s9, s8
	s_delay_alu instid0(SALU_CYCLE_1) | instskip(NEXT) | instid1(SALU_CYCLE_1)
	s_xor_b64 s[10:11], s[10:11], s[8:9]
	s_mul_i32 s18, s10, s16
	s_delay_alu instid0(VALU_DEP_1)
	s_mul_hi_u32 s19, s10, s3
	s_mul_hi_u32 s17, s10, s16
	;; [unrolled: 1-line block ×3, first 2 shown]
	s_mul_i32 s3, s11, s3
	s_add_u32 s18, s19, s18
	s_addc_u32 s17, 0, s17
	s_mul_hi_u32 s21, s11, s16
	s_add_u32 s3, s18, s3
	s_mul_i32 s16, s11, s16
	s_addc_u32 s3, s17, s22
	s_addc_u32 s17, s21, 0
	s_add_u32 s3, s3, s16
	s_addc_u32 s16, 0, s17
	s_mul_i32 s18, s20, s3
	s_add_u32 s17, s3, 1
	v_sub_co_u32 v1, s10, s10, s18
	s_mul_hi_u32 s18, s20, s3
	s_addc_u32 s19, s16, 0
	s_mul_i32 s21, s20, s16
	s_delay_alu instid0(VALU_DEP_1)
	v_sub_co_u32 v2, s22, v1, s20
	s_add_u32 s23, s3, 2
	s_addc_u32 s24, s16, 0
	s_add_i32 s18, s18, s21
	s_cmp_lg_u32 s10, 0
	v_readfirstlane_b32 s10, v2
	s_subb_u32 s11, s11, s18
	s_cmp_lg_u32 s22, 0
	s_subb_u32 s18, s11, 0
	s_delay_alu instid0(VALU_DEP_1) | instskip(SKIP_4) | instid1(SALU_CYCLE_1)
	s_cmp_ge_u32 s10, s20
	s_cselect_b32 s10, -1, 0
	s_cmp_eq_u32 s18, 0
	v_readfirstlane_b32 s18, v1
	s_cselect_b32 s10, s10, -1
	s_cmp_lg_u32 s10, 0
	s_cselect_b32 s10, s23, s17
	s_cselect_b32 s17, s24, s19
	s_cmp_ge_u32 s18, s20
	s_cselect_b32 s18, -1, 0
	s_cmp_eq_u32 s11, 0
	s_cselect_b32 s11, s18, -1
	s_delay_alu instid0(SALU_CYCLE_1) | instskip(SKIP_2) | instid1(SALU_CYCLE_1)
	s_cmp_lg_u32 s11, 0
	s_cselect_b32 s11, s17, s16
	s_cselect_b32 s10, s10, s3
	s_xor_b64 s[10:11], s[10:11], s[8:9]
	s_delay_alu instid0(SALU_CYCLE_1)
	s_sub_u32 s16, s10, s8
	s_load_b128 s[8:11], s[0:1], 0x44
	s_and_not1_b32 vcc_lo, exec_lo, s2
	s_cbranch_vccnz .LBB51_3
.LBB51_2:
	v_cvt_f32_u32_e32 v1, s20
	s_sub_i32 s3, 0, s20
	s_delay_alu instid0(VALU_DEP_1) | instskip(SKIP_2) | instid1(VALU_DEP_1)
	v_rcp_iflag_f32_e32 v1, v1
	s_waitcnt_depctr 0xfff
	v_mul_f32_e32 v1, 0x4f7ffffe, v1
	v_cvt_u32_f32_e32 v1, v1
	s_delay_alu instid0(VALU_DEP_1) | instskip(NEXT) | instid1(VALU_DEP_1)
	v_readfirstlane_b32 s2, v1
	s_mul_i32 s3, s3, s2
	s_delay_alu instid0(SALU_CYCLE_1) | instskip(NEXT) | instid1(SALU_CYCLE_1)
	s_mul_hi_u32 s3, s2, s3
	s_add_i32 s2, s2, s3
	s_delay_alu instid0(SALU_CYCLE_1) | instskip(NEXT) | instid1(SALU_CYCLE_1)
	s_mul_hi_u32 s2, s12, s2
	s_mul_i32 s3, s2, s20
	s_waitcnt lgkmcnt(0)
	s_add_i32 s11, s2, 1
	s_sub_i32 s3, s12, s3
	s_delay_alu instid0(SALU_CYCLE_1)
	s_sub_i32 s12, s3, s20
	s_cmp_ge_u32 s3, s20
	s_cselect_b32 s2, s11, s2
	s_cselect_b32 s3, s12, s3
	s_add_i32 s11, s2, 1
	s_cmp_ge_u32 s3, s20
	s_cselect_b32 s16, s11, s2
.LBB51_3:
	s_waitcnt lgkmcnt(0)
	s_add_i32 s11, s13, 1
	s_mov_b32 s2, 0
	s_mul_hi_i32 s3, s7, s11
	s_mul_i32 s11, s7, s11
	s_cmp_lg_u64 s[2:3], 0
	s_cbranch_scc0 .LBB51_22
; %bb.4:
	v_cvt_f32_ubyte0_e32 v1, 0
	v_cvt_f32_u32_e32 v2, s20
	s_sub_u32 s18, 0, s20
	s_subb_u32 s19, 0, 0
	s_delay_alu instid0(VALU_DEP_1) | instskip(NEXT) | instid1(VALU_DEP_1)
	v_fmamk_f32 v1, v1, 0x4f800000, v2
	v_rcp_f32_e32 v1, v1
	s_waitcnt_depctr 0xfff
	v_mul_f32_e32 v1, 0x5f7ffffc, v1
	s_delay_alu instid0(VALU_DEP_1) | instskip(NEXT) | instid1(VALU_DEP_1)
	v_mul_f32_e32 v2, 0x2f800000, v1
	v_trunc_f32_e32 v2, v2
	s_delay_alu instid0(VALU_DEP_1) | instskip(SKIP_1) | instid1(VALU_DEP_2)
	v_fmamk_f32 v1, v2, 0xcf800000, v1
	v_cvt_u32_f32_e32 v2, v2
	v_cvt_u32_f32_e32 v1, v1
	s_delay_alu instid0(VALU_DEP_2) | instskip(NEXT) | instid1(VALU_DEP_2)
	v_readfirstlane_b32 s12, v2
	v_readfirstlane_b32 s17, v1
	s_delay_alu instid0(VALU_DEP_2) | instskip(NEXT) | instid1(VALU_DEP_1)
	s_mul_i32 s21, s18, s12
	s_mul_hi_u32 s23, s18, s17
	s_mul_i32 s22, s19, s17
	s_add_i32 s21, s23, s21
	s_mul_i32 s24, s18, s17
	s_add_i32 s21, s21, s22
	s_mul_hi_u32 s23, s17, s24
	s_mul_hi_u32 s25, s12, s24
	s_mul_i32 s22, s12, s24
	s_mul_hi_u32 s24, s17, s21
	s_mul_i32 s17, s17, s21
	s_mul_hi_u32 s26, s12, s21
	s_add_u32 s17, s23, s17
	s_addc_u32 s23, 0, s24
	s_add_u32 s17, s17, s22
	s_mul_i32 s21, s12, s21
	s_addc_u32 s17, s23, s25
	s_addc_u32 s22, s26, 0
	s_add_u32 s17, s17, s21
	s_addc_u32 s21, 0, s22
	v_add_co_u32 v1, s17, v1, s17
	s_delay_alu instid0(VALU_DEP_1) | instskip(SKIP_1) | instid1(VALU_DEP_1)
	s_cmp_lg_u32 s17, 0
	s_addc_u32 s12, s12, s21
	v_readfirstlane_b32 s17, v1
	s_mul_i32 s21, s18, s12
	s_delay_alu instid0(VALU_DEP_1)
	s_mul_hi_u32 s22, s18, s17
	s_mul_i32 s19, s19, s17
	s_add_i32 s21, s22, s21
	s_mul_i32 s18, s18, s17
	s_add_i32 s21, s21, s19
	s_mul_hi_u32 s22, s12, s18
	s_mul_i32 s23, s12, s18
	s_mul_hi_u32 s18, s17, s18
	s_mul_hi_u32 s24, s17, s21
	s_mul_i32 s17, s17, s21
	s_mul_hi_u32 s19, s12, s21
	s_add_u32 s17, s18, s17
	s_addc_u32 s18, 0, s24
	s_add_u32 s17, s17, s23
	s_mul_i32 s21, s12, s21
	s_addc_u32 s17, s18, s22
	s_addc_u32 s18, s19, 0
	s_add_u32 s17, s17, s21
	s_addc_u32 s18, 0, s18
	v_add_co_u32 v1, s17, v1, s17
	s_delay_alu instid0(VALU_DEP_1) | instskip(SKIP_2) | instid1(SALU_CYCLE_1)
	s_cmp_lg_u32 s17, 0
	s_addc_u32 s12, s12, s18
	s_ashr_i32 s18, s3, 31
	s_add_u32 s22, s11, s18
	s_addc_u32 s23, s3, s18
	v_readfirstlane_b32 s3, v1
	s_mov_b32 s19, s18
	s_delay_alu instid0(SALU_CYCLE_1) | instskip(NEXT) | instid1(SALU_CYCLE_1)
	s_xor_b64 s[22:23], s[22:23], s[18:19]
	s_mul_i32 s21, s22, s12
	s_delay_alu instid0(VALU_DEP_1)
	s_mul_hi_u32 s24, s22, s3
	s_mul_hi_u32 s17, s22, s12
	;; [unrolled: 1-line block ×3, first 2 shown]
	s_mul_i32 s3, s23, s3
	s_add_u32 s21, s24, s21
	s_addc_u32 s17, 0, s17
	s_mul_hi_u32 s25, s23, s12
	s_add_u32 s3, s21, s3
	s_mul_i32 s12, s23, s12
	s_addc_u32 s3, s17, s26
	s_addc_u32 s17, s25, 0
	s_add_u32 s3, s3, s12
	s_addc_u32 s12, 0, s17
	s_mul_i32 s21, s20, s3
	s_add_u32 s17, s3, 1
	v_sub_co_u32 v1, s21, s22, s21
	s_mul_hi_u32 s22, s20, s3
	s_addc_u32 s24, s12, 0
	s_mul_i32 s25, s20, s12
	s_delay_alu instid0(VALU_DEP_1)
	v_sub_co_u32 v2, s26, v1, s20
	s_add_u32 s27, s3, 2
	s_addc_u32 s28, s12, 0
	s_add_i32 s22, s22, s25
	s_cmp_lg_u32 s21, 0
	v_readfirstlane_b32 s21, v2
	s_subb_u32 s22, s23, s22
	s_cmp_lg_u32 s26, 0
	s_subb_u32 s23, s22, 0
	s_delay_alu instid0(VALU_DEP_1) | instskip(SKIP_4) | instid1(SALU_CYCLE_1)
	s_cmp_ge_u32 s21, s20
	s_cselect_b32 s21, -1, 0
	s_cmp_eq_u32 s23, 0
	v_readfirstlane_b32 s23, v1
	s_cselect_b32 s21, s21, -1
	s_cmp_lg_u32 s21, 0
	s_cselect_b32 s17, s27, s17
	s_cselect_b32 s21, s28, s24
	s_cmp_ge_u32 s23, s20
	s_cselect_b32 s23, -1, 0
	s_cmp_eq_u32 s22, 0
	s_cselect_b32 s22, s23, -1
	s_delay_alu instid0(SALU_CYCLE_1) | instskip(SKIP_2) | instid1(SALU_CYCLE_1)
	s_cmp_lg_u32 s22, 0
	s_cselect_b32 s23, s21, s12
	s_cselect_b32 s22, s17, s3
	s_xor_b64 s[22:23], s[22:23], s[18:19]
	s_delay_alu instid0(SALU_CYCLE_1)
	s_sub_u32 s18, s22, s18
	s_and_not1_b32 vcc_lo, exec_lo, s2
	s_cbranch_vccnz .LBB51_6
.LBB51_5:
	v_cvt_f32_u32_e32 v1, s20
	s_sub_i32 s3, 0, s20
	s_delay_alu instid0(VALU_DEP_1) | instskip(SKIP_2) | instid1(VALU_DEP_1)
	v_rcp_iflag_f32_e32 v1, v1
	s_waitcnt_depctr 0xfff
	v_mul_f32_e32 v1, 0x4f7ffffe, v1
	v_cvt_u32_f32_e32 v1, v1
	s_delay_alu instid0(VALU_DEP_1) | instskip(NEXT) | instid1(VALU_DEP_1)
	v_readfirstlane_b32 s2, v1
	s_mul_i32 s3, s3, s2
	s_delay_alu instid0(SALU_CYCLE_1) | instskip(NEXT) | instid1(SALU_CYCLE_1)
	s_mul_hi_u32 s3, s2, s3
	s_add_i32 s2, s2, s3
	s_delay_alu instid0(SALU_CYCLE_1) | instskip(NEXT) | instid1(SALU_CYCLE_1)
	s_mul_hi_u32 s2, s11, s2
	s_mul_i32 s3, s2, s20
	s_delay_alu instid0(SALU_CYCLE_1)
	s_sub_i32 s3, s11, s3
	s_add_i32 s11, s2, 1
	s_sub_i32 s12, s3, s20
	s_cmp_ge_u32 s3, s20
	s_cselect_b32 s2, s11, s2
	s_cselect_b32 s3, s12, s3
	s_add_i32 s11, s2, 1
	s_cmp_ge_u32 s3, s20
	s_cselect_b32 s18, s11, s2
.LBB51_6:
	s_delay_alu instid0(SALU_CYCLE_1) | instskip(SKIP_3) | instid1(SALU_CYCLE_1)
	s_cmp_eq_u32 s16, s18
	s_mul_hi_u32 s2, s16, s8
	s_cselect_b32 s3, -1, 0
	s_add_i32 s2, s2, s16
	s_lshr_b32 s11, s2, s9
	s_delay_alu instid0(SALU_CYCLE_1) | instskip(NEXT) | instid1(SALU_CYCLE_1)
	s_mul_i32 s2, s11, s10
	s_cmp_eq_u32 s2, s16
	s_mul_hi_u32 s2, s18, s8
	s_cselect_b32 s12, -1, 0
	s_add_i32 s2, s2, s18
	s_delay_alu instid0(SALU_CYCLE_1) | instskip(NEXT) | instid1(SALU_CYCLE_1)
	s_lshr_b32 s2, s2, s9
	s_cmp_eq_u32 s11, s2
	s_mul_i32 s2, s2, s10
	s_cselect_b32 s17, -1, 0
	s_cmp_lg_u32 s2, s18
	s_cselect_b32 s2, -1, 0
	s_or_b32 s3, s3, s12
	s_and_b32 s2, s17, s2
	s_delay_alu instid0(SALU_CYCLE_1) | instskip(NEXT) | instid1(SALU_CYCLE_1)
	s_or_b32 s2, s3, s2
	s_and_b32 vcc_lo, exec_lo, s2
	s_cbranch_vccnz .LBB51_24
; %bb.7:
	s_load_b256 s[24:31], s[0:1], 0x20
	s_waitcnt lgkmcnt(0)
	s_mul_hi_u32 s2, s16, s24
	s_delay_alu instid0(SALU_CYCLE_1) | instskip(NEXT) | instid1(SALU_CYCLE_1)
	s_add_i32 s2, s2, s16
	s_lshr_b32 s18, s2, s25
	s_load_b32 s2, s[0:1], 0x40
	s_mul_i32 s3, s18, s26
	s_delay_alu instid0(SALU_CYCLE_1) | instskip(NEXT) | instid1(SALU_CYCLE_1)
	s_sub_i32 s3, s16, s3
	s_mul_hi_u32 s12, s3, s27
	s_delay_alu instid0(SALU_CYCLE_1) | instskip(NEXT) | instid1(SALU_CYCLE_1)
	s_add_i32 s12, s3, s12
	s_lshr_b32 s21, s12, s28
	s_delay_alu instid0(SALU_CYCLE_1) | instskip(NEXT) | instid1(SALU_CYCLE_1)
	s_mul_i32 s12, s21, s29
	s_sub_i32 s3, s3, s12
	s_delay_alu instid0(SALU_CYCLE_1) | instskip(NEXT) | instid1(SALU_CYCLE_1)
	s_mul_hi_u32 s12, s3, s30
	s_add_i32 s12, s3, s12
	s_delay_alu instid0(SALU_CYCLE_1) | instskip(SKIP_3) | instid1(SALU_CYCLE_1)
	s_lshr_b32 s22, s12, s31
	s_mov_b32 s12, 0
	s_waitcnt lgkmcnt(0)
	s_mul_i32 s2, s22, s2
	s_sub_i32 s2, s3, s2
	s_delay_alu instid0(SALU_CYCLE_1) | instskip(NEXT) | instid1(SALU_CYCLE_1)
	s_mul_hi_u32 s3, s2, s8
	s_add_i32 s2, s2, s3
	s_delay_alu instid0(SALU_CYCLE_1) | instskip(NEXT) | instid1(SALU_CYCLE_1)
	s_lshr_b32 s23, s2, s9
	s_lshl_b32 s2, s23, 3
	s_delay_alu instid0(SALU_CYCLE_1) | instskip(NEXT) | instid1(SALU_CYCLE_1)
	s_add_i32 s2, s2, s14
	s_cmp_lt_i32 s2, s4
	s_cselect_b32 s2, -1, 0
	s_add_i32 s3, s22, s15
	s_delay_alu instid0(SALU_CYCLE_1) | instskip(SKIP_1) | instid1(SALU_CYCLE_1)
	s_cmp_lt_i32 s3, s6
	s_cselect_b32 s3, -1, 0
	s_and_b32 s2, s2, s3
	s_delay_alu instid0(SALU_CYCLE_1)
	s_and_not1_b32 vcc_lo, exec_lo, s2
	s_cbranch_vccnz .LBB51_24
; %bb.8:
	s_load_b128 s[0:3], s[0:1], 0x0
	s_lshl_b32 s24, s20, 5
	s_mov_b32 s25, s12
	s_add_i32 s17, s14, s15
	s_lshl_b64 s[24:25], s[24:25], 2
	s_mul_i32 s4, s18, s4
	s_mul_i32 s21, s21, s6
	v_cvt_f32_ubyte0_e32 v4, 0
	v_cvt_f32_u32_e32 v5, s20
	s_waitcnt lgkmcnt(0)
	s_add_u32 s18, s2, s24
	s_addc_u32 s19, s3, s25
	s_add_i32 s4, s4, s14
	s_delay_alu instid0(SALU_CYCLE_1) | instskip(SKIP_4) | instid1(SALU_CYCLE_1)
	s_mul_i32 s4, s4, s5
	s_mul_i32 s5, s5, s23
	s_add_i32 s4, s4, s15
	s_lshl_b32 s5, s5, 11
	s_add_i32 s4, s4, s21
	s_add_i32 s4, s4, s22
	s_delay_alu instid0(SALU_CYCLE_1) | instskip(NEXT) | instid1(SALU_CYCLE_1)
	s_lshl_b32 s4, s4, 8
	s_add_i32 s5, s5, s4
	s_delay_alu instid0(SALU_CYCLE_1) | instskip(SKIP_1) | instid1(VALU_DEP_2)
	v_or_b32_e32 v1, s5, v0
	v_lshl_or_b32 v0, s17, 8, v0
	v_ashrrev_i32_e32 v2, 31, v1
	s_delay_alu instid0(VALU_DEP_1) | instskip(NEXT) | instid1(VALU_DEP_1)
	v_lshlrev_b64 v[1:2], 2, v[1:2]
	v_add_co_u32 v1, vcc_lo, s0, v1
	s_delay_alu instid0(VALU_DEP_2) | instskip(SKIP_1) | instid1(SALU_CYCLE_1)
	v_add_co_ci_u32_e32 v2, vcc_lo, s1, v2, vcc_lo
	s_lshl_b32 s0, s13, 3
	s_add_i32 s0, s0, s17
	global_load_b32 v3, v[1:2], off
	s_ashr_i32 s1, s0, 31
	s_delay_alu instid0(SALU_CYCLE_1) | instskip(NEXT) | instid1(SALU_CYCLE_1)
	s_lshl_b64 s[0:1], s[0:1], 3
	s_add_u32 s0, s2, s0
	s_addc_u32 s1, s3, s1
	s_add_i32 s14, s13, -1
	s_load_b64 s[0:1], s[0:1], 0x0
	v_fmac_f32_e32 v5, 0x4f800000, v4
	s_sub_i32 s6, 0, s20
	s_waitcnt lgkmcnt(0)
	v_mov_b32_e32 v8, s0
	s_delay_alu instid0(VALU_DEP_2) | instskip(SKIP_2) | instid1(VALU_DEP_2)
	v_rcp_f32_e32 v4, v5
	v_cvt_f32_u32_e32 v5, s20
	v_mov_b32_e32 v7, s1
	v_rcp_iflag_f32_e32 v5, v5
	s_waitcnt_depctr 0xfff
	v_mul_f32_e32 v4, 0x5f7ffffc, v4
	s_delay_alu instid0(VALU_DEP_1) | instskip(SKIP_1) | instid1(VALU_DEP_2)
	v_mul_f32_e32 v6, 0x2f800000, v4
	v_mul_f32_e32 v9, 0x4f7ffffe, v5
	v_trunc_f32_e32 v6, v6
	s_delay_alu instid0(VALU_DEP_1) | instskip(SKIP_1) | instid1(VALU_DEP_4)
	v_fmac_f32_e32 v4, 0xcf800000, v6
	v_cvt_u32_f32_e32 v5, v6
	v_cvt_u32_f32_e32 v6, v9
	s_delay_alu instid0(VALU_DEP_3)
	v_cvt_u32_f32_e32 v4, v4
.LBB51_9:                               ; =>This Inner Loop Header: Depth=1
	s_mul_hi_i32 s13, s14, s7
	s_mul_i32 s4, s14, s7
	s_cmp_lg_u64 s[12:13], 0
	s_mov_b32 s5, -1
                                        ; implicit-def: $sgpr0_sgpr1
	s_cbranch_scc0 .LBB51_11
; %bb.10:                               ;   in Loop: Header=BB51_9 Depth=1
	v_readfirstlane_b32 s0, v4
	v_readfirstlane_b32 s1, v5
	s_sub_u32 s5, 0, s20
	s_subb_u32 s15, 0, 0
	s_delay_alu instid0(VALU_DEP_2) | instskip(NEXT) | instid1(VALU_DEP_1)
	s_mul_hi_u32 s21, s5, s0
	s_mul_i32 s22, s5, s1
	s_mul_i32 s23, s15, s0
	s_add_i32 s21, s21, s22
	s_mul_i32 s22, s5, s0
	s_add_i32 s21, s21, s23
	s_mul_hi_u32 s23, s0, s22
	s_mul_i32 s24, s0, s21
	s_mul_hi_u32 s0, s0, s21
	s_add_u32 s23, s23, s24
	s_mul_i32 s25, s1, s22
	s_addc_u32 s0, 0, s0
	s_mul_hi_u32 s22, s1, s22
	s_mul_hi_u32 s24, s1, s21
	s_add_u32 s23, s23, s25
	s_addc_u32 s0, s0, s22
	s_mul_i32 s21, s1, s21
	s_addc_u32 s22, s24, 0
	s_add_u32 s0, s0, s21
	s_addc_u32 s21, 0, s22
	v_add_co_u32 v9, s0, v4, s0
	s_delay_alu instid0(VALU_DEP_1) | instskip(SKIP_1) | instid1(VALU_DEP_1)
	s_cmp_lg_u32 s0, 0
	s_addc_u32 s1, s1, s21
	v_readfirstlane_b32 s0, v9
	s_mul_i32 s21, s5, s1
	s_delay_alu instid0(VALU_DEP_1)
	s_mul_hi_u32 s22, s5, s0
	s_mul_i32 s15, s15, s0
	s_add_i32 s21, s22, s21
	s_mul_i32 s5, s5, s0
	s_add_i32 s21, s21, s15
	s_mul_hi_u32 s15, s1, s5
	s_mul_i32 s23, s1, s5
	s_mul_i32 s24, s0, s21
	s_mul_hi_u32 s5, s0, s5
	s_mul_hi_u32 s0, s0, s21
	s_add_u32 s5, s5, s24
	s_addc_u32 s0, 0, s0
	s_mul_hi_u32 s22, s1, s21
	s_add_u32 s5, s5, s23
	s_addc_u32 s0, s0, s15
	s_mul_i32 s5, s1, s21
	s_addc_u32 s15, s22, 0
	s_add_u32 s0, s0, s5
	s_addc_u32 s5, 0, s15
	v_add_co_u32 v9, s0, v9, s0
	s_delay_alu instid0(VALU_DEP_1) | instskip(SKIP_2) | instid1(SALU_CYCLE_1)
	s_cmp_lg_u32 s0, 0
	s_addc_u32 s5, s1, s5
	s_ashr_i32 s0, s13, 31
	s_add_u32 s22, s4, s0
	s_addc_u32 s23, s13, s0
	v_readfirstlane_b32 s13, v9
	s_mov_b32 s1, s0
	s_delay_alu instid0(SALU_CYCLE_1) | instskip(NEXT) | instid1(SALU_CYCLE_1)
	s_xor_b64 s[22:23], s[22:23], s[0:1]
	s_mul_i32 s15, s22, s5
	s_delay_alu instid0(VALU_DEP_1)
	s_mul_hi_u32 s21, s22, s13
	s_mul_hi_u32 s24, s22, s5
	s_add_u32 s15, s21, s15
	s_mul_i32 s25, s23, s13
	s_addc_u32 s21, 0, s24
	s_mul_hi_u32 s13, s23, s13
	s_mul_hi_u32 s24, s23, s5
	s_add_u32 s15, s15, s25
	s_addc_u32 s13, s21, s13
	s_mul_i32 s5, s23, s5
	s_addc_u32 s15, s24, 0
	s_add_u32 s5, s13, s5
	s_addc_u32 s13, 0, s15
	s_mul_i32 s21, s20, s5
	s_add_u32 s15, s5, 1
	v_sub_co_u32 v9, s21, s22, s21
	s_addc_u32 s22, s13, 0
	s_mul_i32 s25, s20, s13
	s_mul_hi_u32 s27, s20, s5
	s_delay_alu instid0(VALU_DEP_1)
	v_sub_co_u32 v10, s26, v9, s20
	s_add_u32 s24, s5, 2
	s_addc_u32 s28, s13, 0
	s_add_i32 s27, s27, s25
	s_cmp_lg_u32 s21, 0
	v_readfirstlane_b32 s21, v10
	s_subb_u32 s23, s23, s27
	s_cmp_lg_u32 s26, 0
	s_subb_u32 s25, s23, 0
	s_delay_alu instid0(VALU_DEP_1) | instskip(SKIP_4) | instid1(SALU_CYCLE_1)
	s_cmp_ge_u32 s21, s20
	s_cselect_b32 s21, -1, 0
	s_cmp_eq_u32 s25, 0
	v_readfirstlane_b32 s25, v9
	s_cselect_b32 s21, s21, -1
	s_cmp_lg_u32 s21, 0
	s_cselect_b32 s15, s24, s15
	s_cselect_b32 s21, s28, s22
	s_cmp_ge_u32 s25, s20
	s_cselect_b32 s22, -1, 0
	s_cmp_eq_u32 s23, 0
	s_cselect_b32 s22, s22, -1
	s_delay_alu instid0(SALU_CYCLE_1) | instskip(SKIP_4) | instid1(SALU_CYCLE_1)
	s_cmp_lg_u32 s22, 0
	s_cselect_b32 s23, s21, s13
	s_cselect_b32 s22, s15, s5
	s_mov_b32 s5, 0
	s_xor_b64 s[22:23], s[22:23], s[0:1]
	s_sub_u32 s0, s22, s0
.LBB51_11:                              ;   in Loop: Header=BB51_9 Depth=1
	s_and_not1_b32 vcc_lo, exec_lo, s5
	s_cbranch_vccnz .LBB51_13
; %bb.12:                               ;   in Loop: Header=BB51_9 Depth=1
	v_readfirstlane_b32 s0, v6
	s_delay_alu instid0(VALU_DEP_1) | instskip(NEXT) | instid1(SALU_CYCLE_1)
	s_mul_i32 s1, s6, s0
	s_mul_hi_u32 s1, s0, s1
	s_delay_alu instid0(SALU_CYCLE_1) | instskip(NEXT) | instid1(SALU_CYCLE_1)
	s_add_i32 s0, s0, s1
	s_mul_hi_u32 s0, s4, s0
	s_delay_alu instid0(SALU_CYCLE_1) | instskip(NEXT) | instid1(SALU_CYCLE_1)
	s_mul_i32 s1, s0, s20
	s_sub_i32 s1, s4, s1
	s_add_i32 s4, s0, 1
	s_sub_i32 s5, s1, s20
	s_cmp_ge_u32 s1, s20
	s_cselect_b32 s0, s4, s0
	s_cselect_b32 s1, s5, s1
	s_add_i32 s4, s0, 1
	s_cmp_ge_u32 s1, s20
	s_cselect_b32 s0, s4, s0
.LBB51_13:                              ;   in Loop: Header=BB51_9 Depth=1
	s_delay_alu instid0(SALU_CYCLE_1)
	s_cmp_lg_u32 s16, s0
	s_cbranch_scc0 .LBB51_17
; %bb.14:                               ;   in Loop: Header=BB51_9 Depth=1
	s_add_i32 s1, s14, s20
	s_mov_b32 s5, s12
	s_lshl_b32 s1, s1, 3
	s_mov_b32 s15, s16
	s_add_i32 s4, s1, s17
	s_mul_hi_u32 s1, s0, s8
	s_lshl_b64 s[4:5], s[4:5], 3
	s_delay_alu instid0(SALU_CYCLE_1) | instskip(SKIP_2) | instid1(SALU_CYCLE_1)
	s_add_u32 s4, s2, s4
	s_addc_u32 s5, s3, s5
	s_add_i32 s1, s1, s0
	s_lshr_b32 s1, s1, s9
	s_delay_alu instid0(SALU_CYCLE_1) | instskip(NEXT) | instid1(SALU_CYCLE_1)
	s_mul_i32 s13, s1, s10
	s_cmp_eq_u32 s13, s0
	s_cselect_b32 s13, -1, 0
	s_cmp_lt_u32 s1, s11
	s_cselect_b32 s1, -1, 0
	s_delay_alu instid0(SALU_CYCLE_1)
	s_or_b32 s1, s1, s13
	s_mov_b32 s13, -1
	s_and_b32 vcc_lo, exec_lo, s1
	s_mov_b32 s1, s14
	s_cbranch_vccnz .LBB51_16
; %bb.15:                               ;   in Loop: Header=BB51_9 Depth=1
	s_add_i32 s1, s14, -1
	s_mov_b32 s13, 0
	s_mov_b32 s15, s0
.LBB51_16:                              ;   in Loop: Header=BB51_9 Depth=1
	v_lshl_add_u32 v9, s14, 11, v0
	s_load_b64 s[4:5], s[4:5], 0x0
	s_delay_alu instid0(VALU_DEP_1) | instskip(NEXT) | instid1(VALU_DEP_1)
	v_ashrrev_i32_e32 v10, 31, v9
	v_lshlrev_b64 v[9:10], 2, v[9:10]
	s_delay_alu instid0(VALU_DEP_1) | instskip(NEXT) | instid1(VALU_DEP_2)
	v_add_co_u32 v9, vcc_lo, s18, v9
	v_add_co_ci_u32_e32 v10, vcc_lo, s19, v10, vcc_lo
	s_waitcnt lgkmcnt(0)
	v_max_f32_e64 v11, s4, s4
	global_load_b32 v10, v[9:10], off
	v_max_f32_e32 v9, v8, v8
	s_delay_alu instid0(VALU_DEP_1) | instskip(NEXT) | instid1(VALU_DEP_1)
	v_max_f32_e32 v9, v9, v11
	v_sub_f32_e32 v12, v8, v9
	s_delay_alu instid0(VALU_DEP_1) | instskip(NEXT) | instid1(VALU_DEP_1)
	v_dual_mul_f32 v14, 0x3fb8aa3b, v12 :: v_dual_sub_f32 v11, s4, v9
	v_rndne_f32_e32 v18, v14
	s_delay_alu instid0(VALU_DEP_2) | instskip(SKIP_2) | instid1(VALU_DEP_4)
	v_mul_f32_e32 v13, 0x3fb8aa3b, v11
	v_fma_f32 v17, 0x3fb8aa3b, v12, -v14
	v_cmp_ngt_f32_e32 vcc_lo, 0xc2ce8ed0, v11
	v_sub_f32_e32 v14, v14, v18
	s_delay_alu instid0(VALU_DEP_4) | instskip(SKIP_2) | instid1(VALU_DEP_3)
	v_fma_f32 v15, 0x3fb8aa3b, v11, -v13
	v_rndne_f32_e32 v16, v13
	v_fmac_f32_e32 v17, 0x32a5705f, v12
	v_fmac_f32_e32 v15, 0x32a5705f, v11
	s_delay_alu instid0(VALU_DEP_2) | instskip(NEXT) | instid1(VALU_DEP_1)
	v_dual_sub_f32 v13, v13, v16 :: v_dual_add_f32 v14, v14, v17
	v_add_f32_e32 v13, v13, v15
	s_delay_alu instid0(VALU_DEP_2) | instskip(SKIP_2) | instid1(VALU_DEP_3)
	v_exp_f32_e32 v14, v14
	v_cvt_i32_f32_e32 v15, v16
	v_cvt_i32_f32_e32 v16, v18
	v_exp_f32_e32 v13, v13
	s_waitcnt_depctr 0xfff
	v_ldexp_f32 v14, v14, v16
	v_ldexp_f32 v13, v13, v15
	s_delay_alu instid0(VALU_DEP_1) | instskip(SKIP_1) | instid1(VALU_DEP_4)
	v_cndmask_b32_e32 v13, 0, v13, vcc_lo
	v_cmp_ngt_f32_e32 vcc_lo, 0xc2ce8ed0, v12
	v_cndmask_b32_e32 v14, 0, v14, vcc_lo
	v_cmp_nlt_f32_e32 vcc_lo, 0x42b17218, v11
	s_delay_alu instid0(VALU_DEP_4) | instskip(SKIP_1) | instid1(VALU_DEP_4)
	v_cndmask_b32_e32 v13, 0x7f800000, v13, vcc_lo
	v_cmp_nlt_f32_e32 vcc_lo, 0x42b17218, v12
	v_cndmask_b32_e32 v14, 0x7f800000, v14, vcc_lo
	v_cmp_le_f32_e32 vcc_lo, 0xc1a00000, v11
	s_delay_alu instid0(VALU_DEP_4) | instskip(SKIP_1) | instid1(VALU_DEP_4)
	v_cndmask_b32_e32 v11, 0, v13, vcc_lo
	v_cmp_le_f32_e32 vcc_lo, 0xc1a00000, v12
	v_cndmask_b32_e32 v12, 0, v14, vcc_lo
	s_waitcnt vmcnt(0)
	s_delay_alu instid0(VALU_DEP_3) | instskip(NEXT) | instid1(VALU_DEP_1)
	v_mul_f32_e32 v10, v10, v11
	v_dual_mul_f32 v11, s5, v11 :: v_dual_fmac_f32 v10, v3, v12
	s_delay_alu instid0(VALU_DEP_1)
	v_fmac_f32_e32 v11, v7, v12
	s_cbranch_execz .LBB51_18
	s_branch .LBB51_19
.LBB51_17:                              ;   in Loop: Header=BB51_9 Depth=1
                                        ; implicit-def: $sgpr13
                                        ; implicit-def: $vgpr10
                                        ; implicit-def: $vgpr9
                                        ; implicit-def: $vgpr11
                                        ; implicit-def: $sgpr1
                                        ; implicit-def: $sgpr15
.LBB51_18:                              ;   in Loop: Header=BB51_9 Depth=1
	v_mov_b32_e32 v11, v7
	s_waitcnt vmcnt(0)
	v_dual_mov_b32 v9, v8 :: v_dual_mov_b32 v10, v3
	s_add_i32 s1, s14, -1
	s_mov_b32 s13, 0
	s_mov_b32 s15, s16
.LBB51_19:                              ;   in Loop: Header=BB51_9 Depth=1
	s_and_not1_b32 vcc_lo, exec_lo, s13
	s_cbranch_vccz .LBB51_23
; %bb.20:                               ;   in Loop: Header=BB51_9 Depth=1
	v_dual_mov_b32 v7, v11 :: v_dual_mov_b32 v8, v9
	s_waitcnt vmcnt(0)
	v_mov_b32_e32 v3, v10
	s_mov_b32 s16, s15
	s_mov_b32 s14, s1
	s_branch .LBB51_9
.LBB51_21:
                                        ; implicit-def: $sgpr16_sgpr17
	s_load_b128 s[8:11], s[0:1], 0x44
	s_branch .LBB51_2
.LBB51_22:
                                        ; implicit-def: $sgpr18_sgpr19
	s_branch .LBB51_5
.LBB51_23:
	v_div_scale_f32 v0, null, v11, v11, v10
	s_waitcnt vmcnt(0)
	s_delay_alu instid0(VALU_DEP_1) | instskip(SKIP_2) | instid1(VALU_DEP_1)
	v_rcp_f32_e32 v3, v0
	s_waitcnt_depctr 0xfff
	v_fma_f32 v4, -v0, v3, 1.0
	v_fmac_f32_e32 v3, v4, v3
	v_div_scale_f32 v4, vcc_lo, v10, v11, v10
	s_delay_alu instid0(VALU_DEP_1) | instskip(NEXT) | instid1(VALU_DEP_1)
	v_mul_f32_e32 v5, v4, v3
	v_fma_f32 v6, -v0, v5, v4
	s_delay_alu instid0(VALU_DEP_1) | instskip(NEXT) | instid1(VALU_DEP_1)
	v_fmac_f32_e32 v5, v6, v3
	v_fma_f32 v0, -v0, v5, v4
	s_delay_alu instid0(VALU_DEP_1) | instskip(NEXT) | instid1(VALU_DEP_1)
	v_div_fmas_f32 v0, v0, v3, v5
	v_div_fixup_f32 v0, v0, v11, v10
	global_store_b32 v[1:2], v0, off
.LBB51_24:
	s_nop 0
	s_sendmsg sendmsg(MSG_DEALLOC_VGPRS)
	s_endpgm
	.section	.rodata,"a",@progbits
	.p2align	6, 0x0
	.amdhsa_kernel _ZL33flash_attn_stream_k_fixup_generalILi256ELi8ELi1EEvPfPK15HIP_vector_typeIfLj2EEiiiiS1_IjLj3EES5_S5_S5_
		.amdhsa_group_segment_fixed_size 0
		.amdhsa_private_segment_fixed_size 0
		.amdhsa_kernarg_size 336
		.amdhsa_user_sgpr_count 13
		.amdhsa_user_sgpr_dispatch_ptr 0
		.amdhsa_user_sgpr_queue_ptr 0
		.amdhsa_user_sgpr_kernarg_segment_ptr 1
		.amdhsa_user_sgpr_dispatch_id 0
		.amdhsa_user_sgpr_private_segment_size 0
		.amdhsa_wavefront_size32 1
		.amdhsa_uses_dynamic_stack 0
		.amdhsa_enable_private_segment 0
		.amdhsa_system_sgpr_workgroup_id_x 1
		.amdhsa_system_sgpr_workgroup_id_y 1
		.amdhsa_system_sgpr_workgroup_id_z 1
		.amdhsa_system_sgpr_workgroup_info 0
		.amdhsa_system_vgpr_workitem_id 0
		.amdhsa_next_free_vgpr 19
		.amdhsa_next_free_sgpr 32
		.amdhsa_reserve_vcc 1
		.amdhsa_float_round_mode_32 0
		.amdhsa_float_round_mode_16_64 0
		.amdhsa_float_denorm_mode_32 3
		.amdhsa_float_denorm_mode_16_64 3
		.amdhsa_dx10_clamp 1
		.amdhsa_ieee_mode 1
		.amdhsa_fp16_overflow 0
		.amdhsa_workgroup_processor_mode 1
		.amdhsa_memory_ordered 1
		.amdhsa_forward_progress 0
		.amdhsa_shared_vgpr_count 0
		.amdhsa_exception_fp_ieee_invalid_op 0
		.amdhsa_exception_fp_denorm_src 0
		.amdhsa_exception_fp_ieee_div_zero 0
		.amdhsa_exception_fp_ieee_overflow 0
		.amdhsa_exception_fp_ieee_underflow 0
		.amdhsa_exception_fp_ieee_inexact 0
		.amdhsa_exception_int_div_zero 0
	.end_amdhsa_kernel
	.section	.text._ZL33flash_attn_stream_k_fixup_generalILi256ELi8ELi1EEvPfPK15HIP_vector_typeIfLj2EEiiiiS1_IjLj3EES5_S5_S5_,"axG",@progbits,_ZL33flash_attn_stream_k_fixup_generalILi256ELi8ELi1EEvPfPK15HIP_vector_typeIfLj2EEiiiiS1_IjLj3EES5_S5_S5_,comdat
.Lfunc_end51:
	.size	_ZL33flash_attn_stream_k_fixup_generalILi256ELi8ELi1EEvPfPK15HIP_vector_typeIfLj2EEiiiiS1_IjLj3EES5_S5_S5_, .Lfunc_end51-_ZL33flash_attn_stream_k_fixup_generalILi256ELi8ELi1EEvPfPK15HIP_vector_typeIfLj2EEiiiiS1_IjLj3EES5_S5_S5_
                                        ; -- End function
	.section	.AMDGPU.csdata,"",@progbits
; Kernel info:
; codeLenInByte = 3220
; NumSgprs: 34
; NumVgprs: 19
; ScratchSize: 0
; MemoryBound: 0
; FloatMode: 240
; IeeeMode: 1
; LDSByteSize: 0 bytes/workgroup (compile time only)
; SGPRBlocks: 4
; VGPRBlocks: 2
; NumSGPRsForWavesPerEU: 34
; NumVGPRsForWavesPerEU: 19
; Occupancy: 16
; WaveLimiterHint : 0
; COMPUTE_PGM_RSRC2:SCRATCH_EN: 0
; COMPUTE_PGM_RSRC2:USER_SGPR: 13
; COMPUTE_PGM_RSRC2:TRAP_HANDLER: 0
; COMPUTE_PGM_RSRC2:TGID_X_EN: 1
; COMPUTE_PGM_RSRC2:TGID_Y_EN: 1
; COMPUTE_PGM_RSRC2:TGID_Z_EN: 1
; COMPUTE_PGM_RSRC2:TIDIG_COMP_CNT: 0
	.section	.text._ZL15flash_attn_tileILi256ELi256ELi4ELi1ELb0EEvPKcS1_S1_S1_S1_PKiPfP15HIP_vector_typeIfLj2EEffffjfiS5_IjLj3EEiiiiiiiiiiiliiliiiiil,"axG",@progbits,_ZL15flash_attn_tileILi256ELi256ELi4ELi1ELb0EEvPKcS1_S1_S1_S1_PKiPfP15HIP_vector_typeIfLj2EEffffjfiS5_IjLj3EEiiiiiiiiiiiliiliiiiil,comdat
	.globl	_ZL15flash_attn_tileILi256ELi256ELi4ELi1ELb0EEvPKcS1_S1_S1_S1_PKiPfP15HIP_vector_typeIfLj2EEffffjfiS5_IjLj3EEiiiiiiiiiiiliiliiiiil ; -- Begin function _ZL15flash_attn_tileILi256ELi256ELi4ELi1ELb0EEvPKcS1_S1_S1_S1_PKiPfP15HIP_vector_typeIfLj2EEffffjfiS5_IjLj3EEiiiiiiiiiiiliiliiiiil
	.p2align	8
	.type	_ZL15flash_attn_tileILi256ELi256ELi4ELi1ELb0EEvPKcS1_S1_S1_S1_PKiPfP15HIP_vector_typeIfLj2EEffffjfiS5_IjLj3EEiiiiiiiiiiiliiliiiiil,@function
_ZL15flash_attn_tileILi256ELi256ELi4ELi1ELb0EEvPKcS1_S1_S1_S1_PKiPfP15HIP_vector_typeIfLj2EEffffjfiS5_IjLj3EEiiiiiiiiiiiliiliiiiil: ; @_ZL15flash_attn_tileILi256ELi256ELi4ELi1ELb0EEvPKcS1_S1_S1_S1_PKiPfP15HIP_vector_typeIfLj2EEffffjfiS5_IjLj3EEiiiiiiiiiiiliiliiiiil
; %bb.0:
	s_clause 0x3
	s_load_b128 s[36:39], s[2:3], 0x5c
	s_load_b64 s[42:43], s[2:3], 0x80
	s_load_b512 s[16:31], s[2:3], 0x0
	s_load_b64 s[44:45], s[2:3], 0xb8
	s_mov_b64 s[40:41], 0
	s_waitcnt lgkmcnt(0)
	v_cvt_f32_u32_e32 v1, s39
	s_sub_i32 s5, 0, s39
	s_delay_alu instid0(VALU_DEP_1) | instskip(SKIP_2) | instid1(VALU_DEP_1)
	v_rcp_iflag_f32_e32 v1, v1
	s_waitcnt_depctr 0xfff
	v_mul_f32_e32 v1, 0x4f7ffffe, v1
	v_cvt_u32_f32_e32 v1, v1
	s_delay_alu instid0(VALU_DEP_1) | instskip(NEXT) | instid1(VALU_DEP_1)
	v_readfirstlane_b32 s4, v1
	s_mul_i32 s5, s5, s4
	s_delay_alu instid0(SALU_CYCLE_1) | instskip(NEXT) | instid1(SALU_CYCLE_1)
	s_mul_hi_u32 s5, s4, s5
	s_add_i32 s4, s4, s5
	s_delay_alu instid0(SALU_CYCLE_1) | instskip(NEXT) | instid1(SALU_CYCLE_1)
	s_mul_hi_u32 s4, s15, s4
	s_mul_i32 s5, s4, s39
	s_add_i32 s6, s4, 1
	s_sub_i32 s5, s15, s5
	s_delay_alu instid0(SALU_CYCLE_1)
	s_sub_i32 s7, s5, s39
	s_cmp_ge_u32 s5, s39
	s_cselect_b32 s4, s6, s4
	s_cselect_b32 s5, s7, s5
	s_add_i32 s6, s4, 1
	s_cmp_ge_u32 s5, s39
	s_cselect_b32 s33, s6, s4
	s_abs_i32 s4, s43
	s_abs_i32 s8, s39
	v_cvt_f32_u32_e32 v1, s4
	s_sub_i32 s6, 0, s4
	s_mul_i32 s7, s33, s39
	s_delay_alu instid0(SALU_CYCLE_1) | instskip(NEXT) | instid1(VALU_DEP_1)
	s_sub_i32 s34, s15, s7
	v_rcp_iflag_f32_e32 v1, v1
	s_waitcnt_depctr 0xfff
	v_mul_f32_e32 v1, 0x4f7ffffe, v1
	s_delay_alu instid0(VALU_DEP_1) | instskip(NEXT) | instid1(VALU_DEP_1)
	v_cvt_u32_f32_e32 v1, v1
	v_readfirstlane_b32 s5, v1
	s_delay_alu instid0(VALU_DEP_1) | instskip(NEXT) | instid1(SALU_CYCLE_1)
	s_mul_i32 s6, s6, s5
	s_mul_hi_u32 s6, s5, s6
	s_delay_alu instid0(SALU_CYCLE_1) | instskip(SKIP_4) | instid1(SALU_CYCLE_1)
	s_add_i32 s5, s5, s6
	s_xor_b32 s6, s39, s43
	s_mul_hi_u32 s5, s8, s5
	s_ashr_i32 s6, s6, 31
	s_mul_i32 s7, s5, s4
	s_sub_i32 s7, s8, s7
	s_add_i32 s8, s5, 1
	s_sub_i32 s9, s7, s4
	s_cmp_ge_u32 s7, s4
	s_cselect_b32 s5, s8, s5
	s_cselect_b32 s7, s9, s7
	s_add_i32 s8, s5, 1
	s_cmp_ge_u32 s7, s4
	s_cselect_b32 s4, s8, s5
	s_abs_i32 s46, s34
	s_xor_b32 s4, s4, s6
	s_delay_alu instid0(SALU_CYCLE_1) | instskip(NEXT) | instid1(SALU_CYCLE_1)
	s_sub_i32 s7, s4, s6
	s_abs_i32 s43, s7
	s_delay_alu instid0(SALU_CYCLE_1) | instskip(SKIP_1) | instid1(VALU_DEP_1)
	v_cvt_f32_u32_e32 v1, s43
	s_sub_i32 s5, 0, s43
	v_rcp_iflag_f32_e32 v1, v1
	s_waitcnt_depctr 0xfff
	v_mul_f32_e32 v1, 0x4f7ffffe, v1
	s_delay_alu instid0(VALU_DEP_1) | instskip(NEXT) | instid1(VALU_DEP_1)
	v_cvt_u32_f32_e32 v1, v1
	v_readfirstlane_b32 s4, v1
	s_delay_alu instid0(VALU_DEP_1) | instskip(NEXT) | instid1(SALU_CYCLE_1)
	s_mul_i32 s5, s5, s4
	s_mul_hi_u32 s5, s4, s5
	s_delay_alu instid0(SALU_CYCLE_1)
	s_add_i32 s4, s4, s5
	s_cmp_eq_u64 s[22:23], 0
	s_cbranch_scc1 .LBB52_2
; %bb.1:
	s_abs_i32 s5, s44
	s_abs_i32 s10, s33
	v_cvt_f32_u32_e32 v1, s5
	s_sub_i32 s8, 0, s5
	s_delay_alu instid0(VALU_DEP_1) | instskip(SKIP_2) | instid1(VALU_DEP_1)
	v_rcp_iflag_f32_e32 v1, v1
	s_waitcnt_depctr 0xfff
	v_mul_f32_e32 v1, 0x4f7ffffe, v1
	v_cvt_u32_f32_e32 v1, v1
	s_delay_alu instid0(VALU_DEP_1) | instskip(NEXT) | instid1(VALU_DEP_1)
	v_readfirstlane_b32 s6, v1
	s_mul_i32 s8, s8, s6
	s_delay_alu instid0(SALU_CYCLE_1) | instskip(NEXT) | instid1(SALU_CYCLE_1)
	s_mul_hi_u32 s8, s6, s8
	s_add_i32 s6, s6, s8
	s_load_b64 s[8:9], s[2:3], 0xc8
	s_mul_hi_u32 s6, s10, s6
	s_delay_alu instid0(SALU_CYCLE_1) | instskip(NEXT) | instid1(SALU_CYCLE_1)
	s_mul_i32 s6, s6, s5
	s_sub_i32 s6, s10, s6
	s_ashr_i32 s10, s33, 31
	s_sub_i32 s11, s6, s5
	s_cmp_ge_u32 s6, s5
	s_cselect_b32 s6, s11, s6
	s_delay_alu instid0(SALU_CYCLE_1) | instskip(SKIP_2) | instid1(SALU_CYCLE_1)
	s_sub_i32 s11, s6, s5
	s_cmp_ge_u32 s6, s5
	s_cselect_b32 s5, s11, s6
	s_xor_b32 s5, s5, s10
	s_delay_alu instid0(SALU_CYCLE_1)
	s_sub_i32 s5, s5, s10
	s_waitcnt lgkmcnt(0)
	s_mul_i32 s6, s5, s9
	s_mul_hi_u32 s9, s5, s8
	s_ashr_i32 s10, s5, 31
	s_add_i32 s6, s9, s6
	s_mul_i32 s10, s10, s8
	s_mul_i32 s5, s5, s8
	s_add_i32 s6, s6, s10
	s_add_u32 s40, s22, s5
	s_addc_u32 s41, s23, s6
.LBB52_2:
	s_clause 0x1
	s_load_b128 s[8:11], s[2:3], 0x40
	s_load_b32 s5, s[2:3], 0x50
	v_mov_b32_e32 v53, 1.0
	s_waitcnt lgkmcnt(0)
	v_cmp_le_f32_e64 s6, s9, 0
	s_mul_hi_u32 s9, s46, s4
	s_delay_alu instid0(VALU_DEP_1)
	s_and_b32 vcc_lo, exec_lo, s6
	s_cbranch_vccnz .LBB52_4
; %bb.3:
	s_sub_i32 s4, s34, s5
	s_add_i32 s6, s34, 1
	s_lshl_b32 s4, s4, 1
	v_mov_b32_e32 v1, s10
	s_or_b32 s4, s4, 1
	s_cmp_lt_u32 s34, s5
	s_cselect_b32 vcc_lo, -1, 0
	s_delay_alu instid0(VALU_DEP_1)
	v_cndmask_b32_e32 v3, s11, v1, vcc_lo
	s_and_b32 s5, vcc_lo, exec_lo
	s_cselect_b32 s4, s6, s4
	s_mov_b32 s5, 0x3e76c4e1
	v_cvt_f32_i32_e32 v1, s4
	v_cmp_neq_f32_e32 vcc_lo, 1.0, v3
	s_delay_alu instid0(VALU_DEP_2) | instskip(NEXT) | instid1(VALU_DEP_1)
	v_cndmask_b32_e32 v4, 1.0, v1, vcc_lo
	v_cmp_eq_f32_e32 vcc_lo, 0, v4
	v_cndmask_b32_e64 v5, |v3|, 1.0, vcc_lo
	s_delay_alu instid0(VALU_DEP_1) | instskip(NEXT) | instid1(VALU_DEP_1)
	v_frexp_mant_f32_e32 v1, v5
	v_cmp_gt_f32_e64 s4, 0x3f2aaaab, v1
	s_delay_alu instid0(VALU_DEP_1) | instskip(NEXT) | instid1(VALU_DEP_1)
	v_cndmask_b32_e64 v2, 1.0, 2.0, s4
	v_mul_f32_e32 v1, v1, v2
	s_delay_alu instid0(VALU_DEP_1) | instskip(SKIP_1) | instid1(VALU_DEP_2)
	v_add_f32_e32 v2, 1.0, v1
	v_add_f32_e32 v7, -1.0, v1
	v_rcp_f32_e32 v6, v2
	s_waitcnt_depctr 0xfff
	v_mul_f32_e32 v8, v7, v6
	s_delay_alu instid0(VALU_DEP_1) | instskip(NEXT) | instid1(VALU_DEP_1)
	v_dual_add_f32 v9, -1.0, v2 :: v_dual_mul_f32 v10, v2, v8
	v_sub_f32_e32 v1, v1, v9
	v_cndmask_b32_e64 v3, v3, 1.0, vcc_lo
	s_delay_alu instid0(VALU_DEP_3) | instskip(NEXT) | instid1(VALU_DEP_2)
	v_fma_f32 v2, v8, v2, -v10
	v_cmp_eq_f32_e64 s6, 0, v3
	s_delay_alu instid0(VALU_DEP_2) | instskip(NEXT) | instid1(VALU_DEP_1)
	v_fmac_f32_e32 v2, v8, v1
	v_add_f32_e32 v1, v10, v2
	s_delay_alu instid0(VALU_DEP_1) | instskip(NEXT) | instid1(VALU_DEP_1)
	v_dual_sub_f32 v10, v1, v10 :: v_dual_sub_f32 v9, v7, v1
	v_dual_sub_f32 v2, v10, v2 :: v_dual_sub_f32 v7, v7, v9
	s_delay_alu instid0(VALU_DEP_1) | instskip(NEXT) | instid1(VALU_DEP_1)
	v_sub_f32_e32 v1, v7, v1
	v_add_f32_e32 v1, v2, v1
	s_delay_alu instid0(VALU_DEP_1) | instskip(NEXT) | instid1(VALU_DEP_1)
	v_add_f32_e32 v1, v9, v1
	v_mul_f32_e32 v1, v6, v1
	s_delay_alu instid0(VALU_DEP_1) | instskip(NEXT) | instid1(VALU_DEP_1)
	v_add_f32_e32 v6, v8, v1
	v_sub_f32_e32 v2, v6, v8
	v_mul_f32_e32 v7, v6, v6
	s_delay_alu instid0(VALU_DEP_2) | instskip(NEXT) | instid1(VALU_DEP_2)
	v_sub_f32_e32 v8, v1, v2
	v_fma_f32 v9, v6, v6, -v7
	s_delay_alu instid0(VALU_DEP_2) | instskip(NEXT) | instid1(VALU_DEP_1)
	v_add_f32_e32 v1, v8, v8
	v_fmac_f32_e32 v9, v6, v1
	v_cvt_f64_f32_e32 v[1:2], v5
	s_delay_alu instid0(VALU_DEP_2) | instskip(NEXT) | instid1(VALU_DEP_1)
	v_add_f32_e32 v10, v7, v9
	v_fmaak_f32 v11, s5, v10, 0x3e91f4c4
	v_sub_f32_e32 v7, v10, v7
	v_mul_f32_e32 v14, v6, v10
	s_delay_alu instid0(VALU_DEP_3) | instskip(NEXT) | instid1(VALU_DEP_3)
	v_fmaak_f32 v11, v10, v11, 0x3ecccdef
	v_sub_f32_e32 v7, v9, v7
	s_delay_alu instid0(VALU_DEP_2) | instskip(NEXT) | instid1(VALU_DEP_1)
	v_mul_f32_e32 v12, v10, v11
	v_fma_f32 v9, v10, v11, -v12
	s_delay_alu instid0(VALU_DEP_1) | instskip(NEXT) | instid1(VALU_DEP_1)
	v_fmac_f32_e32 v9, v7, v11
	v_add_f32_e32 v11, v12, v9
	v_frexp_exp_i32_f64_e32 v1, v[1:2]
	s_delay_alu instid0(VALU_DEP_2) | instskip(NEXT) | instid1(VALU_DEP_1)
	v_sub_f32_e32 v12, v11, v12
	v_sub_f32_e32 v2, v9, v12
	v_fma_f32 v12, v10, v6, -v14
	s_delay_alu instid0(VALU_DEP_2) | instskip(NEXT) | instid1(VALU_DEP_2)
	v_add_f32_e32 v2, 0x31739010, v2
	v_dual_add_f32 v13, 0x3f2aaaaa, v11 :: v_dual_fmac_f32 v12, v10, v8
	v_ldexp_f32 v8, v8, 1
	s_delay_alu instid0(VALU_DEP_2) | instskip(NEXT) | instid1(VALU_DEP_1)
	v_dual_add_f32 v9, 0xbf2aaaaa, v13 :: v_dual_fmac_f32 v12, v7, v6
	v_sub_f32_e32 v9, v11, v9
	s_delay_alu instid0(VALU_DEP_1) | instskip(NEXT) | instid1(VALU_DEP_3)
	v_add_f32_e32 v2, v2, v9
	v_add_f32_e32 v9, v14, v12
	s_delay_alu instid0(VALU_DEP_2) | instskip(NEXT) | instid1(VALU_DEP_1)
	v_add_f32_e32 v7, v13, v2
	v_sub_f32_e32 v10, v13, v7
	s_delay_alu instid0(VALU_DEP_3) | instskip(SKIP_2) | instid1(VALU_DEP_4)
	v_mul_f32_e32 v11, v9, v7
	v_sub_f32_e32 v13, v9, v14
	v_subrev_co_ci_u32_e64 v1, s4, 0, v1, s4
	v_add_f32_e32 v2, v2, v10
	s_delay_alu instid0(VALU_DEP_4) | instskip(NEXT) | instid1(VALU_DEP_4)
	v_fma_f32 v10, v9, v7, -v11
	v_sub_f32_e32 v12, v12, v13
	s_delay_alu instid0(VALU_DEP_4) | instskip(NEXT) | instid1(VALU_DEP_3)
	v_cvt_f32_i32_e32 v1, v1
	v_fmac_f32_e32 v10, v9, v2
	v_ldexp_f32 v2, v6, 1
	s_delay_alu instid0(VALU_DEP_2) | instskip(NEXT) | instid1(VALU_DEP_1)
	v_fmac_f32_e32 v10, v12, v7
	v_add_f32_e32 v6, v11, v10
	s_delay_alu instid0(VALU_DEP_1) | instskip(NEXT) | instid1(VALU_DEP_1)
	v_add_f32_e32 v7, v2, v6
	v_dual_sub_f32 v2, v7, v2 :: v_dual_sub_f32 v9, v6, v11
	s_delay_alu instid0(VALU_DEP_1) | instskip(NEXT) | instid1(VALU_DEP_2)
	v_sub_f32_e32 v2, v6, v2
	v_sub_f32_e32 v9, v10, v9
	s_delay_alu instid0(VALU_DEP_1) | instskip(NEXT) | instid1(VALU_DEP_1)
	v_add_f32_e32 v6, v8, v9
	v_dual_mul_f32 v11, 0x3f317218, v1 :: v_dual_add_f32 v2, v6, v2
	s_delay_alu instid0(VALU_DEP_1) | instskip(NEXT) | instid1(VALU_DEP_2)
	v_fma_f32 v10, 0x3f317218, v1, -v11
	v_add_f32_e32 v8, v7, v2
	s_delay_alu instid0(VALU_DEP_1) | instskip(NEXT) | instid1(VALU_DEP_1)
	v_sub_f32_e32 v7, v8, v7
	v_dual_fmamk_f32 v1, v1, 0xb102e308, v10 :: v_dual_sub_f32 v2, v2, v7
	s_delay_alu instid0(VALU_DEP_1) | instskip(NEXT) | instid1(VALU_DEP_1)
	v_add_f32_e32 v6, v11, v1
	v_add_f32_e32 v9, v6, v8
	s_delay_alu instid0(VALU_DEP_1) | instskip(NEXT) | instid1(VALU_DEP_1)
	v_dual_sub_f32 v11, v6, v11 :: v_dual_sub_f32 v10, v9, v6
	v_sub_f32_e32 v12, v9, v10
	s_delay_alu instid0(VALU_DEP_2) | instskip(NEXT) | instid1(VALU_DEP_2)
	v_sub_f32_e32 v1, v1, v11
	v_dual_sub_f32 v7, v8, v10 :: v_dual_sub_f32 v6, v6, v12
	s_delay_alu instid0(VALU_DEP_2) | instskip(NEXT) | instid1(VALU_DEP_2)
	v_add_f32_e32 v8, v1, v2
	v_add_f32_e32 v6, v7, v6
	s_delay_alu instid0(VALU_DEP_1) | instskip(NEXT) | instid1(VALU_DEP_1)
	v_add_f32_e32 v6, v8, v6
	v_dual_sub_f32 v7, v8, v1 :: v_dual_add_f32 v10, v9, v6
	s_delay_alu instid0(VALU_DEP_1) | instskip(SKIP_1) | instid1(VALU_DEP_3)
	v_sub_f32_e32 v8, v8, v7
	v_sub_f32_e32 v2, v2, v7
	;; [unrolled: 1-line block ×3, first 2 shown]
	s_delay_alu instid0(VALU_DEP_3) | instskip(NEXT) | instid1(VALU_DEP_1)
	v_sub_f32_e32 v1, v1, v8
	v_add_f32_e32 v1, v2, v1
	s_delay_alu instid0(VALU_DEP_3) | instskip(NEXT) | instid1(VALU_DEP_1)
	v_sub_f32_e32 v2, v6, v7
	v_add_f32_e32 v1, v1, v2
	s_delay_alu instid0(VALU_DEP_1) | instskip(NEXT) | instid1(VALU_DEP_1)
	v_add_f32_e32 v2, v10, v1
	v_mul_f32_e32 v7, v4, v2
	v_sub_f32_e32 v6, v2, v10
	s_delay_alu instid0(VALU_DEP_2) | instskip(NEXT) | instid1(VALU_DEP_2)
	v_fma_f32 v2, v4, v2, -v7
	v_sub_f32_e32 v1, v1, v6
	v_cmp_class_f32_e64 s4, v7, 0x204
	s_delay_alu instid0(VALU_DEP_2) | instskip(NEXT) | instid1(VALU_DEP_1)
	v_fmac_f32_e32 v2, v4, v1
	v_add_f32_e32 v1, v7, v2
	s_delay_alu instid0(VALU_DEP_1) | instskip(NEXT) | instid1(VALU_DEP_1)
	v_cndmask_b32_e64 v6, v1, v7, s4
	v_cmp_eq_f32_e64 s4, 0x42b17218, v6
	s_delay_alu instid0(VALU_DEP_1) | instskip(SKIP_1) | instid1(VALU_DEP_2)
	v_cndmask_b32_e64 v8, 0, 0x37000000, s4
	v_cmp_neq_f32_e64 s4, 0x7f800000, |v6|
	v_sub_f32_e32 v9, v6, v8
	v_trunc_f32_e32 v6, v4
	s_delay_alu instid0(VALU_DEP_2) | instskip(NEXT) | instid1(VALU_DEP_1)
	v_mul_f32_e32 v10, 0x3fb8aa3b, v9
	v_fma_f32 v11, 0x3fb8aa3b, v9, -v10
	v_rndne_f32_e32 v12, v10
	s_delay_alu instid0(VALU_DEP_1) | instskip(NEXT) | instid1(VALU_DEP_1)
	v_dual_fmamk_f32 v11, v9, 0x32a5705f, v11 :: v_dual_sub_f32 v10, v10, v12
	v_add_f32_e32 v10, v10, v11
	v_sub_f32_e32 v1, v1, v7
	v_cvt_i32_f32_e32 v7, v12
	s_delay_alu instid0(VALU_DEP_3) | instskip(NEXT) | instid1(VALU_DEP_2)
	v_exp_f32_e32 v10, v10
	v_sub_f32_e32 v1, v2, v1
	s_delay_alu instid0(VALU_DEP_1)
	v_cndmask_b32_e64 v1, 0, v1, s4
	v_cmp_ngt_f32_e64 s4, 0xc2ce8ed0, v9
	s_waitcnt_depctr 0xfff
	v_ldexp_f32 v2, v10, v7
	v_mul_f32_e32 v7, 0.5, v4
	v_add_f32_e32 v1, v8, v1
	s_delay_alu instid0(VALU_DEP_3) | instskip(NEXT) | instid1(VALU_DEP_3)
	v_cndmask_b32_e64 v2, 0, v2, s4
	v_trunc_f32_e32 v10, v7
	v_cmp_nlt_f32_e64 s4, 0x42b17218, v9
	s_delay_alu instid0(VALU_DEP_2) | instskip(NEXT) | instid1(VALU_DEP_2)
	v_cmp_neq_f32_e64 s5, v10, v7
	v_cndmask_b32_e64 v2, 0x7f800000, v2, s4
	v_cmp_eq_f32_e64 s4, v6, v4
	s_delay_alu instid0(VALU_DEP_2) | instskip(NEXT) | instid1(VALU_DEP_2)
	v_fma_f32 v1, v2, v1, v2
	s_and_b32 vcc_lo, s4, s5
	v_cmp_class_f32_e64 s5, v2, 0x204
	v_cndmask_b32_e32 v6, 1.0, v3, vcc_lo
	s_delay_alu instid0(VALU_DEP_2) | instskip(SKIP_1) | instid1(VALU_DEP_2)
	v_cndmask_b32_e64 v1, v1, v2, s5
	v_cmp_gt_f32_e64 s5, 0, v4
	v_bfi_b32 v1, 0x7fffffff, v1, v6
	v_cndmask_b32_e32 v6, 0, v3, vcc_lo
	s_delay_alu instid0(VALU_DEP_3)
	s_xor_b32 s5, s5, s6
	v_cmp_eq_f32_e32 vcc_lo, 0x7f800000, v5
	v_cndmask_b32_e64 v2, 0x7f800000, 0, s5
	v_cndmask_b32_e64 v4, 0x7fc00000, v1, s4
	v_cmp_gt_f32_e64 s4, 0, v3
	s_or_b32 vcc_lo, vcc_lo, s6
	s_delay_alu instid0(VALU_DEP_3) | instskip(NEXT) | instid1(VALU_DEP_2)
	v_bfi_b32 v2, 0x7fffffff, v2, v6
	v_cndmask_b32_e64 v1, v1, v4, s4
	s_delay_alu instid0(VALU_DEP_1) | instskip(SKIP_1) | instid1(VALU_DEP_2)
	v_cndmask_b32_e32 v1, v1, v2, vcc_lo
	v_cmp_o_f32_e32 vcc_lo, v3, v3
	v_cndmask_b32_e32 v53, 0x7fc00000, v1, vcc_lo
.LBB52_4:
	v_bfe_u32 v50, v0, 10, 10
	s_load_b128 s[48:51], s[2:3], 0x70
	s_ashr_i32 s35, s34, 31
	s_ashr_i32 s10, s7, 31
	s_delay_alu instid0(VALU_DEP_1) | instskip(SKIP_1) | instid1(VALU_DEP_2)
	v_lshl_add_u32 v2, s13, 2, v50
	v_lshlrev_b32_e32 v11, 7, v50
	v_mul_hi_u32 v1, s36, v2
	s_delay_alu instid0(VALU_DEP_1) | instskip(SKIP_3) | instid1(VALU_DEP_1)
	v_add_nc_u32_e32 v1, v2, v1
	s_waitcnt lgkmcnt(0)
	s_mul_i32 s4, s33, s50
	s_mul_i32 s5, s34, s49
	v_lshrrev_b32_e32 v1, s37, v1
	s_ashr_i32 s6, s4, 31
	s_add_u32 s4, s16, s4
	s_addc_u32 s6, s17, s6
	s_ashr_i32 s7, s5, 31
	v_mul_lo_u32 v1, v1, s38
	s_add_u32 s4, s4, s5
	s_addc_u32 s5, s6, s7
	s_ashr_i32 s6, s48, 31
	s_delay_alu instid0(SALU_CYCLE_1) | instskip(SKIP_2) | instid1(VALU_DEP_2)
	v_alignbit_b32 v5, s6, s48, 2
	s_lshr_b32 s6, s6, 2
	s_cmp_eq_u64 s[26:27], 0
	v_sub_nc_u32_e32 v54, v2, v1
	s_delay_alu instid0(VALU_DEP_1) | instskip(NEXT) | instid1(VALU_DEP_1)
	v_mad_u64_u32 v[3:4], null, v5, v54, 0
	v_mov_b32_e32 v1, v4
	s_delay_alu instid0(VALU_DEP_1) | instskip(SKIP_1) | instid1(VALU_DEP_1)
	v_mad_u64_u32 v[4:5], null, s6, v54, v[1:2]
	v_and_b32_e32 v1, 0x3ff, v0
	v_lshlrev_b32_e32 v5, 4, v1
	s_delay_alu instid0(VALU_DEP_3) | instskip(SKIP_2) | instid1(VALU_DEP_2)
	v_lshlrev_b64 v[3:4], 2, v[3:4]
	v_lshlrev_b32_e32 v51, 1, v1
	v_lshlrev_b32_e32 v41, 2, v1
	v_add_lshl_u32 v15, v51, v11, 2
	s_delay_alu instid0(VALU_DEP_4) | instskip(SKIP_2) | instid1(VALU_DEP_2)
	v_add_co_u32 v3, vcc_lo, s4, v3
	v_add_co_ci_u32_e32 v4, vcc_lo, s5, v4, vcc_lo
	s_mov_b32 s5, 0
	v_add_co_u32 v7, vcc_lo, v3, v5
	s_delay_alu instid0(VALU_DEP_2)
	v_add_co_ci_u32_e32 v8, vcc_lo, 0, v4, vcc_lo
	s_clause 0x1
	global_load_b128 v[3:6], v[7:8], off
	global_load_b128 v[7:10], v[7:8], off offset:512
	s_waitcnt vmcnt(1)
	v_fma_mixlo_f16 v12, v5, s8, 0
	v_fma_mixlo_f16 v11, v3, s8, 0
	s_waitcnt vmcnt(0)
	v_fma_mixlo_f16 v14, v9, s8, 0
	v_fma_mixlo_f16 v13, v7, s8, 0
	v_add_nc_u32_e32 v3, 0x4000, v15
	v_fma_mixhi_f16 v12, v6, s8, 0
	v_fma_mixhi_f16 v11, v4, s8, 0
	v_fma_mixhi_f16 v14, v10, s8, 0
	v_fma_mixhi_f16 v13, v8, s8, 0
	ds_store_2addr_b64 v3, v[11:12], v[13:14] offset0:64 offset1:96
	s_waitcnt lgkmcnt(0)
	s_barrier
	buffer_gl0_inv
	s_cbranch_scc1 .LBB52_6
; %bb.5:
	s_load_b32 s4, s[2:3], 0xd0
	s_waitcnt lgkmcnt(0)
	s_mul_i32 s4, s4, s33
	s_delay_alu instid0(SALU_CYCLE_1) | instskip(NEXT) | instid1(SALU_CYCLE_1)
	s_add_i32 s4, s4, s13
	s_lshl_b64 s[4:5], s[4:5], 2
	s_delay_alu instid0(SALU_CYCLE_1)
	s_add_u32 s4, s26, s4
	s_addc_u32 s5, s27, s5
	s_load_b32 s42, s[4:5], 0x0
.LBB52_6:
	s_clause 0x2
	s_load_b64 s[16:17], s[2:3], 0x8c
	s_load_b128 s[4:7], s[2:3], 0x98
	s_load_b64 s[22:23], s[2:3], 0xa8
	s_ashr_i32 s11, s33, 31
	s_ashr_i32 s12, s45, 1
	s_mul_i32 s13, s9, s43
	v_dual_mov_b32 v45, 0 :: v_dual_lshlrev_b32 v52, 9, v50
	v_lshlrev_b32_e32 v49, 2, v41
	v_mul_u32_u24_e32 v55, 0x210, v1
	v_lshlrev_b32_e32 v44, 3, v1
	v_mbcnt_lo_u32_b32 v42, -1, 0
	s_waitcnt lgkmcnt(0)
	s_ashr_i32 s8, s16, 2
	s_ashr_i32 s15, s6, 2
	s_mul_i32 s5, s33, s5
	s_mul_hi_u32 s6, s33, s4
	s_mul_i32 s16, s11, s4
	s_add_i32 s5, s6, s5
	s_mul_i32 s4, s33, s4
	s_add_i32 s5, s5, s16
	s_add_u32 s4, s18, s4
	s_addc_u32 s5, s19, s5
	s_xor_b32 s6, s35, s10
	s_sub_i32 s10, s46, s13
	s_add_i32 s13, s9, 1
	s_sub_i32 s16, s10, s43
	s_cmp_ge_u32 s10, s43
	v_mul_lo_u32 v6, s8, v50
	s_cselect_b32 s9, s13, s9
	s_cselect_b32 s10, s16, s10
	s_add_i32 s13, s9, 1
	s_cmp_ge_u32 s10, s43
	v_mul_lo_u32 v3, s15, v50
	s_cselect_b32 s9, s13, s9
	s_mul_i32 s23, s33, s23
	s_xor_b32 s9, s9, s6
	s_mul_hi_u32 s18, s33, s22
	s_sub_i32 s13, s9, s6
	s_mul_i32 s11, s11, s22
	s_mul_i32 s6, s13, s17
	;; [unrolled: 1-line block ×3, first 2 shown]
	s_ashr_i32 s9, s6, 31
	s_add_u32 s6, s4, s6
	s_addc_u32 s9, s5, s9
	s_add_i32 s4, s18, s23
	s_mul_i32 s13, s13, s7
	s_add_i32 s4, s4, s11
	s_add_u32 s5, s20, s10
	s_addc_u32 s4, s21, s4
	s_ashr_i32 s7, s13, 31
	v_ashrrev_i32_e32 v7, 31, v6
	s_add_u32 s17, s5, s13
	v_ashrrev_i32_e32 v4, 31, v3
	s_addc_u32 s16, s4, s7
	s_lshl_b32 s18, s14, 5
	s_sub_i32 s7, s42, 32
	s_delay_alu instid0(SALU_CYCLE_1)
	s_cmp_ge_i32 s18, s7
	s_cbranch_scc1 .LBB52_12
; %bb.7:
	s_lshl_b32 s4, s8, 2
	s_cmp_lg_u64 s[40:41], 0
	v_dual_mov_b32 v46, 0 :: v_dual_add_nc_u32 v11, s4, v6
	s_cselect_b32 s10, -1, 0
	s_lshl_b32 s5, s15, 2
	v_mad_u32_u24 v56, 0x210, v50, v49
	v_add_nc_u32_e32 v27, s5, v3
	v_dual_mov_b32 v76, 0xfeffffff :: v_dual_add_nc_u32 v13, s4, v11
	v_ashrrev_i32_e32 v12, 31, v11
	v_lshl_add_u32 v58, v50, 6, 0x4a00
	s_delay_alu instid0(VALU_DEP_4) | instskip(NEXT) | instid1(VALU_DEP_4)
	v_add_nc_u32_e32 v29, s5, v27
	v_add_nc_u32_e32 v15, s4, v13
	v_ashrrev_i32_e32 v14, 31, v13
	v_ashrrev_i32_e32 v28, 31, v27
	v_add_nc_u32_e32 v59, v52, v49
	v_add_nc_u32_e32 v31, s5, v29
	;; [unrolled: 1-line block ×3, first 2 shown]
	v_ashrrev_i32_e32 v16, 31, v15
	v_ashrrev_i32_e32 v30, 31, v29
	v_mad_u64_u32 v[8:9], null, v54, s12, v[1:2]
	v_add_nc_u32_e32 v33, s5, v31
	v_add_nc_u32_e32 v19, s4, v17
	v_ashrrev_i32_e32 v18, 31, v17
	v_ashrrev_i32_e32 v32, 31, v31
	v_lshlrev_b64 v[9:10], 2, v[6:7]
	v_add_nc_u32_e32 v35, s5, v33
	v_add_nc_u32_e32 v21, s4, v19
	v_ashrrev_i32_e32 v20, 31, v19
	v_ashrrev_i32_e32 v34, 31, v33
	v_lshlrev_b64 v[11:12], 2, v[11:12]
	;; [unrolled: 5-line block ×3, first 2 shown]
	v_add_nc_u32_e32 v39, s5, v37
	v_ashrrev_i32_e32 v24, 31, v23
	v_ashrrev_i32_e32 v38, 31, v37
	v_lshlrev_b64 v[15:16], 2, v[15:16]
	v_lshlrev_b64 v[17:18], 2, v[17:18]
	v_ashrrev_i32_e32 v40, 31, v39
	v_lshlrev_b64 v[19:20], 2, v[19:20]
	v_lshlrev_b64 v[21:22], 2, v[21:22]
	;; [unrolled: 1-line block ×11, first 2 shown]
	v_dual_mov_b32 v48, 0 :: v_dual_add_nc_u32 v57, 0x4200, v52
	v_dual_mov_b32 v43, 0 :: v_dual_add_nc_u32 v60, 0x840, v56
	v_add_nc_u32_e32 v61, 0x1080, v56
	v_dual_mov_b32 v47, 0 :: v_dual_add_nc_u32 v62, 0x18c0, v56
	v_add_nc_u32_e32 v63, 0x2100, v56
	;; [unrolled: 2-line block ×3, first 2 shown]
	v_add_nc_u32_e32 v66, 0x39c0, v56
	v_lshl_add_u32 v67, v1, 1, v58
	v_add_nc_u32_e32 v68, 0x800, v59
	v_add_nc_u32_e32 v69, 0x1000, v59
	;; [unrolled: 1-line block ×7, first 2 shown]
	v_mbcnt_lo_u32_b32 v75, -1, 0
	s_add_u32 s4, s2, 0xd0
	s_addc_u32 s5, s3, 0
.LBB52_8:                               ; =>This Inner Loop Header: Depth=1
	s_mul_hi_i32 s21, s18, s8
	s_mul_i32 s20, s18, s8
	s_delay_alu instid0(SALU_CYCLE_1) | instskip(NEXT) | instid1(SALU_CYCLE_1)
	s_lshl_b64 s[20:21], s[20:21], 2
	s_add_u32 s11, s6, s20
	s_addc_u32 s13, s9, s21
	v_add_co_u32 v5, vcc_lo, s11, v9
	v_add_co_ci_u32_e32 v78, vcc_lo, s13, v10, vcc_lo
	v_add_co_u32 v79, vcc_lo, s11, v11
	v_add_co_ci_u32_e32 v80, vcc_lo, s13, v12, vcc_lo
	s_delay_alu instid0(VALU_DEP_4) | instskip(NEXT) | instid1(VALU_DEP_4)
	v_add_co_u32 v77, vcc_lo, v5, v49
	v_add_co_ci_u32_e32 v78, vcc_lo, 0, v78, vcc_lo
	s_delay_alu instid0(VALU_DEP_4) | instskip(NEXT) | instid1(VALU_DEP_4)
	v_add_co_u32 v81, vcc_lo, v79, v49
	v_add_co_ci_u32_e32 v82, vcc_lo, 0, v80, vcc_lo
	v_add_co_u32 v5, vcc_lo, s11, v13
	v_add_co_ci_u32_e32 v86, vcc_lo, s13, v14, vcc_lo
	v_add_co_u32 v87, vcc_lo, s11, v15
	v_add_co_ci_u32_e32 v88, vcc_lo, s13, v16, vcc_lo
	s_delay_alu instid0(VALU_DEP_4) | instskip(NEXT) | instid1(VALU_DEP_4)
	v_add_co_u32 v85, vcc_lo, v5, v49
	v_add_co_ci_u32_e32 v86, vcc_lo, 0, v86, vcc_lo
	s_delay_alu instid0(VALU_DEP_4) | instskip(NEXT) | instid1(VALU_DEP_4)
	v_add_co_u32 v89, vcc_lo, v87, v49
	v_add_co_ci_u32_e32 v90, vcc_lo, 0, v88, vcc_lo
	;; [unrolled: 10-line block ×4, first 2 shown]
	s_clause 0x7
	global_load_b128 v[77:80], v[77:78], off
	global_load_b128 v[81:84], v[81:82], off
	;; [unrolled: 1-line block ×8, first 2 shown]
	v_mov_b32_e32 v5, 0
	s_and_not1_b32 vcc_lo, exec_lo, s10
	s_waitcnt vmcnt(7)
	ds_store_b128 v56, v[77:80]
	s_waitcnt vmcnt(6)
	ds_store_b128 v60, v[81:84]
	;; [unrolled: 2-line block ×8, first 2 shown]
	s_waitcnt lgkmcnt(0)
	s_barrier
	buffer_gl0_inv
	ds_load_b128 v[77:80], v55
	ds_load_b128 v[81:84], v57
	s_waitcnt lgkmcnt(0)
	;;#ASMSTART
	v_dot2_f32_f16 v5, v77, v81, v5
	;;#ASMEND
	;;#ASMSTART
	v_dot2_f32_f16 v5, v78, v82, v5
	;;#ASMEND
	;;#ASMSTART
	v_dot2_f32_f16 v5, v79, v83, v5
	;;#ASMEND
	;;#ASMSTART
	v_dot2_f32_f16 v5, v80, v84, v5
	;;#ASMEND
	ds_load_b128 v[77:80], v55 offset:16
	ds_load_b128 v[81:84], v57 offset:16
	s_waitcnt lgkmcnt(0)
	;;#ASMSTART
	v_dot2_f32_f16 v5, v77, v81, v5
	;;#ASMEND
	;;#ASMSTART
	v_dot2_f32_f16 v5, v78, v82, v5
	;;#ASMEND
	;;#ASMSTART
	v_dot2_f32_f16 v5, v79, v83, v5
	;;#ASMEND
	;;#ASMSTART
	v_dot2_f32_f16 v5, v80, v84, v5
	;;#ASMEND
	ds_load_b128 v[77:80], v55 offset:32
	ds_load_b128 v[81:84], v57 offset:32
	;; [unrolled: 15-line block ×31, first 2 shown]
	v_mov_b32_e32 v77, 0
	s_waitcnt lgkmcnt(0)
	;;#ASMSTART
	v_dot2_f32_f16 v5, v78, v82, v5
	;;#ASMEND
	;;#ASMSTART
	v_dot2_f32_f16 v5, v79, v83, v5
	;;#ASMEND
	;; [unrolled: 3-line block ×4, first 2 shown]
	s_cbranch_vccnz .LBB52_10
; %bb.9:                                ;   in Loop: Header=BB52_8 Depth=1
	v_add_nc_u32_e32 v77, s18, v8
	s_delay_alu instid0(VALU_DEP_1) | instskip(NEXT) | instid1(VALU_DEP_1)
	v_ashrrev_i32_e32 v78, 31, v77
	v_lshlrev_b64 v[77:78], 1, v[77:78]
	s_delay_alu instid0(VALU_DEP_1) | instskip(NEXT) | instid1(VALU_DEP_2)
	v_add_co_u32 v77, vcc_lo, s40, v77
	v_add_co_ci_u32_e32 v78, vcc_lo, s41, v78, vcc_lo
	flat_load_u16 v77, v[77:78]
	s_waitcnt vmcnt(0) lgkmcnt(0)
	v_cvt_f32_f16_e32 v77, v77
	s_delay_alu instid0(VALU_DEP_1)
	v_mul_f32_e32 v77, v53, v77
.LBB52_10:                              ;   in Loop: Header=BB52_8 Depth=1
	s_mul_hi_i32 s21, s18, s15
	s_mul_i32 s20, s18, s15
	s_delay_alu instid0(SALU_CYCLE_1)
	s_lshl_b64 s[20:21], s[20:21], 2
	s_barrier
	s_add_u32 s11, s17, s20
	s_addc_u32 s13, s16, s21
	v_add_co_u32 v78, vcc_lo, s11, v25
	v_add_co_ci_u32_e32 v79, vcc_lo, s13, v26, vcc_lo
	v_add_co_u32 v80, vcc_lo, s11, v27
	v_add_co_ci_u32_e32 v81, vcc_lo, s13, v28, vcc_lo
	s_delay_alu instid0(VALU_DEP_4) | instskip(NEXT) | instid1(VALU_DEP_4)
	v_add_co_u32 v78, vcc_lo, v78, v49
	v_add_co_ci_u32_e32 v79, vcc_lo, 0, v79, vcc_lo
	s_delay_alu instid0(VALU_DEP_4) | instskip(NEXT) | instid1(VALU_DEP_4)
	v_add_co_u32 v82, vcc_lo, v80, v49
	v_add_co_ci_u32_e32 v83, vcc_lo, 0, v81, vcc_lo
	v_add_co_u32 v86, vcc_lo, s11, v29
	v_add_co_ci_u32_e32 v87, vcc_lo, s13, v30, vcc_lo
	v_add_co_u32 v88, vcc_lo, s11, v31
	v_add_co_ci_u32_e32 v89, vcc_lo, s13, v32, vcc_lo
	s_delay_alu instid0(VALU_DEP_4) | instskip(NEXT) | instid1(VALU_DEP_4)
	v_add_co_u32 v86, vcc_lo, v86, v49
	v_add_co_ci_u32_e32 v87, vcc_lo, 0, v87, vcc_lo
	s_delay_alu instid0(VALU_DEP_4) | instskip(NEXT) | instid1(VALU_DEP_4)
	v_add_co_u32 v90, vcc_lo, v88, v49
	v_add_co_ci_u32_e32 v91, vcc_lo, 0, v89, vcc_lo
	;; [unrolled: 10-line block ×4, first 2 shown]
	buffer_gl0_inv
	s_clause 0x7
	global_load_b128 v[78:81], v[78:79], off
	global_load_b128 v[82:85], v[82:83], off
	;; [unrolled: 1-line block ×8, first 2 shown]
	v_dual_add_f32 v77, v5, v77 :: v_dual_max_f32 v110, v76, v76
	v_xor_b32_e32 v5, 16, v75
	v_add_nc_u32_e32 v131, 0x1800, v44
	v_add_nc_u32_e32 v135, 0x3000, v44
	s_delay_alu instid0(VALU_DEP_4)
	v_add_f32_e32 v111, 0x40051340, v77
	v_add_nc_u32_e32 v120, 0x800, v44
	v_cmp_gt_i32_e32 vcc_lo, 32, v5
	v_add_nc_u32_e32 v130, 0x1000, v44
	v_add_nc_u32_e32 v132, 0x2000, v44
	v_max_f32_e32 v110, v110, v111
	v_xor_b32_e32 v111, 8, v75
	v_dual_cndmask_b32 v5, v75, v5 :: v_dual_add_nc_u32 v134, 0x2800, v44
	v_add_nc_u32_e32 v136, 0x3800, v44
	s_delay_alu instid0(VALU_DEP_3) | instskip(NEXT) | instid1(VALU_DEP_3)
	v_cmp_gt_i32_e32 vcc_lo, 32, v111
	v_lshlrev_b32_e32 v5, 2, v5
	v_cndmask_b32_e32 v111, v75, v111, vcc_lo
	ds_bpermute_b32 v5, v5, v110
	v_lshlrev_b32_e32 v111, 2, v111
	s_waitcnt lgkmcnt(0)
	v_max_f32_e32 v5, v5, v5
	s_delay_alu instid0(VALU_DEP_1) | instskip(SKIP_2) | instid1(VALU_DEP_1)
	v_max_f32_e32 v5, v110, v5
	ds_bpermute_b32 v110, v111, v5
	v_xor_b32_e32 v111, 4, v75
	v_cmp_gt_i32_e32 vcc_lo, 32, v111
	v_cndmask_b32_e32 v111, v75, v111, vcc_lo
	s_waitcnt lgkmcnt(0)
	s_delay_alu instid0(VALU_DEP_1) | instskip(NEXT) | instid1(VALU_DEP_1)
	v_dual_max_f32 v110, v110, v110 :: v_dual_lshlrev_b32 v111, 2, v111
	v_max_f32_e32 v5, v5, v110
	ds_bpermute_b32 v110, v111, v5
	v_xor_b32_e32 v111, 2, v75
	s_delay_alu instid0(VALU_DEP_1) | instskip(SKIP_2) | instid1(VALU_DEP_1)
	v_cmp_gt_i32_e32 vcc_lo, 32, v111
	v_cndmask_b32_e32 v111, v75, v111, vcc_lo
	s_waitcnt lgkmcnt(0)
	v_dual_max_f32 v110, v110, v110 :: v_dual_lshlrev_b32 v111, 2, v111
	s_delay_alu instid0(VALU_DEP_1) | instskip(SKIP_2) | instid1(VALU_DEP_1)
	v_max_f32_e32 v5, v5, v110
	ds_bpermute_b32 v110, v111, v5
	v_xor_b32_e32 v111, 1, v75
	v_cmp_gt_i32_e32 vcc_lo, 32, v111
	v_cndmask_b32_e32 v111, v75, v111, vcc_lo
	s_waitcnt lgkmcnt(0)
	s_delay_alu instid0(VALU_DEP_1) | instskip(NEXT) | instid1(VALU_DEP_1)
	v_dual_max_f32 v110, v110, v110 :: v_dual_lshlrev_b32 v111, 2, v111
	v_max_f32_e32 v5, v5, v110
	ds_bpermute_b32 v110, v111, v5
	s_waitcnt lgkmcnt(0)
	v_max_f32_e32 v110, v110, v110
	s_delay_alu instid0(VALU_DEP_1) | instskip(NEXT) | instid1(VALU_DEP_1)
	v_max_f32_e32 v5, v5, v110
	v_sub_f32_e32 v77, v77, v5
	v_sub_f32_e32 v76, v76, v5
	s_delay_alu instid0(VALU_DEP_1) | instskip(SKIP_1) | instid1(VALU_DEP_2)
	v_dual_mul_f32 v110, 0x3fb8aa3b, v77 :: v_dual_mul_f32 v113, 0x3fb8aa3b, v76
	v_cmp_ngt_f32_e32 vcc_lo, 0xc2ce8ed0, v77
	v_fma_f32 v111, 0x3fb8aa3b, v77, -v110
	v_rndne_f32_e32 v112, v110
	s_delay_alu instid0(VALU_DEP_4) | instskip(SKIP_1) | instid1(VALU_DEP_3)
	v_fma_f32 v114, 0x3fb8aa3b, v76, -v113
	v_rndne_f32_e32 v115, v113
	v_dual_fmac_f32 v111, 0x32a5705f, v77 :: v_dual_sub_f32 v110, v110, v112
	s_delay_alu instid0(VALU_DEP_3) | instskip(SKIP_1) | instid1(VALU_DEP_3)
	v_fmac_f32_e32 v114, 0x32a5705f, v76
	v_cvt_i32_f32_e32 v112, v112
	v_add_f32_e32 v110, v110, v111
	v_sub_f32_e32 v111, v113, v115
	s_delay_alu instid0(VALU_DEP_2) | instskip(NEXT) | instid1(VALU_DEP_1)
	v_exp_f32_e32 v110, v110
	v_add_f32_e32 v111, v111, v114
	s_delay_alu instid0(VALU_DEP_1) | instskip(SKIP_3) | instid1(VALU_DEP_2)
	v_exp_f32_e32 v111, v111
	s_waitcnt_depctr 0xfff
	v_ldexp_f32 v110, v110, v112
	v_cvt_i32_f32_e32 v112, v115
	v_cndmask_b32_e32 v110, 0, v110, vcc_lo
	v_cmp_nlt_f32_e32 vcc_lo, 0x42b17218, v77
	s_delay_alu instid0(VALU_DEP_3) | instskip(NEXT) | instid1(VALU_DEP_3)
	v_ldexp_f32 v111, v111, v112
	v_cndmask_b32_e32 v128, 0x7f800000, v110, vcc_lo
	v_cmp_ngt_f32_e32 vcc_lo, 0xc2ce8ed0, v76
	s_delay_alu instid0(VALU_DEP_2) | instskip(NEXT) | instid1(VALU_DEP_4)
	v_cvt_f16_f32_e64 v110, v128
	v_cndmask_b32_e32 v77, 0, v111, vcc_lo
	v_cmp_nlt_f32_e32 vcc_lo, 0x42b17218, v76
	ds_store_b16 v67, v110
	s_waitcnt vmcnt(7)
	ds_store_b128 v59, v[78:81]
	s_waitcnt vmcnt(6)
	ds_store_b128 v68, v[82:85]
	;; [unrolled: 2-line block ×8, first 2 shown]
	v_cndmask_b32_e32 v129, 0x7f800000, v77, vcc_lo
	s_waitcnt lgkmcnt(0)
	s_barrier
	buffer_gl0_inv
	ds_load_2addr_b64 v[76:79], v44 offset1:32
	ds_load_b128 v[80:83], v58
	ds_load_2addr_b64 v[84:87], v44 offset0:64 offset1:96
	v_cvt_f16_f32_e64 v133, v129
	ds_load_b128 v[88:91], v58 offset:16
	ds_load_2addr_b64 v[92:95], v44 offset0:128 offset1:160
	ds_load_b128 v[96:99], v58 offset:32
	ds_load_b128 v[100:103], v58 offset:48
	ds_load_2addr_b64 v[104:107], v44 offset0:192 offset1:224
	ds_load_2addr_b64 v[108:111], v120 offset1:32
	ds_load_2addr_b64 v[112:115], v120 offset0:64 offset1:96
	ds_load_2addr_b64 v[116:119], v120 offset0:128 offset1:160
	;; [unrolled: 1-line block ×3, first 2 shown]
	ds_load_2addr_b64 v[124:127], v130 offset1:32
	v_fma_f32 v43, v43, v129, v128
	v_pk_mul_f16 v47, v133, v47 op_sel_hi:[0,1]
	v_pk_mul_f16 v46, v133, v46 op_sel_hi:[0,1]
	s_waitcnt lgkmcnt(11)
	v_pk_mul_f16 v76, v76, v80 op_sel_hi:[1,0]
	v_pk_mul_f16 v77, v77, v80 op_sel_hi:[1,0]
	v_pk_fma_f16 v78, v78, v80, v47 op_sel_hi:[1,0,1]
	v_pk_fma_f16 v79, v79, v80, v46 op_sel_hi:[1,0,1]
	s_delay_alu instid0(VALU_DEP_4) | instskip(NEXT) | instid1(VALU_DEP_4)
	v_pk_fma_f16 v76, v45, v133, v76 op_sel_hi:[1,0,1]
	v_pk_fma_f16 v77, v48, v133, v77 op_sel_hi:[1,0,1]
	s_waitcnt lgkmcnt(10)
	v_pk_fma_f16 v86, v86, v80, v78 op_sel:[0,1,0]
	v_pk_fma_f16 v87, v87, v80, v79 op_sel:[0,1,0]
	ds_load_2addr_b64 v[45:48], v130 offset0:64 offset1:96
	v_pk_fma_f16 v84, v84, v80, v76 op_sel:[0,1,0]
	v_pk_fma_f16 v80, v85, v80, v77 op_sel:[0,1,0]
	s_waitcnt lgkmcnt(9)
	v_pk_fma_f16 v94, v94, v81, v86 op_sel_hi:[1,0,1]
	v_pk_fma_f16 v95, v95, v81, v87 op_sel_hi:[1,0,1]
	ds_load_2addr_b64 v[76:79], v130 offset0:128 offset1:160
	v_pk_fma_f16 v92, v92, v81, v84 op_sel_hi:[1,0,1]
	v_pk_fma_f16 v80, v93, v81, v80 op_sel_hi:[1,0,1]
	s_waitcnt lgkmcnt(7)
	v_pk_fma_f16 v106, v106, v81, v94 op_sel:[0,1,0]
	v_pk_fma_f16 v107, v107, v81, v95 op_sel:[0,1,0]
	ds_load_2addr_b64 v[84:87], v130 offset0:192 offset1:224
	v_pk_fma_f16 v104, v104, v81, v92 op_sel:[0,1,0]
	v_pk_fma_f16 v80, v105, v81, v80 op_sel:[0,1,0]
	s_waitcnt lgkmcnt(7)
	v_pk_fma_f16 v81, v110, v82, v106 op_sel_hi:[1,0,1]
	v_pk_fma_f16 v110, v111, v82, v107 op_sel_hi:[1,0,1]
	ds_load_2addr_b64 v[92:95], v131 offset1:32
	v_pk_fma_f16 v108, v108, v82, v104 op_sel_hi:[1,0,1]
	v_pk_fma_f16 v80, v109, v82, v80 op_sel_hi:[1,0,1]
	s_waitcnt lgkmcnt(7)
	v_pk_fma_f16 v81, v114, v82, v81 op_sel:[0,1,0]
	v_pk_fma_f16 v114, v115, v82, v110 op_sel:[0,1,0]
	ds_load_2addr_b64 v[104:107], v131 offset0:64 offset1:96
	v_pk_fma_f16 v112, v112, v82, v108 op_sel:[0,1,0]
	v_pk_fma_f16 v80, v113, v82, v80 op_sel:[0,1,0]
	s_waitcnt lgkmcnt(7)
	v_pk_fma_f16 v81, v118, v83, v81 op_sel_hi:[1,0,1]
	v_pk_fma_f16 v82, v119, v83, v114 op_sel_hi:[1,0,1]
	ds_load_2addr_b64 v[108:111], v131 offset0:128 offset1:160
	v_pk_fma_f16 v116, v116, v83, v112 op_sel_hi:[1,0,1]
	v_pk_fma_f16 v80, v117, v83, v80 op_sel_hi:[1,0,1]
	s_waitcnt lgkmcnt(7)
	v_pk_fma_f16 v117, v122, v83, v81 op_sel:[0,1,0]
	v_pk_fma_f16 v118, v123, v83, v82 op_sel:[0,1,0]
	ds_load_2addr_b64 v[112:115], v131 offset0:192 offset1:224
	v_pk_fma_f16 v116, v120, v83, v116 op_sel:[0,1,0]
	v_pk_fma_f16 v119, v121, v83, v80 op_sel:[0,1,0]
	s_waitcnt lgkmcnt(7)
	v_pk_fma_f16 v120, v126, v88, v117 op_sel_hi:[1,0,1]
	v_pk_fma_f16 v121, v127, v88, v118 op_sel_hi:[1,0,1]
	ds_load_2addr_b64 v[80:83], v132 offset1:32
	;; [unrolled: 24-line block ×5, first 2 shown]
	v_pk_fma_f16 v116, v84, v98, v116 op_sel_hi:[1,0,1]
	v_pk_fma_f16 v96, v85, v98, v96 op_sel_hi:[1,0,1]
	s_waitcnt lgkmcnt(7)
	v_pk_fma_f16 v97, v94, v98, v97 op_sel:[0,1,0]
	v_pk_fma_f16 v117, v95, v98, v117 op_sel:[0,1,0]
	ds_load_2addr_b64 v[84:87], v136 offset0:64 offset1:96
	v_pk_fma_f16 v116, v92, v98, v116 op_sel:[0,1,0]
	v_pk_fma_f16 v96, v93, v98, v96 op_sel:[0,1,0]
	s_waitcnt lgkmcnt(7)
	v_pk_fma_f16 v97, v106, v99, v97 op_sel_hi:[1,0,1]
	v_pk_fma_f16 v98, v107, v99, v117 op_sel_hi:[1,0,1]
	ds_load_2addr_b64 v[92:95], v136 offset0:128 offset1:160
	v_pk_fma_f16 v116, v104, v99, v116 op_sel_hi:[1,0,1]
	v_pk_fma_f16 v96, v105, v99, v96 op_sel_hi:[1,0,1]
	s_waitcnt lgkmcnt(7)
	v_pk_fma_f16 v97, v110, v99, v97 op_sel:[0,1,0]
	v_pk_fma_f16 v98, v111, v99, v98 op_sel:[0,1,0]
	ds_load_2addr_b64 v[104:107], v136 offset0:192 offset1:224
	v_pk_fma_f16 v108, v108, v99, v116 op_sel:[0,1,0]
	v_pk_fma_f16 v96, v109, v99, v96 op_sel:[0,1,0]
	s_waitcnt lgkmcnt(7)
	v_pk_fma_f16 v90, v90, v100, v97 op_sel_hi:[1,0,1]
	v_pk_fma_f16 v91, v91, v100, v98 op_sel_hi:[1,0,1]
	s_waitcnt lgkmcnt(0)
	v_pk_fma_f16 v88, v88, v100, v108 op_sel_hi:[1,0,1]
	v_pk_fma_f16 v89, v89, v100, v96 op_sel_hi:[1,0,1]
	v_pk_fma_f16 v82, v82, v100, v90 op_sel:[0,1,0]
	v_pk_fma_f16 v83, v83, v100, v91 op_sel:[0,1,0]
	s_barrier
	v_pk_fma_f16 v80, v80, v100, v88 op_sel:[0,1,0]
	v_pk_fma_f16 v81, v81, v100, v89 op_sel:[0,1,0]
	v_pk_fma_f16 v82, v114, v101, v82 op_sel_hi:[1,0,1]
	v_pk_fma_f16 v83, v115, v101, v83 op_sel_hi:[1,0,1]
	buffer_gl0_inv
	v_pk_fma_f16 v80, v112, v101, v80 op_sel_hi:[1,0,1]
	v_pk_fma_f16 v81, v113, v101, v81 op_sel_hi:[1,0,1]
	s_load_b32 s11, s[4:5], 0x4
	v_pk_fma_f16 v47, v47, v101, v82 op_sel:[0,1,0]
	v_pk_fma_f16 v48, v48, v101, v83 op_sel:[0,1,0]
	;; [unrolled: 1-line block ×4, first 2 shown]
	s_delay_alu instid0(VALU_DEP_4) | instskip(NEXT) | instid1(VALU_DEP_4)
	v_pk_fma_f16 v47, v78, v102, v47 op_sel_hi:[1,0,1]
	v_pk_fma_f16 v48, v79, v102, v48 op_sel_hi:[1,0,1]
	s_delay_alu instid0(VALU_DEP_4) | instskip(NEXT) | instid1(VALU_DEP_4)
	v_pk_fma_f16 v45, v76, v102, v45 op_sel_hi:[1,0,1]
	v_pk_fma_f16 v46, v77, v102, v46 op_sel_hi:[1,0,1]
	s_delay_alu instid0(VALU_DEP_4) | instskip(NEXT) | instid1(VALU_DEP_4)
	v_pk_fma_f16 v47, v86, v102, v47 op_sel:[0,1,0]
	v_pk_fma_f16 v48, v87, v102, v48 op_sel:[0,1,0]
	s_delay_alu instid0(VALU_DEP_4) | instskip(NEXT) | instid1(VALU_DEP_4)
	v_pk_fma_f16 v45, v84, v102, v45 op_sel:[0,1,0]
	v_pk_fma_f16 v46, v85, v102, v46 op_sel:[0,1,0]
	s_delay_alu instid0(VALU_DEP_4) | instskip(NEXT) | instid1(VALU_DEP_4)
	v_pk_fma_f16 v47, v94, v103, v47 op_sel_hi:[1,0,1]
	v_pk_fma_f16 v48, v95, v103, v48 op_sel_hi:[1,0,1]
	s_delay_alu instid0(VALU_DEP_4) | instskip(NEXT) | instid1(VALU_DEP_4)
	v_pk_fma_f16 v45, v92, v103, v45 op_sel_hi:[1,0,1]
	v_pk_fma_f16 v76, v93, v103, v46 op_sel_hi:[1,0,1]
	s_waitcnt lgkmcnt(0)
	s_lshl_b32 s11, s11, 5
	v_pk_fma_f16 v47, v106, v103, v47 op_sel:[0,1,0]
	v_pk_fma_f16 v46, v107, v103, v48 op_sel:[0,1,0]
	;; [unrolled: 1-line block ×4, first 2 shown]
	s_add_i32 s18, s11, s18
	s_delay_alu instid0(SALU_CYCLE_1)
	s_cmp_lt_i32 s18, s7
	s_cbranch_scc0 .LBB52_13
; %bb.11:                               ;   in Loop: Header=BB52_8 Depth=1
	v_mov_b32_e32 v76, v5
	s_branch .LBB52_8
.LBB52_12:
	v_dual_mov_b32 v5, 0xfeffffff :: v_dual_mov_b32 v48, 0
	v_dual_mov_b32 v43, 0 :: v_dual_mov_b32 v46, 0
	v_mov_b32_e32 v47, 0
.LBB52_13:
	s_cmp_gt_i32 s42, s18
	s_cbranch_scc1 .LBB52_15
; %bb.14:
	v_mbcnt_lo_u32_b32 v9, -1, 0
	v_mov_b32_e32 v8, 32
	s_delay_alu instid0(VALU_DEP_2)
	v_xor_b32_e32 v13, 16, v9
	v_xor_b32_e32 v14, 8, v9
	;; [unrolled: 1-line block ×5, first 2 shown]
	s_cbranch_execz .LBB52_16
	s_branch .LBB52_21
.LBB52_15:
                                        ; implicit-def: $vgpr9
                                        ; implicit-def: $vgpr8
                                        ; implicit-def: $vgpr13
                                        ; implicit-def: $vgpr14
                                        ; implicit-def: $vgpr15
                                        ; implicit-def: $vgpr16
                                        ; implicit-def: $vgpr17
.LBB52_16:
	s_mul_hi_i32 s5, s18, s8
	s_mul_i32 s4, s18, s8
	v_lshlrev_b64 v[7:8], 2, v[6:7]
	s_lshl_b64 s[4:5], s[4:5], 2
	s_sub_i32 s19, s42, s18
	s_add_u32 s13, s6, s4
	s_addc_u32 s20, s9, s5
	s_mov_b32 s4, 0
	v_add_co_u32 v7, vcc_lo, s13, v7
	v_add_co_ci_u32_e32 v8, vcc_lo, s20, v8, vcc_lo
	v_cmp_gt_i32_e64 s7, s19, v50
	s_delay_alu instid0(VALU_DEP_3) | instskip(NEXT) | instid1(VALU_DEP_3)
	v_add_co_u32 v7, vcc_lo, v7, v49
	v_add_co_ci_u32_e32 v8, vcc_lo, 0, v8, vcc_lo
	s_mov_b32 s6, s4
	s_mov_b64 s[10:11], src_private_base
	s_mov_b32 s5, s4
	v_dual_mov_b32 v13, 0 :: v_dual_mov_b32 v20, s6
	v_dual_mov_b32 v19, s5 :: v_dual_mov_b32 v18, s4
	v_cndmask_b32_e64 v8, s11, v8, s7
	v_cndmask_b32_e64 v7, 0, v7, s7
	s_clause 0x1
	scratch_store_b32 off, v13, off
	scratch_store_b96 off, v[18:20], off offset:4
	s_lshl_b32 s21, s8, 2
	v_mad_u32_u24 v23, 0x210, v50, v49
	flat_load_b128 v[7:10], v[7:8]
	v_add_nc_u32_e32 v14, s21, v6
	s_clause 0x1
	scratch_store_b32 off, v13, off
	scratch_store_b96 off, v[18:20], off offset:4
	v_ashrrev_i32_e32 v15, 31, v14
	s_delay_alu instid0(VALU_DEP_1) | instskip(SKIP_1) | instid1(VALU_DEP_2)
	v_lshlrev_b64 v[11:12], 2, v[14:15]
	v_add_nc_u32_e32 v14, s21, v14
	v_add_co_u32 v6, vcc_lo, s13, v11
	s_delay_alu instid0(VALU_DEP_3) | instskip(SKIP_1) | instid1(VALU_DEP_3)
	v_add_co_ci_u32_e32 v12, vcc_lo, s20, v12, vcc_lo
	v_add_nc_u32_e32 v11, 4, v50
	v_add_co_u32 v6, vcc_lo, v6, v49
	s_delay_alu instid0(VALU_DEP_3) | instskip(NEXT) | instid1(VALU_DEP_3)
	v_add_co_ci_u32_e32 v12, vcc_lo, 0, v12, vcc_lo
	v_cmp_gt_i32_e64 s9, s19, v11
	v_add_nc_u32_e32 v21, s21, v14
	s_delay_alu instid0(VALU_DEP_2) | instskip(SKIP_2) | instid1(VALU_DEP_4)
	v_cndmask_b32_e64 v16, s11, v12, s9
	v_cndmask_b32_e64 v15, 0, v6, s9
	v_add_nc_u32_e32 v12, 8, v50
	v_ashrrev_i32_e32 v22, 31, v21
	s_delay_alu instid0(VALU_DEP_2)
	v_cmp_gt_i32_e64 s10, s19, v12
	s_waitcnt vmcnt(0) lgkmcnt(0)
	ds_store_b128 v23, v[7:10]
	flat_load_b128 v[6:9], v[15:16]
	v_ashrrev_i32_e32 v15, 31, v14
	s_clause 0x1
	scratch_store_b32 off, v13, off
	scratch_store_b96 off, v[18:20], off offset:4
	v_lshlrev_b64 v[15:16], 2, v[14:15]
	s_delay_alu instid0(VALU_DEP_1) | instskip(NEXT) | instid1(VALU_DEP_2)
	v_add_co_u32 v10, vcc_lo, s13, v15
	v_add_co_ci_u32_e32 v15, vcc_lo, s20, v16, vcc_lo
	s_delay_alu instid0(VALU_DEP_2) | instskip(NEXT) | instid1(VALU_DEP_2)
	v_add_co_u32 v10, vcc_lo, v10, v49
	v_add_co_ci_u32_e32 v15, vcc_lo, 0, v15, vcc_lo
	s_delay_alu instid0(VALU_DEP_1) | instskip(NEXT) | instid1(VALU_DEP_3)
	v_cndmask_b32_e64 v16, s11, v15, s10
	v_cndmask_b32_e64 v15, 0, v10, s10
	v_add_nc_u32_e32 v10, 12, v50
	s_delay_alu instid0(VALU_DEP_1)
	v_cmp_gt_i32_e64 s8, s19, v10
	s_waitcnt vmcnt(0) lgkmcnt(0)
	ds_store_b128 v23, v[6:9] offset:2112
	flat_load_b128 v[6:9], v[15:16]
	v_lshlrev_b64 v[14:15], 2, v[21:22]
	s_clause 0x1
	scratch_store_b32 off, v13, off
	scratch_store_b96 off, v[18:20], off offset:4
	v_add_co_u32 v14, vcc_lo, s13, v14
	v_add_co_ci_u32_e32 v15, vcc_lo, s20, v15, vcc_lo
	s_delay_alu instid0(VALU_DEP_2) | instskip(NEXT) | instid1(VALU_DEP_2)
	v_add_co_u32 v14, vcc_lo, v14, v49
	v_add_co_ci_u32_e32 v15, vcc_lo, 0, v15, vcc_lo
	s_delay_alu instid0(VALU_DEP_2) | instskip(NEXT) | instid1(VALU_DEP_2)
	v_cndmask_b32_e64 v14, 0, v14, s8
	v_cndmask_b32_e64 v15, s11, v15, s8
	s_waitcnt vmcnt(0) lgkmcnt(0)
	ds_store_b128 v23, v[6:9] offset:4224
	flat_load_b128 v[14:17], v[14:15]
	v_add_nc_u32_e32 v6, s21, v21
	v_add_nc_u32_e32 v9, 16, v50
	s_clause 0x1
	scratch_store_b32 off, v13, off
	scratch_store_b96 off, v[18:20], off offset:4
	v_ashrrev_i32_e32 v7, 31, v6
	v_cmp_gt_i32_e64 s6, s19, v9
	s_delay_alu instid0(VALU_DEP_2) | instskip(SKIP_1) | instid1(VALU_DEP_2)
	v_lshlrev_b64 v[7:8], 2, v[6:7]
	v_add_nc_u32_e32 v6, s21, v6
	v_add_co_u32 v7, vcc_lo, s13, v7
	s_delay_alu instid0(VALU_DEP_3) | instskip(NEXT) | instid1(VALU_DEP_2)
	v_add_co_ci_u32_e32 v8, vcc_lo, s20, v8, vcc_lo
	v_add_co_u32 v7, vcc_lo, v7, v49
	s_delay_alu instid0(VALU_DEP_2) | instskip(NEXT) | instid1(VALU_DEP_2)
	v_add_co_ci_u32_e32 v8, vcc_lo, 0, v8, vcc_lo
	v_cndmask_b32_e64 v7, 0, v7, s6
	s_delay_alu instid0(VALU_DEP_2)
	v_cndmask_b32_e64 v8, s11, v8, s6
	s_waitcnt vmcnt(0) lgkmcnt(0)
	ds_store_b128 v23, v[14:17] offset:6336
	flat_load_b128 v[14:17], v[7:8]
	v_ashrrev_i32_e32 v7, 31, v6
	s_clause 0x1
	scratch_store_b32 off, v13, off
	scratch_store_b96 off, v[18:20], off offset:4
	v_lshlrev_b64 v[7:8], 2, v[6:7]
	v_add_nc_u32_e32 v6, s21, v6
	s_delay_alu instid0(VALU_DEP_2) | instskip(NEXT) | instid1(VALU_DEP_3)
	v_add_co_u32 v7, vcc_lo, s13, v7
	v_add_co_ci_u32_e32 v21, vcc_lo, s20, v8, vcc_lo
	v_add_nc_u32_e32 v8, 20, v50
	s_delay_alu instid0(VALU_DEP_3) | instskip(NEXT) | instid1(VALU_DEP_3)
	v_add_co_u32 v7, vcc_lo, v7, v49
	v_add_co_ci_u32_e32 v21, vcc_lo, 0, v21, vcc_lo
	s_delay_alu instid0(VALU_DEP_3) | instskip(NEXT) | instid1(VALU_DEP_1)
	v_cmp_gt_i32_e64 s5, s19, v8
	v_cndmask_b32_e64 v22, s11, v21, s5
	s_delay_alu instid0(VALU_DEP_4)
	v_cndmask_b32_e64 v21, 0, v7, s5
	v_ashrrev_i32_e32 v7, 31, v6
	s_waitcnt vmcnt(0) lgkmcnt(0)
	ds_store_b128 v23, v[14:17] offset:8448
	flat_load_b128 v[14:17], v[21:22]
	v_lshlrev_b64 v[21:22], 2, v[6:7]
	v_add_nc_u32_e32 v7, 24, v50
	s_clause 0x1
	scratch_store_b32 off, v13, off
	scratch_store_b96 off, v[18:20], off offset:4
	v_add_co_u32 v21, vcc_lo, s13, v21
	v_add_co_ci_u32_e32 v22, vcc_lo, s20, v22, vcc_lo
	v_cmp_gt_i32_e64 s4, s19, v7
	s_delay_alu instid0(VALU_DEP_3) | instskip(NEXT) | instid1(VALU_DEP_3)
	v_add_co_u32 v21, vcc_lo, v21, v49
	v_add_co_ci_u32_e32 v22, vcc_lo, 0, v22, vcc_lo
	s_delay_alu instid0(VALU_DEP_2) | instskip(NEXT) | instid1(VALU_DEP_2)
	v_cndmask_b32_e64 v21, 0, v21, s4
	v_cndmask_b32_e64 v22, s11, v22, s4
	s_waitcnt vmcnt(0) lgkmcnt(0)
	ds_store_b128 v23, v[14:17] offset:10560
	flat_load_b128 v[14:17], v[21:22]
	v_add_nc_u32_e32 v21, s21, v6
	v_add_nc_u32_e32 v6, 28, v50
	s_clause 0x1
	scratch_store_b32 off, v13, off
	scratch_store_b96 off, v[18:20], off offset:4
	v_mov_b32_e32 v19, 0
	v_ashrrev_i32_e32 v22, 31, v21
	s_delay_alu instid0(VALU_DEP_1) | instskip(NEXT) | instid1(VALU_DEP_1)
	v_lshlrev_b64 v[21:22], 2, v[21:22]
	v_add_co_u32 v21, vcc_lo, s13, v21
	s_delay_alu instid0(VALU_DEP_2) | instskip(SKIP_1) | instid1(VALU_DEP_2)
	v_add_co_ci_u32_e32 v22, vcc_lo, s20, v22, vcc_lo
	s_mov_b32 s13, exec_lo
	v_add_co_u32 v21, vcc_lo, v21, v49
	s_delay_alu instid0(VALU_DEP_2) | instskip(SKIP_1) | instid1(VALU_DEP_2)
	v_add_co_ci_u32_e32 v22, vcc_lo, 0, v22, vcc_lo
	v_cmp_gt_i32_e32 vcc_lo, s19, v6
	v_cndmask_b32_e32 v22, s11, v22, vcc_lo
	s_delay_alu instid0(VALU_DEP_4)
	v_cndmask_b32_e32 v21, 0, v21, vcc_lo
	s_waitcnt vmcnt(0) lgkmcnt(0)
	ds_store_b128 v23, v[14:17] offset:12672
	flat_load_b128 v[14:17], v[21:22]
	s_waitcnt vmcnt(0) lgkmcnt(0)
	ds_store_b128 v23, v[14:17] offset:14784
	s_waitcnt lgkmcnt(0)
	s_waitcnt_vscnt null, 0x0
	s_barrier
	buffer_gl0_inv
	ds_load_b128 v[14:17], v55
	ds_load_b128 v[20:23], v52 offset:16896
	s_waitcnt lgkmcnt(0)
	;;#ASMSTART
	v_dot2_f32_f16 v19, v14, v20, v19
	;;#ASMEND
	;;#ASMSTART
	v_dot2_f32_f16 v19, v15, v21, v19
	;;#ASMEND
	;;#ASMSTART
	v_dot2_f32_f16 v19, v16, v22, v19
	;;#ASMEND
	;;#ASMSTART
	v_dot2_f32_f16 v19, v17, v23, v19
	;;#ASMEND
	ds_load_b128 v[14:17], v55 offset:16
	ds_load_b128 v[20:23], v52 offset:16912
	s_waitcnt lgkmcnt(0)
	;;#ASMSTART
	v_dot2_f32_f16 v19, v14, v20, v19
	;;#ASMEND
	;;#ASMSTART
	v_dot2_f32_f16 v19, v15, v21, v19
	;;#ASMEND
	;;#ASMSTART
	v_dot2_f32_f16 v19, v16, v22, v19
	;;#ASMEND
	;;#ASMSTART
	v_dot2_f32_f16 v19, v17, v23, v19
	;;#ASMEND
	ds_load_b128 v[14:17], v55 offset:32
	;; [unrolled: 15-line block ×30, first 2 shown]
	ds_load_b128 v[20:23], v52 offset:17376
	s_waitcnt lgkmcnt(0)
	;;#ASMSTART
	v_dot2_f32_f16 v19, v14, v20, v19
	;;#ASMEND
	;;#ASMSTART
	v_dot2_f32_f16 v19, v15, v21, v19
	;;#ASMEND
	v_mov_b32_e32 v15, v5
	;;#ASMSTART
	v_dot2_f32_f16 v19, v16, v22, v19
	;;#ASMEND
	;;#ASMSTART
	v_dot2_f32_f16 v19, v17, v23, v19
	;;#ASMEND
	ds_load_b128 v[20:23], v55 offset:496
	ds_load_b128 v[24:27], v52 offset:17392
	s_waitcnt lgkmcnt(0)
	;;#ASMSTART
	v_dot2_f32_f16 v19, v20, v24, v19
	;;#ASMEND
	;;#ASMSTART
	v_dot2_f32_f16 v19, v21, v25, v19
	;;#ASMEND
	;; [unrolled: 3-line block ×4, first 2 shown]
	v_cmpx_gt_i32_e64 s19, v1
	s_cbranch_execz .LBB52_20
; %bb.17:
	s_cmp_eq_u64 s[40:41], 0
	s_cbranch_scc1 .LBB52_19
; %bb.18:
	v_mul_lo_u32 v13, v54, s12
	s_delay_alu instid0(VALU_DEP_1) | instskip(NEXT) | instid1(VALU_DEP_1)
	v_add3_u32 v13, v13, v1, s18
	v_ashrrev_i32_e32 v14, 31, v13
	s_delay_alu instid0(VALU_DEP_1) | instskip(NEXT) | instid1(VALU_DEP_1)
	v_lshlrev_b64 v[13:14], 1, v[13:14]
	v_add_co_u32 v13, s11, s40, v13
	s_delay_alu instid0(VALU_DEP_1) | instskip(SKIP_3) | instid1(VALU_DEP_1)
	v_add_co_ci_u32_e64 v14, s11, s41, v14, s11
	flat_load_u16 v13, v[13:14]
	s_waitcnt vmcnt(0) lgkmcnt(0)
	v_cvt_f32_f16_e32 v13, v13
	v_mul_f32_e32 v13, v53, v13
.LBB52_19:
	s_delay_alu instid0(VALU_DEP_1) | instskip(NEXT) | instid1(VALU_DEP_1)
	v_add_f32_e32 v19, v19, v13
	v_dual_max_f32 v14, v5, v5 :: v_dual_add_f32 v13, 0x40051340, v19
	s_delay_alu instid0(VALU_DEP_1)
	v_max_f32_e32 v15, v14, v13
.LBB52_20:
	s_or_b32 exec_lo, exec_lo, s13
	v_xor_b32_e32 v13, 16, v42
	s_load_b64 s[12:13], s[0:1], 0x4
	s_mov_b64 s[0:1], src_shared_base
	s_mul_hi_i32 s21, s18, s15
	s_mul_i32 s20, s18, s15
	v_cmp_gt_i32_e64 s11, 32, v13
	s_lshl_b64 s[20:21], s[20:21], 2
	v_bfe_u32 v0, v0, 20, 10
	s_waitcnt lgkmcnt(0)
	s_barrier
	v_cndmask_b32_e64 v14, v42, v13, s11
	buffer_gl0_inv
	v_add_nc_u32_e32 v30, v52, v49
	v_lshl_add_u32 v11, v11, 9, v49
	v_lshl_add_u32 v8, v8, 9, v49
	v_lshlrev_b32_e32 v14, 2, v14
	v_lshl_add_u32 v7, v7, 9, v49
	v_add_nc_u32_e32 v58, 0x2000, v44
	v_add_nc_u32_e32 v60, 0x2800, v44
	;; [unrolled: 1-line block ×3, first 2 shown]
	ds_bpermute_b32 v16, v14, v15
	v_max_f32_e32 v15, v15, v15
	v_xor_b32_e32 v14, 8, v42
	s_lshr_b32 s0, s12, 16
	v_add_nc_u32_e32 v62, 0x3800, v44
	s_mul_i32 s0, s0, s13
	v_add_nc_u32_e32 v40, 0x800, v44
	v_cmp_gt_i32_e64 s11, 32, v14
	v_add_nc_u32_e32 v57, 0x1800, v44
	s_delay_alu instid0(VALU_DEP_2) | instskip(SKIP_1) | instid1(VALU_DEP_1)
	v_cndmask_b32_e64 v17, v42, v14, s11
	s_waitcnt lgkmcnt(0)
	v_dual_max_f32 v16, v16, v16 :: v_dual_lshlrev_b32 v17, 2, v17
	s_delay_alu instid0(VALU_DEP_1) | instskip(SKIP_3) | instid1(VALU_DEP_1)
	v_max_f32_e32 v16, v15, v16
	v_xor_b32_e32 v15, 4, v42
	ds_bpermute_b32 v17, v17, v16
	v_cmp_gt_i32_e64 s11, 32, v15
	v_cndmask_b32_e64 v18, v42, v15, s11
	s_waitcnt lgkmcnt(0)
	s_delay_alu instid0(VALU_DEP_1) | instskip(NEXT) | instid1(VALU_DEP_1)
	v_dual_max_f32 v17, v17, v17 :: v_dual_lshlrev_b32 v18, 2, v18
	v_max_f32_e32 v17, v16, v17
	v_xor_b32_e32 v16, 2, v42
	ds_bpermute_b32 v18, v18, v17
	v_cmp_gt_i32_e64 s11, 32, v16
	s_delay_alu instid0(VALU_DEP_1) | instskip(NEXT) | instid1(VALU_DEP_1)
	v_cndmask_b32_e64 v20, v42, v16, s11
	v_lshlrev_b32_e32 v20, 2, v20
	s_waitcnt lgkmcnt(0)
	v_max_f32_e32 v18, v18, v18
	s_delay_alu instid0(VALU_DEP_1) | instskip(SKIP_3) | instid1(VALU_DEP_1)
	v_max_f32_e32 v18, v17, v18
	v_xor_b32_e32 v17, 1, v42
	ds_bpermute_b32 v20, v20, v18
	v_cmp_gt_i32_e64 s11, 32, v17
	v_cndmask_b32_e64 v21, v42, v17, s11
	s_add_u32 s11, s17, s20
	s_addc_u32 s12, s16, s21
	s_waitcnt lgkmcnt(0)
	s_delay_alu instid0(VALU_DEP_1) | instskip(NEXT) | instid1(VALU_DEP_1)
	v_dual_max_f32 v20, v20, v20 :: v_dual_lshlrev_b32 v21, 2, v21
	v_max_f32_e32 v18, v18, v20
	ds_bpermute_b32 v20, v21, v18
	s_waitcnt lgkmcnt(0)
	v_max_f32_e32 v20, v20, v20
	s_delay_alu instid0(VALU_DEP_1) | instskip(NEXT) | instid1(VALU_DEP_1)
	v_max_f32_e32 v18, v18, v20
	v_sub_f32_e32 v22, v19, v18
	s_delay_alu instid0(VALU_DEP_1) | instskip(NEXT) | instid1(VALU_DEP_1)
	v_mul_f32_e32 v19, 0x3fb8aa3b, v22
	v_fma_f32 v20, 0x3fb8aa3b, v22, -v19
	v_rndne_f32_e32 v23, v19
	s_delay_alu instid0(VALU_DEP_1) | instskip(NEXT) | instid1(VALU_DEP_1)
	v_dual_fmac_f32 v20, 0x32a5705f, v22 :: v_dual_sub_f32 v19, v19, v23
	v_dual_add_f32 v20, v19, v20 :: v_dual_lshlrev_b32 v19, 6, v50
	s_delay_alu instid0(VALU_DEP_1) | instskip(SKIP_3) | instid1(VALU_DEP_1)
	v_exp_f32_e32 v24, v20
	v_lshlrev_b64 v[20:21], 2, v[3:4]
	v_cvt_i32_f32_e32 v4, v23
	v_mul_u32_u24_e32 v23, s13, v50
	v_mad_u32_u24 v23, s0, v1, v23
	v_cmp_ngt_f32_e64 s0, 0xc2ce8ed0, v22
	s_waitcnt_depctr 0xfff
	v_ldexp_f32 v4, v24, v4
	v_add_lshl_u32 v27, v23, v0, 4
	s_delay_alu instid0(VALU_DEP_2) | instskip(SKIP_1) | instid1(VALU_DEP_1)
	v_cndmask_b32_e64 v4, 0, v4, s0
	v_add_co_u32 v20, s0, s11, v20
	v_add_co_ci_u32_e64 v21, s0, s12, v21, s0
	v_cmp_nlt_f32_e64 s0, 0x42b17218, v22
	v_add_nc_u32_e32 v28, 0x4b00, v27
	v_add_nc_u32_e32 v29, 0x4b04, v27
	v_add3_u32 v22, 0x4a00, v19, v51
	s_delay_alu instid0(VALU_DEP_4) | instskip(SKIP_1) | instid1(VALU_DEP_1)
	v_cndmask_b32_e64 v0, 0x7f800000, v4, s0
	v_add_co_u32 v4, s0, v20, v49
	v_add_co_ci_u32_e64 v20, s0, 0, v21, s0
	v_cmp_gt_u32_e64 s0, s19, v1
	s_delay_alu instid0(VALU_DEP_2) | instskip(NEXT) | instid1(VALU_DEP_4)
	v_cndmask_b32_e64 v21, s1, v20, s7
	v_cndmask_b32_e64 v20, v28, v4, s7
	s_delay_alu instid0(VALU_DEP_3) | instskip(SKIP_1) | instid1(SALU_CYCLE_1)
	v_cndmask_b32_e64 v0, 0, v0, s0
	s_lshl_b32 s7, s15, 2
	v_dual_mov_b32 v26, 0 :: v_dual_add_nc_u32 v3, s7, v3
	s_delay_alu instid0(VALU_DEP_2)
	v_cvt_f16_f32_e32 v23, v0
	ds_store_b32 v27, v26 offset:19200
	ds_store_b32 v27, v26 offset:19212
	ds_store_2addr_b32 v29, v26, v26 offset1:1
	ds_store_b16 v22, v23
	flat_load_b128 v[20:23], v[20:21]
	v_ashrrev_i32_e32 v4, 31, v3
	ds_store_b32 v27, v26 offset:19200
	ds_store_2addr_b32 v29, v26, v26 offset1:1
	ds_store_b32 v27, v26 offset:19212
	s_waitcnt vmcnt(0) lgkmcnt(3)
	ds_store_b128 v30, v[20:23]
	v_lshlrev_b64 v[24:25], 2, v[3:4]
	v_add_nc_u32_e32 v3, s7, v3
	s_delay_alu instid0(VALU_DEP_2) | instskip(NEXT) | instid1(VALU_DEP_1)
	v_add_co_u32 v4, s0, s11, v24
	v_add_co_ci_u32_e64 v24, s0, s12, v25, s0
	s_delay_alu instid0(VALU_DEP_2) | instskip(NEXT) | instid1(VALU_DEP_1)
	v_add_co_u32 v4, s0, v4, v49
	v_add_co_ci_u32_e64 v24, s0, 0, v24, s0
	s_delay_alu instid0(VALU_DEP_1) | instskip(NEXT) | instid1(VALU_DEP_3)
	v_cndmask_b32_e64 v25, s1, v24, s9
	v_cndmask_b32_e64 v24, v28, v4, s9
	v_ashrrev_i32_e32 v4, 31, v3
	flat_load_b128 v[20:23], v[24:25]
	v_lshlrev_b64 v[24:25], 2, v[3:4]
	ds_store_b32 v27, v26 offset:19200
	ds_store_2addr_b32 v29, v26, v26 offset1:1
	ds_store_b32 v27, v26 offset:19212
	s_waitcnt vmcnt(0) lgkmcnt(3)
	ds_store_b128 v11, v[20:23]
	v_add_co_u32 v4, s0, s11, v24
	s_delay_alu instid0(VALU_DEP_1) | instskip(SKIP_1) | instid1(VALU_DEP_3)
	v_add_co_ci_u32_e64 v24, s0, s12, v25, s0
	v_add_nc_u32_e32 v3, s7, v3
	v_add_co_u32 v4, s0, v4, v49
	s_delay_alu instid0(VALU_DEP_1) | instskip(NEXT) | instid1(VALU_DEP_1)
	v_add_co_ci_u32_e64 v24, s0, 0, v24, s0
	v_cndmask_b32_e64 v25, s1, v24, s10
	s_delay_alu instid0(VALU_DEP_3) | instskip(SKIP_4) | instid1(VALU_DEP_2)
	v_cndmask_b32_e64 v24, v28, v4, s10
	v_ashrrev_i32_e32 v4, 31, v3
	flat_load_b128 v[20:23], v[24:25]
	v_lshlrev_b64 v[24:25], 2, v[3:4]
	v_add_nc_u32_e32 v3, s7, v3
	v_add_co_u32 v4, s0, s11, v24
	s_delay_alu instid0(VALU_DEP_1) | instskip(SKIP_1) | instid1(VALU_DEP_3)
	v_add_co_ci_u32_e64 v11, s0, s12, v25, s0
	v_lshl_add_u32 v24, v12, 9, v49
	v_add_co_u32 v4, s0, v4, v49
	s_delay_alu instid0(VALU_DEP_1)
	v_add_co_ci_u32_e64 v11, s0, 0, v11, s0
	ds_store_b32 v27, v26 offset:19200
	ds_store_2addr_b32 v29, v26, v26 offset1:1
	ds_store_b32 v27, v26 offset:19212
	s_waitcnt vmcnt(0) lgkmcnt(3)
	ds_store_b128 v24, v[20:23]
	v_cndmask_b32_e64 v12, s1, v11, s8
	v_cndmask_b32_e64 v11, v28, v4, s8
	v_ashrrev_i32_e32 v4, 31, v3
	flat_load_b128 v[20:23], v[11:12]
	v_lshlrev_b64 v[11:12], 2, v[3:4]
	v_add_nc_u32_e32 v3, s7, v3
	s_delay_alu instid0(VALU_DEP_2) | instskip(NEXT) | instid1(VALU_DEP_1)
	v_add_co_u32 v4, s0, s11, v11
	v_add_co_ci_u32_e64 v11, s0, s12, v12, s0
	v_lshl_add_u32 v12, v10, 9, v49
	s_delay_alu instid0(VALU_DEP_3) | instskip(NEXT) | instid1(VALU_DEP_1)
	v_add_co_u32 v4, s0, v4, v49
	v_add_co_ci_u32_e64 v11, s0, 0, v11, s0
	ds_store_b32 v27, v26 offset:19200
	ds_store_2addr_b32 v29, v26, v26 offset1:1
	ds_store_b32 v27, v26 offset:19212
	s_waitcnt vmcnt(0) lgkmcnt(3)
	ds_store_b128 v12, v[20:23]
	v_cndmask_b32_e64 v11, s1, v11, s6
	v_cndmask_b32_e64 v10, v28, v4, s6
	v_ashrrev_i32_e32 v4, 31, v3
	flat_load_b128 v[20:23], v[10:11]
	v_lshlrev_b64 v[10:11], 2, v[3:4]
	v_add_nc_u32_e32 v3, s7, v3
	s_delay_alu instid0(VALU_DEP_2) | instskip(NEXT) | instid1(VALU_DEP_1)
	v_add_co_u32 v4, s0, s11, v10
	v_add_co_ci_u32_e64 v10, s0, s12, v11, s0
	v_lshl_add_u32 v11, v9, 9, v49
	s_delay_alu instid0(VALU_DEP_3) | instskip(NEXT) | instid1(VALU_DEP_1)
	v_add_co_u32 v4, s0, v4, v49
	v_add_co_ci_u32_e64 v10, s0, 0, v10, s0
	ds_store_b32 v27, v26 offset:19200
	ds_store_2addr_b32 v29, v26, v26 offset1:1
	ds_store_b32 v27, v26 offset:19212
	s_waitcnt vmcnt(0) lgkmcnt(3)
	ds_store_b128 v11, v[20:23]
	v_cndmask_b32_e64 v10, s1, v10, s5
	v_cndmask_b32_e64 v9, v28, v4, s5
	v_ashrrev_i32_e32 v4, 31, v3
	flat_load_b128 v[9:12], v[9:10]
	v_lshlrev_b64 v[20:21], 2, v[3:4]
	ds_store_b32 v27, v26 offset:19200
	ds_store_2addr_b32 v29, v26, v26 offset1:1
	ds_store_b32 v27, v26 offset:19212
	s_waitcnt vmcnt(0) lgkmcnt(3)
	ds_store_b128 v8, v[9:12]
	v_add_co_u32 v4, s0, s11, v20
	s_delay_alu instid0(VALU_DEP_1) | instskip(SKIP_1) | instid1(VALU_DEP_3)
	v_add_co_ci_u32_e64 v20, s0, s12, v21, s0
	v_add_nc_u32_e32 v3, s7, v3
	v_add_co_u32 v4, s0, v4, v49
	s_delay_alu instid0(VALU_DEP_1) | instskip(NEXT) | instid1(VALU_DEP_1)
	v_add_co_ci_u32_e64 v20, s0, 0, v20, s0
	v_cndmask_b32_e64 v21, s1, v20, s4
	s_delay_alu instid0(VALU_DEP_3)
	v_cndmask_b32_e64 v20, v28, v4, s4
	v_ashrrev_i32_e32 v4, 31, v3
	flat_load_b128 v[8:11], v[20:21]
	v_lshlrev_b64 v[3:4], 2, v[3:4]
	ds_store_b32 v27, v26 offset:19200
	ds_store_2addr_b32 v29, v26, v26 offset1:1
	ds_store_b32 v27, v26 offset:19212
	s_waitcnt vmcnt(0) lgkmcnt(3)
	ds_store_b128 v7, v[8:11]
	v_add_co_u32 v3, s0, s11, v3
	s_delay_alu instid0(VALU_DEP_1) | instskip(SKIP_1) | instid1(VALU_DEP_3)
	v_add_co_ci_u32_e64 v4, s0, s12, v4, s0
	v_sub_f32_e32 v11, v5, v18
	v_add_co_u32 v3, s0, v3, v49
	s_delay_alu instid0(VALU_DEP_1) | instskip(NEXT) | instid1(VALU_DEP_2)
	v_add_co_ci_u32_e64 v4, s0, 0, v4, s0
	v_cndmask_b32_e32 v3, v28, v3, vcc_lo
	s_delay_alu instid0(VALU_DEP_2) | instskip(SKIP_3) | instid1(VALU_DEP_1)
	v_cndmask_b32_e32 v4, s1, v4, vcc_lo
	v_cmp_ngt_f32_e32 vcc_lo, 0xc2ce8ed0, v11
	flat_load_b128 v[7:10], v[3:4]
	v_mul_f32_e32 v3, 0x3fb8aa3b, v11
	v_fma_f32 v4, 0x3fb8aa3b, v11, -v3
	v_rndne_f32_e32 v5, v3
	s_delay_alu instid0(VALU_DEP_1) | instskip(NEXT) | instid1(VALU_DEP_1)
	v_dual_fmac_f32 v4, 0x32a5705f, v11 :: v_dual_sub_f32 v3, v3, v5
	v_add_f32_e32 v3, v3, v4
	v_cvt_i32_f32_e32 v4, v5
	s_delay_alu instid0(VALU_DEP_2) | instskip(SKIP_3) | instid1(VALU_DEP_2)
	v_exp_f32_e32 v3, v3
	s_waitcnt_depctr 0xfff
	v_ldexp_f32 v3, v3, v4
	v_lshl_add_u32 v4, v6, 9, v49
	v_cndmask_b32_e32 v12, 0, v3, vcc_lo
	v_cmp_nlt_f32_e32 vcc_lo, 0x42b17218, v11
	s_delay_alu instid0(VALU_DEP_2) | instskip(SKIP_1) | instid1(VALU_DEP_2)
	v_cndmask_b32_e32 v11, 0x7f800000, v12, vcc_lo
	v_add_nc_u32_e32 v12, 0x1000, v44
	v_cvt_f16_f32_e32 v59, v11
	v_fma_f32 v43, v43, v11, v0
	s_delay_alu instid0(VALU_DEP_2)
	v_pk_mul_f16 v47, v59, v47 op_sel_hi:[0,1]
	v_pk_mul_f16 v46, v59, v46 op_sel_hi:[0,1]
	s_waitcnt vmcnt(0) lgkmcnt(0)
	ds_store_b128 v4, v[7:10]
	s_waitcnt lgkmcnt(0)
	s_barrier
	buffer_gl0_inv
	ds_load_2addr_b64 v[3:6], v44 offset1:32
	ds_load_b128 v[7:10], v19 offset:18944
	ds_load_2addr_b64 v[20:23], v44 offset0:64 offset1:96
	ds_load_2addr_b64 v[24:27], v44 offset0:128 offset1:160
	ds_load_b128 v[28:31], v19 offset:18960
	ds_load_2addr_b64 v[32:35], v44 offset0:192 offset1:224
	ds_load_b128 v[36:39], v19 offset:18976
	ds_load_b128 v[49:52], v19 offset:18992
	ds_load_2addr_b64 v[53:56], v40 offset1:32
	s_waitcnt lgkmcnt(7)
	v_pk_mul_f16 v3, v3, v7 op_sel_hi:[1,0]
	v_pk_mul_f16 v4, v4, v7 op_sel_hi:[1,0]
	v_pk_fma_f16 v19, v5, v7, v47 op_sel_hi:[1,0,1]
	v_pk_fma_f16 v44, v6, v7, v46 op_sel_hi:[1,0,1]
	s_delay_alu instid0(VALU_DEP_4) | instskip(NEXT) | instid1(VALU_DEP_4)
	v_pk_fma_f16 v45, v45, v59, v3 op_sel_hi:[1,0,1]
	v_pk_fma_f16 v46, v48, v59, v4 op_sel_hi:[1,0,1]
	ds_load_2addr_b64 v[3:6], v40 offset0:64 offset1:96
	s_waitcnt lgkmcnt(7)
	v_pk_fma_f16 v47, v22, v7, v19 op_sel:[0,1,0]
	v_pk_fma_f16 v23, v23, v7, v44 op_sel:[0,1,0]
	v_pk_fma_f16 v44, v20, v7, v45 op_sel:[0,1,0]
	v_pk_fma_f16 v7, v21, v7, v46 op_sel:[0,1,0]
	ds_load_2addr_b64 v[19:22], v40 offset0:128 offset1:160
	s_waitcnt lgkmcnt(7)
	v_pk_fma_f16 v45, v26, v8, v47 op_sel_hi:[1,0,1]
	v_pk_fma_f16 v27, v27, v8, v23 op_sel_hi:[1,0,1]
	v_pk_fma_f16 v44, v24, v8, v44 op_sel_hi:[1,0,1]
	v_pk_fma_f16 v7, v25, v8, v7 op_sel_hi:[1,0,1]
	ds_load_2addr_b64 v[23:26], v40 offset0:192 offset1:224
	s_waitcnt lgkmcnt(6)
	v_pk_fma_f16 v40, v34, v8, v45 op_sel:[0,1,0]
	v_pk_fma_f16 v27, v35, v8, v27 op_sel:[0,1,0]
	v_pk_fma_f16 v44, v32, v8, v44 op_sel:[0,1,0]
	v_pk_fma_f16 v7, v33, v8, v7 op_sel:[0,1,0]
	ds_load_2addr_b64 v[32:35], v12 offset1:32
	s_waitcnt lgkmcnt(4)
	v_pk_fma_f16 v8, v55, v9, v40 op_sel_hi:[1,0,1]
	v_pk_fma_f16 v27, v56, v9, v27 op_sel_hi:[1,0,1]
	v_pk_fma_f16 v40, v53, v9, v44 op_sel_hi:[1,0,1]
	v_pk_fma_f16 v7, v54, v9, v7 op_sel_hi:[1,0,1]
	ds_load_2addr_b64 v[44:47], v12 offset0:64 offset1:96
	s_waitcnt lgkmcnt(4)
	v_pk_fma_f16 v8, v5, v9, v8 op_sel:[0,1,0]
	v_pk_fma_f16 v27, v6, v9, v27 op_sel:[0,1,0]
	v_pk_fma_f16 v40, v3, v9, v40 op_sel:[0,1,0]
	v_pk_fma_f16 v7, v4, v9, v7 op_sel:[0,1,0]
	ds_load_2addr_b64 v[3:6], v12 offset0:128 offset1:160
	s_waitcnt lgkmcnt(4)
	v_pk_fma_f16 v8, v21, v10, v8 op_sel_hi:[1,0,1]
	v_pk_fma_f16 v9, v22, v10, v27 op_sel_hi:[1,0,1]
	v_pk_fma_f16 v27, v19, v10, v40 op_sel_hi:[1,0,1]
	v_pk_fma_f16 v7, v20, v10, v7 op_sel_hi:[1,0,1]
	ds_load_2addr_b64 v[19:22], v12 offset0:192 offset1:224
	s_waitcnt lgkmcnt(4)
	v_pk_fma_f16 v12, v25, v10, v8 op_sel:[0,1,0]
	v_pk_fma_f16 v25, v26, v10, v9 op_sel:[0,1,0]
	v_pk_fma_f16 v23, v23, v10, v27 op_sel:[0,1,0]
	v_pk_fma_f16 v24, v24, v10, v7 op_sel:[0,1,0]
	ds_load_2addr_b64 v[7:10], v57 offset1:32
	s_waitcnt lgkmcnt(4)
	v_pk_fma_f16 v12, v34, v28, v12 op_sel_hi:[1,0,1]
	v_pk_fma_f16 v27, v35, v28, v25 op_sel_hi:[1,0,1]
	;; [unrolled: 24-line block ×6, first 2 shown]
	v_pk_fma_f16 v32, v27, v49, v32 op_sel_hi:[1,0,1]
	v_pk_fma_f16 v31, v28, v49, v31 op_sel_hi:[1,0,1]
	ds_load_2addr_b64 v[27:30], v62 offset0:64 offset1:96
	s_waitcnt lgkmcnt(4)
	v_pk_fma_f16 v5, v5, v49, v12 op_sel:[0,1,0]
	v_pk_fma_f16 v6, v6, v49, v33 op_sel:[0,1,0]
	;; [unrolled: 1-line block ×4, first 2 shown]
	ds_load_2addr_b64 v[31:34], v62 offset0:128 offset1:160
	s_waitcnt lgkmcnt(4)
	v_pk_fma_f16 v5, v21, v50, v5 op_sel_hi:[1,0,1]
	v_pk_fma_f16 v6, v22, v50, v6 op_sel_hi:[1,0,1]
	;; [unrolled: 1-line block ×4, first 2 shown]
	ds_load_2addr_b64 v[19:22], v62 offset0:192 offset1:224
	s_waitcnt lgkmcnt(4)
	v_pk_fma_f16 v5, v9, v50, v5 op_sel:[0,1,0]
	v_mov_b32_e32 v9, v42
	v_pk_fma_f16 v6, v10, v50, v6 op_sel:[0,1,0]
	v_pk_fma_f16 v3, v7, v50, v3 op_sel:[0,1,0]
	;; [unrolled: 1-line block ×3, first 2 shown]
	s_waitcnt lgkmcnt(3)
	v_pk_fma_f16 v5, v25, v51, v5 op_sel_hi:[1,0,1]
	v_mov_b32_e32 v8, 32
	v_pk_fma_f16 v6, v26, v51, v6 op_sel_hi:[1,0,1]
	v_pk_fma_f16 v3, v23, v51, v3 op_sel_hi:[1,0,1]
	;; [unrolled: 1-line block ×3, first 2 shown]
	s_waitcnt lgkmcnt(2)
	v_pk_fma_f16 v7, v29, v51, v5 op_sel:[0,1,0]
	v_mov_b32_e32 v5, v18
	v_pk_fma_f16 v6, v30, v51, v6 op_sel:[0,1,0]
	v_pk_fma_f16 v3, v27, v51, v3 op_sel:[0,1,0]
	;; [unrolled: 1-line block ×3, first 2 shown]
	s_waitcnt lgkmcnt(1)
	v_pk_fma_f16 v7, v33, v52, v7 op_sel_hi:[1,0,1]
	s_waitcnt lgkmcnt(0)
	v_pk_fma_f16 v6, v34, v52, v6 op_sel_hi:[1,0,1]
	v_pk_fma_f16 v3, v31, v52, v3 op_sel_hi:[1,0,1]
	;; [unrolled: 1-line block ×3, first 2 shown]
	v_pk_fma_f16 v47, v21, v52, v7 op_sel:[0,1,0]
	s_barrier
	v_pk_fma_f16 v46, v22, v52, v6 op_sel:[0,1,0]
	v_pk_fma_f16 v45, v19, v52, v3 op_sel:[0,1,0]
	;; [unrolled: 1-line block ×3, first 2 shown]
	buffer_gl0_inv
.LBB52_21:
	v_cmp_lt_i32_e32 vcc_lo, v13, v8
	s_cmp_eq_u64 s[24:25], 0
	s_cselect_b32 s0, -1, 0
	s_cmp_lg_u32 s14, 0
	v_cndmask_b32_e32 v0, v9, v13, vcc_lo
	v_cmp_lt_i32_e32 vcc_lo, v14, v8
	s_cselect_b32 s1, -1, 0
	s_delay_alu instid0(SALU_CYCLE_1) | instskip(SKIP_2) | instid1(VALU_DEP_2)
	s_or_b32 s0, s1, s0
	v_cndmask_b32_e32 v3, v9, v14, vcc_lo
	v_cmp_lt_i32_e32 vcc_lo, v15, v8
	v_lshlrev_b32_e32 v3, 2, v3
	v_lshlrev_b32_e32 v0, 2, v0
	v_cndmask_b32_e32 v4, v9, v15, vcc_lo
	v_cmp_lt_i32_e32 vcc_lo, v16, v8
	ds_bpermute_b32 v0, v0, v43
	v_lshlrev_b32_e32 v4, 2, v4
	s_waitcnt lgkmcnt(0)
	v_add_f32_e32 v0, v43, v0
	ds_bpermute_b32 v3, v3, v0
	s_waitcnt lgkmcnt(0)
	v_add_f32_e32 v0, v0, v3
	ds_bpermute_b32 v3, v4, v0
	v_cndmask_b32_e32 v4, v9, v16, vcc_lo
	v_cmp_lt_i32_e32 vcc_lo, v17, v8
	s_delay_alu instid0(VALU_DEP_2)
	v_lshlrev_b32_e32 v4, 2, v4
	s_waitcnt lgkmcnt(0)
	v_add_f32_e32 v0, v0, v3
	ds_bpermute_b32 v3, v4, v0
	v_cndmask_b32_e32 v4, v9, v17, vcc_lo
	s_and_b32 vcc_lo, exec_lo, s0
	s_delay_alu instid0(VALU_DEP_1)
	v_lshlrev_b32_e32 v4, 2, v4
	s_waitcnt lgkmcnt(0)
	v_add_f32_e32 v0, v0, v3
	ds_bpermute_b32 v3, v4, v0
	s_waitcnt lgkmcnt(0)
	v_add_f32_e32 v6, v0, v3
	s_cbranch_vccnz .LBB52_23
; %bb.22:
	s_lshl_b64 s[0:1], s[34:35], 2
	v_dual_mov_b32 v0, 0 :: v_dual_max_f32 v3, v5, v5
	s_add_u32 s0, s24, s0
	s_addc_u32 s1, s25, s1
	global_load_b32 v0, v0, s[0:1]
	s_waitcnt vmcnt(0)
	v_max_f32_e32 v4, v0, v0
	s_delay_alu instid0(VALU_DEP_1) | instskip(NEXT) | instid1(VALU_DEP_1)
	v_max_f32_e32 v3, v3, v4
	v_sub_f32_e32 v0, v0, v3
	s_delay_alu instid0(VALU_DEP_1) | instskip(NEXT) | instid1(VALU_DEP_1)
	v_dual_sub_f32 v4, v5, v3 :: v_dual_mul_f32 v7, 0x3fb8aa3b, v0
	v_mul_f32_e32 v5, 0x3fb8aa3b, v4
	v_cmp_ngt_f32_e32 vcc_lo, 0xc2ce8ed0, v4
	s_delay_alu instid0(VALU_DEP_3) | instskip(NEXT) | instid1(VALU_DEP_3)
	v_rndne_f32_e32 v11, v7
	v_fma_f32 v8, 0x3fb8aa3b, v4, -v5
	v_rndne_f32_e32 v9, v5
	v_fma_f32 v10, 0x3fb8aa3b, v0, -v7
	s_delay_alu instid0(VALU_DEP_3) | instskip(NEXT) | instid1(VALU_DEP_3)
	v_dual_sub_f32 v7, v7, v11 :: v_dual_fmac_f32 v8, 0x32a5705f, v4
	v_sub_f32_e32 v5, v5, v9
	s_delay_alu instid0(VALU_DEP_1) | instskip(SKIP_2) | instid1(VALU_DEP_3)
	v_add_f32_e32 v5, v5, v8
	v_cvt_i32_f32_e32 v8, v9
	v_cvt_i32_f32_e32 v9, v11
	v_exp_f32_e32 v5, v5
	s_waitcnt_depctr 0xfff
	v_ldexp_f32 v5, v5, v8
	s_delay_alu instid0(VALU_DEP_1) | instskip(NEXT) | instid1(VALU_DEP_1)
	v_dual_fmac_f32 v10, 0x32a5705f, v0 :: v_dual_cndmask_b32 v5, 0, v5
	v_add_f32_e32 v7, v7, v10
	v_cmp_ngt_f32_e32 vcc_lo, 0xc2ce8ed0, v0
	s_delay_alu instid0(VALU_DEP_2) | instskip(SKIP_2) | instid1(VALU_DEP_1)
	v_exp_f32_e32 v7, v7
	s_waitcnt_depctr 0xfff
	v_ldexp_f32 v7, v7, v9
	v_cndmask_b32_e32 v7, 0, v7, vcc_lo
	v_cmp_nlt_f32_e32 vcc_lo, 0x42b17218, v4
	v_cndmask_b32_e32 v4, 0x7f800000, v5, vcc_lo
	v_cmp_nlt_f32_e32 vcc_lo, 0x42b17218, v0
	s_delay_alu instid0(VALU_DEP_2) | instskip(SKIP_1) | instid1(VALU_DEP_2)
	v_cvt_f16_f32_e32 v5, v4
	v_cndmask_b32_e32 v0, 0x7f800000, v7, vcc_lo
	v_pk_mul_f16 v45, v5, v45 op_sel_hi:[0,1]
	s_delay_alu instid0(VALU_DEP_2) | instskip(SKIP_3) | instid1(VALU_DEP_4)
	v_fmac_f32_e32 v0, v6, v4
	v_pk_mul_f16 v48, v5, v48 op_sel_hi:[0,1]
	v_pk_mul_f16 v47, v5, v47 op_sel_hi:[0,1]
	v_pk_mul_f16 v46, v5, v46 op_sel_hi:[0,1]
	v_dual_mov_b32 v5, v3 :: v_dual_mov_b32 v6, v0
.LBB52_23:
	s_mov_b32 s0, exec_lo
	v_cmpx_gt_i32_e64 s38, v2
	s_cbranch_execz .LBB52_26
; %bb.24:
	s_delay_alu instid0(VALU_DEP_2) | instskip(SKIP_2) | instid1(VALU_DEP_2)
	v_div_scale_f32 v0, null, v6, v6, 1.0
	s_load_b32 s1, s[2:3], 0xd4
	v_mad_u64_u32 v[3:4], null, s33, s38, v[2:3]
	v_rcp_f32_e32 v9, v0
	v_div_scale_f32 v10, vcc_lo, 1.0, v6, 1.0
	v_lshrrev_b32_e32 v12, 16, v45
	v_cmp_eq_u32_e64 s0, 0, v1
	v_lshrrev_b32_e32 v16, 16, v47
	v_mad_u64_u32 v[7:8], null, v3, s39, s[34:35]
	v_lshrrev_b32_e32 v8, 16, v48
	v_cvt_f32_f16_e32 v12, v12
	s_delay_alu instid0(TRANS32_DEP_1)
	v_fma_f32 v2, -v0, v9, 1.0
	v_cvt_f32_f16_e32 v11, v48
	v_cvt_f32_f16_e32 v14, v45
	;; [unrolled: 1-line block ×4, first 2 shown]
	v_dual_fmac_f32 v9, v2, v9 :: v_dual_mov_b32 v4, 0
	s_waitcnt lgkmcnt(0)
	v_mad_u64_u32 v[2:3], null, s1, v7, s[14:15]
	v_lshrrev_b32_e32 v7, 16, v46
	s_delay_alu instid0(VALU_DEP_3)
	v_mul_f32_e32 v13, v10, v9
	s_cmp_lg_u32 s1, 1
	v_cvt_f32_f16_e32 v17, v47
	s_cselect_b32 s1, -1, 0
	v_cvt_f32_f16_e32 v16, v16
	v_fma_f32 v3, -v0, v13, v10
	s_and_b32 s0, s0, s1
	s_delay_alu instid0(VALU_DEP_1) | instskip(SKIP_1) | instid1(VALU_DEP_2)
	v_fmac_f32_e32 v13, v3, v9
	v_lshl_add_u32 v3, v2, 8, v41
	v_fma_f32 v10, -v0, v13, v10
	s_delay_alu instid0(VALU_DEP_2) | instskip(NEXT) | instid1(VALU_DEP_2)
	v_lshlrev_b64 v[0:1], 2, v[3:4]
	v_div_fmas_f32 v9, v10, v9, v13
	v_cvt_f32_f16_e32 v13, v7
	s_delay_alu instid0(VALU_DEP_3) | instskip(NEXT) | instid1(VALU_DEP_4)
	v_add_co_u32 v0, vcc_lo, s28, v0
	v_add_co_ci_u32_e32 v1, vcc_lo, s29, v1, vcc_lo
	s_delay_alu instid0(VALU_DEP_4) | instskip(NEXT) | instid1(VALU_DEP_1)
	v_div_fixup_f32 v7, v9, v6, 1.0
	v_cndmask_b32_e64 v18, v7, 1.0, s1
	s_delay_alu instid0(VALU_DEP_1) | instskip(SKIP_1) | instid1(VALU_DEP_2)
	v_dual_mul_f32 v10, v18, v8 :: v_dual_add_nc_u32 v3, 0x80, v3
	v_mul_f32_e32 v8, v18, v12
	v_lshlrev_b64 v[3:4], 2, v[3:4]
	v_mul_f32_e32 v9, v18, v11
	v_mul_f32_e32 v7, v18, v14
	;; [unrolled: 1-line block ×5, first 2 shown]
	v_add_co_u32 v3, vcc_lo, s28, v3
	v_add_co_ci_u32_e32 v4, vcc_lo, s29, v4, vcc_lo
	v_mul_f32_e32 v11, v18, v17
	s_clause 0x1
	global_store_b128 v[0:1], v[7:10], off
	global_store_b128 v[3:4], v[11:14], off
	s_and_b32 exec_lo, exec_lo, s0
	s_cbranch_execz .LBB52_26
; %bb.25:
	v_ashrrev_i32_e32 v3, 31, v2
	s_delay_alu instid0(VALU_DEP_1) | instskip(NEXT) | instid1(VALU_DEP_1)
	v_lshlrev_b64 v[0:1], 3, v[2:3]
	v_add_co_u32 v0, vcc_lo, s30, v0
	s_delay_alu instid0(VALU_DEP_2)
	v_add_co_ci_u32_e32 v1, vcc_lo, s31, v1, vcc_lo
	global_store_b64 v[0:1], v[5:6], off
.LBB52_26:
	s_nop 0
	s_sendmsg sendmsg(MSG_DEALLOC_VGPRS)
	s_endpgm
	.section	.rodata,"a",@progbits
	.p2align	6, 0x0
	.amdhsa_kernel _ZL15flash_attn_tileILi256ELi256ELi4ELi1ELb0EEvPKcS1_S1_S1_S1_PKiPfP15HIP_vector_typeIfLj2EEffffjfiS5_IjLj3EEiiiiiiiiiiiliiliiiiil
		.amdhsa_group_segment_fixed_size 21248
		.amdhsa_private_segment_fixed_size 32
		.amdhsa_kernarg_size 464
		.amdhsa_user_sgpr_count 13
		.amdhsa_user_sgpr_dispatch_ptr 1
		.amdhsa_user_sgpr_queue_ptr 0
		.amdhsa_user_sgpr_kernarg_segment_ptr 1
		.amdhsa_user_sgpr_dispatch_id 0
		.amdhsa_user_sgpr_private_segment_size 0
		.amdhsa_wavefront_size32 1
		.amdhsa_uses_dynamic_stack 0
		.amdhsa_enable_private_segment 1
		.amdhsa_system_sgpr_workgroup_id_x 1
		.amdhsa_system_sgpr_workgroup_id_y 1
		.amdhsa_system_sgpr_workgroup_id_z 1
		.amdhsa_system_sgpr_workgroup_info 0
		.amdhsa_system_vgpr_workitem_id 2
		.amdhsa_next_free_vgpr 137
		.amdhsa_next_free_sgpr 52
		.amdhsa_reserve_vcc 1
		.amdhsa_float_round_mode_32 0
		.amdhsa_float_round_mode_16_64 0
		.amdhsa_float_denorm_mode_32 3
		.amdhsa_float_denorm_mode_16_64 3
		.amdhsa_dx10_clamp 1
		.amdhsa_ieee_mode 1
		.amdhsa_fp16_overflow 0
		.amdhsa_workgroup_processor_mode 1
		.amdhsa_memory_ordered 1
		.amdhsa_forward_progress 0
		.amdhsa_shared_vgpr_count 0
		.amdhsa_exception_fp_ieee_invalid_op 0
		.amdhsa_exception_fp_denorm_src 0
		.amdhsa_exception_fp_ieee_div_zero 0
		.amdhsa_exception_fp_ieee_overflow 0
		.amdhsa_exception_fp_ieee_underflow 0
		.amdhsa_exception_fp_ieee_inexact 0
		.amdhsa_exception_int_div_zero 0
	.end_amdhsa_kernel
	.section	.text._ZL15flash_attn_tileILi256ELi256ELi4ELi1ELb0EEvPKcS1_S1_S1_S1_PKiPfP15HIP_vector_typeIfLj2EEffffjfiS5_IjLj3EEiiiiiiiiiiiliiliiiiil,"axG",@progbits,_ZL15flash_attn_tileILi256ELi256ELi4ELi1ELb0EEvPKcS1_S1_S1_S1_PKiPfP15HIP_vector_typeIfLj2EEffffjfiS5_IjLj3EEiiiiiiiiiiiliiliiiiil,comdat
.Lfunc_end52:
	.size	_ZL15flash_attn_tileILi256ELi256ELi4ELi1ELb0EEvPKcS1_S1_S1_S1_PKiPfP15HIP_vector_typeIfLj2EEffffjfiS5_IjLj3EEiiiiiiiiiiiliiliiiiil, .Lfunc_end52-_ZL15flash_attn_tileILi256ELi256ELi4ELi1ELb0EEvPKcS1_S1_S1_S1_PKiPfP15HIP_vector_typeIfLj2EEffffjfiS5_IjLj3EEiiiiiiiiiiiliiliiiiil
                                        ; -- End function
	.section	.AMDGPU.csdata,"",@progbits
; Kernel info:
; codeLenInByte = 17684
; NumSgprs: 54
; NumVgprs: 137
; ScratchSize: 32
; MemoryBound: 0
; FloatMode: 240
; IeeeMode: 1
; LDSByteSize: 21248 bytes/workgroup (compile time only)
; SGPRBlocks: 6
; VGPRBlocks: 17
; NumSGPRsForWavesPerEU: 54
; NumVGPRsForWavesPerEU: 137
; Occupancy: 6
; WaveLimiterHint : 1
; COMPUTE_PGM_RSRC2:SCRATCH_EN: 1
; COMPUTE_PGM_RSRC2:USER_SGPR: 13
; COMPUTE_PGM_RSRC2:TRAP_HANDLER: 0
; COMPUTE_PGM_RSRC2:TGID_X_EN: 1
; COMPUTE_PGM_RSRC2:TGID_Y_EN: 1
; COMPUTE_PGM_RSRC2:TGID_Z_EN: 1
; COMPUTE_PGM_RSRC2:TIDIG_COMP_CNT: 2
	.section	.text._ZL33flash_attn_stream_k_fixup_uniformILi256ELi4ELi1EEvPfPK15HIP_vector_typeIfLj2EEiiiiiiS1_IjLj3EES5_S5_,"axG",@progbits,_ZL33flash_attn_stream_k_fixup_uniformILi256ELi4ELi1EEvPfPK15HIP_vector_typeIfLj2EEiiiiiiS1_IjLj3EES5_S5_,comdat
	.globl	_ZL33flash_attn_stream_k_fixup_uniformILi256ELi4ELi1EEvPfPK15HIP_vector_typeIfLj2EEiiiiiiS1_IjLj3EES5_S5_ ; -- Begin function _ZL33flash_attn_stream_k_fixup_uniformILi256ELi4ELi1EEvPfPK15HIP_vector_typeIfLj2EEiiiiiiS1_IjLj3EES5_S5_
	.p2align	8
	.type	_ZL33flash_attn_stream_k_fixup_uniformILi256ELi4ELi1EEvPfPK15HIP_vector_typeIfLj2EEiiiiiiS1_IjLj3EES5_S5_,@function
_ZL33flash_attn_stream_k_fixup_uniformILi256ELi4ELi1EEvPfPK15HIP_vector_typeIfLj2EEiiiiiiS1_IjLj3EES5_S5_: ; @_ZL33flash_attn_stream_k_fixup_uniformILi256ELi4ELi1EEvPfPK15HIP_vector_typeIfLj2EEiiiiiiS1_IjLj3EES5_S5_
; %bb.0:
	s_clause 0x1
	s_load_b256 s[4:11], s[0:1], 0x1c
	s_load_b128 s[16:19], s[0:1], 0x3c
	s_waitcnt lgkmcnt(0)
	s_mul_hi_u32 s2, s7, s13
	s_delay_alu instid0(SALU_CYCLE_1) | instskip(NEXT) | instid1(SALU_CYCLE_1)
	s_add_i32 s2, s13, s2
	s_lshr_b32 s2, s2, s8
	s_delay_alu instid0(SALU_CYCLE_1) | instskip(SKIP_2) | instid1(SALU_CYCLE_1)
	s_mul_i32 s3, s2, s9
	s_load_b64 s[8:9], s[0:1], 0x10
	s_sub_i32 s7, s13, s3
	s_mul_hi_u32 s3, s7, s10
	s_delay_alu instid0(SALU_CYCLE_1) | instskip(NEXT) | instid1(SALU_CYCLE_1)
	s_add_i32 s3, s7, s3
	s_lshr_b32 s3, s3, s11
	s_delay_alu instid0(SALU_CYCLE_1) | instskip(NEXT) | instid1(SALU_CYCLE_1)
	s_mul_i32 s10, s3, s16
	s_sub_i32 s10, s7, s10
	s_delay_alu instid0(SALU_CYCLE_1) | instskip(NEXT) | instid1(SALU_CYCLE_1)
	s_mul_hi_u32 s7, s10, s17
	s_add_i32 s7, s10, s7
	s_delay_alu instid0(SALU_CYCLE_1) | instskip(NEXT) | instid1(SALU_CYCLE_1)
	s_lshr_b32 s7, s7, s18
	s_mul_i32 s11, s7, s19
	s_delay_alu instid0(SALU_CYCLE_1) | instskip(NEXT) | instid1(SALU_CYCLE_1)
	s_sub_i32 s10, s10, s11
	s_lshl_b32 s11, s10, 2
	s_delay_alu instid0(SALU_CYCLE_1) | instskip(SKIP_4) | instid1(SALU_CYCLE_1)
	s_add_i32 s11, s11, s14
	s_waitcnt lgkmcnt(0)
	s_cmp_lt_i32 s11, s8
	s_cselect_b32 s11, -1, 0
	s_add_i32 s12, s7, s15
	s_cmp_lt_i32 s12, s5
	s_cselect_b32 s12, -1, 0
	s_delay_alu instid0(SALU_CYCLE_1) | instskip(NEXT) | instid1(SALU_CYCLE_1)
	s_and_b32 s11, s11, s12
	s_and_not1_b32 vcc_lo, exec_lo, s11
	s_cbranch_vccnz .LBB53_6
; %bb.1:
	s_mul_i32 s2, s2, s8
	s_mul_i32 s5, s3, s5
	s_add_i32 s2, s2, s14
	s_delay_alu instid0(SALU_CYCLE_1) | instskip(NEXT) | instid1(SALU_CYCLE_1)
	s_mul_i32 s2, s2, s9
	s_add_i32 s8, s2, s15
	s_load_b128 s[0:3], s[0:1], 0x0
	s_add_i32 s5, s8, s5
	s_mul_i32 s8, s9, s10
	s_add_i32 s5, s5, s7
	s_lshl_b32 s7, s8, 10
	s_lshl_b32 s5, s5, 8
	s_add_i32 s10, s14, s15
	s_add_i32 s7, s7, s5
	s_mul_i32 s5, s13, s6
	v_or_b32_e32 v1, s7, v0
	s_add_i32 s9, s5, s6
	s_delay_alu instid0(VALU_DEP_1) | instskip(NEXT) | instid1(VALU_DEP_1)
	v_ashrrev_i32_e32 v2, 31, v1
	v_lshlrev_b64 v[1:2], 2, v[1:2]
	s_waitcnt lgkmcnt(0)
	s_delay_alu instid0(VALU_DEP_1) | instskip(NEXT) | instid1(VALU_DEP_2)
	v_add_co_u32 v1, vcc_lo, s0, v1
	v_add_co_ci_u32_e32 v2, vcc_lo, s1, v2, vcc_lo
	s_lshl_b32 s0, s9, 2
	s_delay_alu instid0(SALU_CYCLE_1) | instskip(SKIP_2) | instid1(SALU_CYCLE_1)
	s_add_i32 s0, s10, s0
	global_load_b32 v5, v[1:2], off
	s_add_i32 s0, s0, -4
	s_ashr_i32 s1, s0, 31
	s_delay_alu instid0(SALU_CYCLE_1) | instskip(NEXT) | instid1(SALU_CYCLE_1)
	s_lshl_b64 s[0:1], s[0:1], 3
	s_add_u32 s0, s2, s0
	s_addc_u32 s1, s3, s1
	s_add_i32 s7, s9, -2
	s_load_b32 s11, s[0:1], 0x4
	s_cmp_lt_i32 s7, s5
	s_cbranch_scc1 .LBB53_4
; %bb.2:
	s_lshl_b32 s14, s4, 4
	s_load_b32 s12, s[0:1], 0x0
	s_ashr_i32 s15, s14, 31
	s_delay_alu instid0(SALU_CYCLE_1) | instskip(NEXT) | instid1(SALU_CYCLE_1)
	s_lshl_b64 s[0:1], s[14:15], 2
	s_add_u32 s7, s2, s0
	s_addc_u32 s8, s3, s1
	s_add_i32 s13, s13, 1
	s_lshl_b32 s1, s10, 8
	s_mul_i32 s0, s6, s13
	s_delay_alu instid0(SALU_CYCLE_1)
	s_lshl_b32 s6, s0, 10
	s_lshl_b32 s0, s0, 2
	s_add_i32 s1, s1, s6
	s_add_i32 s0, s10, s0
	v_or_b32_e32 v0, s1, v0
	s_lshl_b32 s1, s4, 2
	s_waitcnt lgkmcnt(0)
	v_mov_b32_e32 v6, s11
	s_add_i32 s0, s0, s1
	s_add_i32 s4, s9, -1
	v_dual_mov_b32 v0, s12 :: v_dual_add_nc_u32 v3, 0xfffff800, v0
	s_add_i32 s0, s0, -8
.LBB53_3:                               ; =>This Inner Loop Header: Depth=1
	s_delay_alu instid0(VALU_DEP_1) | instskip(SKIP_1) | instid1(SALU_CYCLE_1)
	v_ashrrev_i32_e32 v4, 31, v3
	s_ashr_i32 s1, s0, 31
	s_lshl_b64 s[10:11], s[0:1], 3
	s_delay_alu instid0(SALU_CYCLE_1) | instskip(NEXT) | instid1(VALU_DEP_1)
	s_add_u32 s10, s2, s10
	v_lshlrev_b64 v[7:8], 2, v[3:4]
	s_addc_u32 s11, s3, s11
	s_add_i32 s4, s4, -1
	s_add_i32 s0, s0, -4
	s_cmp_le_i32 s4, s5
	s_load_b64 s[10:11], s[10:11], 0x0
	v_add_co_u32 v7, vcc_lo, s7, v7
	v_add_co_ci_u32_e32 v8, vcc_lo, s8, v8, vcc_lo
	global_load_b32 v4, v[7:8], off
	v_max_f32_e32 v7, v0, v0
	s_waitcnt lgkmcnt(0)
	v_max_f32_e64 v8, s10, s10
	s_delay_alu instid0(VALU_DEP_1) | instskip(NEXT) | instid1(VALU_DEP_1)
	v_max_f32_e32 v7, v7, v8
	v_sub_f32_e32 v8, s10, v7
	s_delay_alu instid0(VALU_DEP_1) | instskip(NEXT) | instid1(VALU_DEP_1)
	v_dual_sub_f32 v0, v0, v7 :: v_dual_mul_f32 v9, 0x3fb8aa3b, v8
	v_fma_f32 v10, 0x3fb8aa3b, v8, -v9
	v_rndne_f32_e32 v11, v9
	s_delay_alu instid0(VALU_DEP_3) | instskip(NEXT) | instid1(VALU_DEP_2)
	v_mul_f32_e32 v12, 0x3fb8aa3b, v0
	v_dual_fmac_f32 v10, 0x32a5705f, v8 :: v_dual_sub_f32 v9, v9, v11
	v_cvt_i32_f32_e32 v11, v11
	s_delay_alu instid0(VALU_DEP_3) | instskip(SKIP_1) | instid1(VALU_DEP_4)
	v_fma_f32 v13, 0x3fb8aa3b, v0, -v12
	v_rndne_f32_e32 v14, v12
	v_add_f32_e32 v9, v9, v10
	v_cmp_ngt_f32_e32 vcc_lo, 0xc2ce8ed0, v8
	s_delay_alu instid0(VALU_DEP_3) | instskip(NEXT) | instid1(VALU_DEP_3)
	v_sub_f32_e32 v10, v12, v14
	v_exp_f32_e32 v9, v9
	s_waitcnt_depctr 0xfff
	v_ldexp_f32 v9, v9, v11
	v_cvt_i32_f32_e32 v11, v14
	s_delay_alu instid0(VALU_DEP_2) | instskip(SKIP_1) | instid1(VALU_DEP_2)
	v_cndmask_b32_e32 v9, 0, v9, vcc_lo
	v_cmp_nlt_f32_e32 vcc_lo, 0x42b17218, v8
	v_cndmask_b32_e32 v9, 0x7f800000, v9, vcc_lo
	v_cmp_ngt_f32_e32 vcc_lo, 0xc2ce8ed0, v0
	v_fmac_f32_e32 v13, 0x32a5705f, v0
	s_delay_alu instid0(VALU_DEP_1) | instskip(NEXT) | instid1(VALU_DEP_1)
	v_add_f32_e32 v10, v10, v13
	v_exp_f32_e32 v10, v10
	s_waitcnt_depctr 0xfff
	v_ldexp_f32 v10, v10, v11
	s_delay_alu instid0(VALU_DEP_1)
	v_dual_mov_b32 v11, v6 :: v_dual_cndmask_b32 v10, 0, v10
	v_cmp_le_f32_e32 vcc_lo, 0xc1a00000, v8
	s_waitcnt vmcnt(1)
	v_dual_cndmask_b32 v8, 0, v9 :: v_dual_mov_b32 v9, v5
	v_cmp_nlt_f32_e32 vcc_lo, 0x42b17218, v0
	v_cndmask_b32_e32 v5, 0x7f800000, v10, vcc_lo
	s_delay_alu instid0(VALU_DEP_3) | instskip(SKIP_2) | instid1(VALU_DEP_3)
	v_mul_f32_e32 v10, s11, v8
	v_cmp_le_f32_e32 vcc_lo, 0xc1a00000, v0
	v_mov_b32_e32 v0, v7
	v_mov_b32_e32 v6, v10
	s_waitcnt vmcnt(0)
	v_dual_cndmask_b32 v12, 0, v5 :: v_dual_mul_f32 v5, v4, v8
	s_delay_alu instid0(VALU_DEP_1) | instskip(NEXT) | instid1(VALU_DEP_2)
	v_dual_fmac_f32 v6, v11, v12 :: v_dual_add_nc_u32 v3, 0xfffffc00, v3
	v_fmac_f32_e32 v5, v9, v12
	s_cbranch_scc0 .LBB53_3
	s_branch .LBB53_5
.LBB53_4:
	s_waitcnt lgkmcnt(0)
	v_mov_b32_e32 v6, s11
.LBB53_5:
	s_waitcnt vmcnt(0)
	s_delay_alu instid0(VALU_DEP_1) | instskip(NEXT) | instid1(VALU_DEP_1)
	v_div_scale_f32 v0, null, v6, v6, v5
	v_rcp_f32_e32 v3, v0
	s_waitcnt_depctr 0xfff
	v_fma_f32 v4, -v0, v3, 1.0
	s_delay_alu instid0(VALU_DEP_1) | instskip(SKIP_1) | instid1(VALU_DEP_1)
	v_fmac_f32_e32 v3, v4, v3
	v_div_scale_f32 v4, vcc_lo, v5, v6, v5
	v_mul_f32_e32 v7, v4, v3
	s_delay_alu instid0(VALU_DEP_1) | instskip(NEXT) | instid1(VALU_DEP_1)
	v_fma_f32 v8, -v0, v7, v4
	v_fmac_f32_e32 v7, v8, v3
	s_delay_alu instid0(VALU_DEP_1) | instskip(NEXT) | instid1(VALU_DEP_1)
	v_fma_f32 v0, -v0, v7, v4
	v_div_fmas_f32 v0, v0, v3, v7
	s_delay_alu instid0(VALU_DEP_1)
	v_div_fixup_f32 v0, v0, v6, v5
	global_store_b32 v[1:2], v0, off
.LBB53_6:
	s_nop 0
	s_sendmsg sendmsg(MSG_DEALLOC_VGPRS)
	s_endpgm
	.section	.rodata,"a",@progbits
	.p2align	6, 0x0
	.amdhsa_kernel _ZL33flash_attn_stream_k_fixup_uniformILi256ELi4ELi1EEvPfPK15HIP_vector_typeIfLj2EEiiiiiiS1_IjLj3EES5_S5_
		.amdhsa_group_segment_fixed_size 0
		.amdhsa_private_segment_fixed_size 0
		.amdhsa_kernarg_size 76
		.amdhsa_user_sgpr_count 13
		.amdhsa_user_sgpr_dispatch_ptr 0
		.amdhsa_user_sgpr_queue_ptr 0
		.amdhsa_user_sgpr_kernarg_segment_ptr 1
		.amdhsa_user_sgpr_dispatch_id 0
		.amdhsa_user_sgpr_private_segment_size 0
		.amdhsa_wavefront_size32 1
		.amdhsa_uses_dynamic_stack 0
		.amdhsa_enable_private_segment 0
		.amdhsa_system_sgpr_workgroup_id_x 1
		.amdhsa_system_sgpr_workgroup_id_y 1
		.amdhsa_system_sgpr_workgroup_id_z 1
		.amdhsa_system_sgpr_workgroup_info 0
		.amdhsa_system_vgpr_workitem_id 0
		.amdhsa_next_free_vgpr 15
		.amdhsa_next_free_sgpr 20
		.amdhsa_reserve_vcc 1
		.amdhsa_float_round_mode_32 0
		.amdhsa_float_round_mode_16_64 0
		.amdhsa_float_denorm_mode_32 3
		.amdhsa_float_denorm_mode_16_64 3
		.amdhsa_dx10_clamp 1
		.amdhsa_ieee_mode 1
		.amdhsa_fp16_overflow 0
		.amdhsa_workgroup_processor_mode 1
		.amdhsa_memory_ordered 1
		.amdhsa_forward_progress 0
		.amdhsa_shared_vgpr_count 0
		.amdhsa_exception_fp_ieee_invalid_op 0
		.amdhsa_exception_fp_denorm_src 0
		.amdhsa_exception_fp_ieee_div_zero 0
		.amdhsa_exception_fp_ieee_overflow 0
		.amdhsa_exception_fp_ieee_underflow 0
		.amdhsa_exception_fp_ieee_inexact 0
		.amdhsa_exception_int_div_zero 0
	.end_amdhsa_kernel
	.section	.text._ZL33flash_attn_stream_k_fixup_uniformILi256ELi4ELi1EEvPfPK15HIP_vector_typeIfLj2EEiiiiiiS1_IjLj3EES5_S5_,"axG",@progbits,_ZL33flash_attn_stream_k_fixup_uniformILi256ELi4ELi1EEvPfPK15HIP_vector_typeIfLj2EEiiiiiiS1_IjLj3EES5_S5_,comdat
.Lfunc_end53:
	.size	_ZL33flash_attn_stream_k_fixup_uniformILi256ELi4ELi1EEvPfPK15HIP_vector_typeIfLj2EEiiiiiiS1_IjLj3EES5_S5_, .Lfunc_end53-_ZL33flash_attn_stream_k_fixup_uniformILi256ELi4ELi1EEvPfPK15HIP_vector_typeIfLj2EEiiiiiiS1_IjLj3EES5_S5_
                                        ; -- End function
	.section	.AMDGPU.csdata,"",@progbits
; Kernel info:
; codeLenInByte = 976
; NumSgprs: 22
; NumVgprs: 15
; ScratchSize: 0
; MemoryBound: 0
; FloatMode: 240
; IeeeMode: 1
; LDSByteSize: 0 bytes/workgroup (compile time only)
; SGPRBlocks: 2
; VGPRBlocks: 1
; NumSGPRsForWavesPerEU: 22
; NumVGPRsForWavesPerEU: 15
; Occupancy: 16
; WaveLimiterHint : 0
; COMPUTE_PGM_RSRC2:SCRATCH_EN: 0
; COMPUTE_PGM_RSRC2:USER_SGPR: 13
; COMPUTE_PGM_RSRC2:TRAP_HANDLER: 0
; COMPUTE_PGM_RSRC2:TGID_X_EN: 1
; COMPUTE_PGM_RSRC2:TGID_Y_EN: 1
; COMPUTE_PGM_RSRC2:TGID_Z_EN: 1
; COMPUTE_PGM_RSRC2:TIDIG_COMP_CNT: 0
	.section	.text._ZL33flash_attn_stream_k_fixup_generalILi256ELi4ELi1EEvPfPK15HIP_vector_typeIfLj2EEiiiiS1_IjLj3EES5_S5_S5_,"axG",@progbits,_ZL33flash_attn_stream_k_fixup_generalILi256ELi4ELi1EEvPfPK15HIP_vector_typeIfLj2EEiiiiS1_IjLj3EES5_S5_S5_,comdat
	.globl	_ZL33flash_attn_stream_k_fixup_generalILi256ELi4ELi1EEvPfPK15HIP_vector_typeIfLj2EEiiiiS1_IjLj3EES5_S5_S5_ ; -- Begin function _ZL33flash_attn_stream_k_fixup_generalILi256ELi4ELi1EEvPfPK15HIP_vector_typeIfLj2EEiiiiS1_IjLj3EES5_S5_S5_
	.p2align	8
	.type	_ZL33flash_attn_stream_k_fixup_generalILi256ELi4ELi1EEvPfPK15HIP_vector_typeIfLj2EEiiiiS1_IjLj3EES5_S5_S5_,@function
_ZL33flash_attn_stream_k_fixup_generalILi256ELi4ELi1EEvPfPK15HIP_vector_typeIfLj2EEiiiiS1_IjLj3EES5_S5_S5_: ; @_ZL33flash_attn_stream_k_fixup_generalILi256ELi4ELi1EEvPfPK15HIP_vector_typeIfLj2EEiiiiS1_IjLj3EES5_S5_S5_
; %bb.0:
	s_clause 0x1
	s_load_b128 s[4:7], s[0:1], 0x10
	s_load_b32 s20, s[0:1], 0x50
	s_mov_b32 s2, 0
	s_waitcnt lgkmcnt(0)
	s_mul_hi_i32 s3, s7, s13
	s_mul_i32 s12, s7, s13
	s_cmp_lg_u64 s[2:3], 0
	s_cbranch_scc0 .LBB54_21
; %bb.1:
	v_cvt_f32_ubyte0_e32 v1, 0
	v_cvt_f32_u32_e32 v2, s20
	s_sub_u32 s10, 0, s20
	s_subb_u32 s11, 0, 0
	s_delay_alu instid0(VALU_DEP_1) | instskip(NEXT) | instid1(VALU_DEP_1)
	v_fmamk_f32 v1, v1, 0x4f800000, v2
	v_rcp_f32_e32 v1, v1
	s_waitcnt_depctr 0xfff
	v_mul_f32_e32 v1, 0x5f7ffffc, v1
	s_delay_alu instid0(VALU_DEP_1) | instskip(NEXT) | instid1(VALU_DEP_1)
	v_mul_f32_e32 v2, 0x2f800000, v1
	v_trunc_f32_e32 v2, v2
	s_delay_alu instid0(VALU_DEP_1) | instskip(SKIP_1) | instid1(VALU_DEP_2)
	v_fmamk_f32 v1, v2, 0xcf800000, v1
	v_cvt_u32_f32_e32 v2, v2
	v_cvt_u32_f32_e32 v1, v1
	s_delay_alu instid0(VALU_DEP_2) | instskip(NEXT) | instid1(VALU_DEP_2)
	v_readfirstlane_b32 s8, v2
	v_readfirstlane_b32 s9, v1
	s_delay_alu instid0(VALU_DEP_2) | instskip(NEXT) | instid1(VALU_DEP_1)
	s_mul_i32 s16, s10, s8
	s_mul_hi_u32 s18, s10, s9
	s_mul_i32 s17, s11, s9
	s_add_i32 s16, s18, s16
	s_mul_i32 s19, s10, s9
	s_add_i32 s16, s16, s17
	s_mul_hi_u32 s18, s9, s19
	s_mul_hi_u32 s21, s8, s19
	s_mul_i32 s17, s8, s19
	s_mul_hi_u32 s19, s9, s16
	s_mul_i32 s9, s9, s16
	s_mul_hi_u32 s22, s8, s16
	s_add_u32 s9, s18, s9
	s_addc_u32 s18, 0, s19
	s_add_u32 s9, s9, s17
	s_mul_i32 s16, s8, s16
	s_addc_u32 s9, s18, s21
	s_addc_u32 s17, s22, 0
	s_add_u32 s9, s9, s16
	s_addc_u32 s16, 0, s17
	v_add_co_u32 v1, s9, v1, s9
	s_delay_alu instid0(VALU_DEP_1) | instskip(SKIP_1) | instid1(VALU_DEP_1)
	s_cmp_lg_u32 s9, 0
	s_addc_u32 s8, s8, s16
	v_readfirstlane_b32 s9, v1
	s_mul_i32 s16, s10, s8
	s_delay_alu instid0(VALU_DEP_1)
	s_mul_hi_u32 s17, s10, s9
	s_mul_i32 s11, s11, s9
	s_add_i32 s16, s17, s16
	s_mul_i32 s10, s10, s9
	s_add_i32 s16, s16, s11
	s_mul_hi_u32 s17, s8, s10
	s_mul_i32 s18, s8, s10
	s_mul_hi_u32 s10, s9, s10
	s_mul_hi_u32 s19, s9, s16
	s_mul_i32 s9, s9, s16
	s_mul_hi_u32 s11, s8, s16
	s_add_u32 s9, s10, s9
	s_addc_u32 s10, 0, s19
	s_add_u32 s9, s9, s18
	s_mul_i32 s16, s8, s16
	s_addc_u32 s9, s10, s17
	s_addc_u32 s10, s11, 0
	s_add_u32 s9, s9, s16
	s_addc_u32 s10, 0, s10
	v_add_co_u32 v1, s9, v1, s9
	s_delay_alu instid0(VALU_DEP_1) | instskip(SKIP_2) | instid1(SALU_CYCLE_1)
	s_cmp_lg_u32 s9, 0
	s_addc_u32 s16, s8, s10
	s_ashr_i32 s8, s3, 31
	s_add_u32 s10, s12, s8
	s_addc_u32 s11, s3, s8
	v_readfirstlane_b32 s3, v1
	s_mov_b32 s9, s8
	s_delay_alu instid0(SALU_CYCLE_1) | instskip(NEXT) | instid1(SALU_CYCLE_1)
	s_xor_b64 s[10:11], s[10:11], s[8:9]
	s_mul_i32 s18, s10, s16
	s_delay_alu instid0(VALU_DEP_1)
	s_mul_hi_u32 s19, s10, s3
	s_mul_hi_u32 s17, s10, s16
	;; [unrolled: 1-line block ×3, first 2 shown]
	s_mul_i32 s3, s11, s3
	s_add_u32 s18, s19, s18
	s_addc_u32 s17, 0, s17
	s_mul_hi_u32 s21, s11, s16
	s_add_u32 s3, s18, s3
	s_mul_i32 s16, s11, s16
	s_addc_u32 s3, s17, s22
	s_addc_u32 s17, s21, 0
	s_add_u32 s3, s3, s16
	s_addc_u32 s16, 0, s17
	s_mul_i32 s18, s20, s3
	s_add_u32 s17, s3, 1
	v_sub_co_u32 v1, s10, s10, s18
	s_mul_hi_u32 s18, s20, s3
	s_addc_u32 s19, s16, 0
	s_mul_i32 s21, s20, s16
	s_delay_alu instid0(VALU_DEP_1)
	v_sub_co_u32 v2, s22, v1, s20
	s_add_u32 s23, s3, 2
	s_addc_u32 s24, s16, 0
	s_add_i32 s18, s18, s21
	s_cmp_lg_u32 s10, 0
	v_readfirstlane_b32 s10, v2
	s_subb_u32 s11, s11, s18
	s_cmp_lg_u32 s22, 0
	s_subb_u32 s18, s11, 0
	s_delay_alu instid0(VALU_DEP_1) | instskip(SKIP_4) | instid1(SALU_CYCLE_1)
	s_cmp_ge_u32 s10, s20
	s_cselect_b32 s10, -1, 0
	s_cmp_eq_u32 s18, 0
	v_readfirstlane_b32 s18, v1
	s_cselect_b32 s10, s10, -1
	s_cmp_lg_u32 s10, 0
	s_cselect_b32 s10, s23, s17
	s_cselect_b32 s17, s24, s19
	s_cmp_ge_u32 s18, s20
	s_cselect_b32 s18, -1, 0
	s_cmp_eq_u32 s11, 0
	s_cselect_b32 s11, s18, -1
	s_delay_alu instid0(SALU_CYCLE_1) | instskip(SKIP_2) | instid1(SALU_CYCLE_1)
	s_cmp_lg_u32 s11, 0
	s_cselect_b32 s11, s17, s16
	s_cselect_b32 s10, s10, s3
	s_xor_b64 s[10:11], s[10:11], s[8:9]
	s_delay_alu instid0(SALU_CYCLE_1)
	s_sub_u32 s16, s10, s8
	s_load_b128 s[8:11], s[0:1], 0x44
	s_and_not1_b32 vcc_lo, exec_lo, s2
	s_cbranch_vccnz .LBB54_3
.LBB54_2:
	v_cvt_f32_u32_e32 v1, s20
	s_sub_i32 s3, 0, s20
	s_delay_alu instid0(VALU_DEP_1) | instskip(SKIP_2) | instid1(VALU_DEP_1)
	v_rcp_iflag_f32_e32 v1, v1
	s_waitcnt_depctr 0xfff
	v_mul_f32_e32 v1, 0x4f7ffffe, v1
	v_cvt_u32_f32_e32 v1, v1
	s_delay_alu instid0(VALU_DEP_1) | instskip(NEXT) | instid1(VALU_DEP_1)
	v_readfirstlane_b32 s2, v1
	s_mul_i32 s3, s3, s2
	s_delay_alu instid0(SALU_CYCLE_1) | instskip(NEXT) | instid1(SALU_CYCLE_1)
	s_mul_hi_u32 s3, s2, s3
	s_add_i32 s2, s2, s3
	s_delay_alu instid0(SALU_CYCLE_1) | instskip(NEXT) | instid1(SALU_CYCLE_1)
	s_mul_hi_u32 s2, s12, s2
	s_mul_i32 s3, s2, s20
	s_waitcnt lgkmcnt(0)
	s_add_i32 s11, s2, 1
	s_sub_i32 s3, s12, s3
	s_delay_alu instid0(SALU_CYCLE_1)
	s_sub_i32 s12, s3, s20
	s_cmp_ge_u32 s3, s20
	s_cselect_b32 s2, s11, s2
	s_cselect_b32 s3, s12, s3
	s_add_i32 s11, s2, 1
	s_cmp_ge_u32 s3, s20
	s_cselect_b32 s16, s11, s2
.LBB54_3:
	s_waitcnt lgkmcnt(0)
	s_add_i32 s11, s13, 1
	s_mov_b32 s2, 0
	s_mul_hi_i32 s3, s7, s11
	s_mul_i32 s11, s7, s11
	s_cmp_lg_u64 s[2:3], 0
	s_cbranch_scc0 .LBB54_22
; %bb.4:
	v_cvt_f32_ubyte0_e32 v1, 0
	v_cvt_f32_u32_e32 v2, s20
	s_sub_u32 s18, 0, s20
	s_subb_u32 s19, 0, 0
	s_delay_alu instid0(VALU_DEP_1) | instskip(NEXT) | instid1(VALU_DEP_1)
	v_fmamk_f32 v1, v1, 0x4f800000, v2
	v_rcp_f32_e32 v1, v1
	s_waitcnt_depctr 0xfff
	v_mul_f32_e32 v1, 0x5f7ffffc, v1
	s_delay_alu instid0(VALU_DEP_1) | instskip(NEXT) | instid1(VALU_DEP_1)
	v_mul_f32_e32 v2, 0x2f800000, v1
	v_trunc_f32_e32 v2, v2
	s_delay_alu instid0(VALU_DEP_1) | instskip(SKIP_1) | instid1(VALU_DEP_2)
	v_fmamk_f32 v1, v2, 0xcf800000, v1
	v_cvt_u32_f32_e32 v2, v2
	v_cvt_u32_f32_e32 v1, v1
	s_delay_alu instid0(VALU_DEP_2) | instskip(NEXT) | instid1(VALU_DEP_2)
	v_readfirstlane_b32 s12, v2
	v_readfirstlane_b32 s17, v1
	s_delay_alu instid0(VALU_DEP_2) | instskip(NEXT) | instid1(VALU_DEP_1)
	s_mul_i32 s21, s18, s12
	s_mul_hi_u32 s23, s18, s17
	s_mul_i32 s22, s19, s17
	s_add_i32 s21, s23, s21
	s_mul_i32 s24, s18, s17
	s_add_i32 s21, s21, s22
	s_mul_hi_u32 s23, s17, s24
	s_mul_hi_u32 s25, s12, s24
	s_mul_i32 s22, s12, s24
	s_mul_hi_u32 s24, s17, s21
	s_mul_i32 s17, s17, s21
	s_mul_hi_u32 s26, s12, s21
	s_add_u32 s17, s23, s17
	s_addc_u32 s23, 0, s24
	s_add_u32 s17, s17, s22
	s_mul_i32 s21, s12, s21
	s_addc_u32 s17, s23, s25
	s_addc_u32 s22, s26, 0
	s_add_u32 s17, s17, s21
	s_addc_u32 s21, 0, s22
	v_add_co_u32 v1, s17, v1, s17
	s_delay_alu instid0(VALU_DEP_1) | instskip(SKIP_1) | instid1(VALU_DEP_1)
	s_cmp_lg_u32 s17, 0
	s_addc_u32 s12, s12, s21
	v_readfirstlane_b32 s17, v1
	s_mul_i32 s21, s18, s12
	s_delay_alu instid0(VALU_DEP_1)
	s_mul_hi_u32 s22, s18, s17
	s_mul_i32 s19, s19, s17
	s_add_i32 s21, s22, s21
	s_mul_i32 s18, s18, s17
	s_add_i32 s21, s21, s19
	s_mul_hi_u32 s22, s12, s18
	s_mul_i32 s23, s12, s18
	s_mul_hi_u32 s18, s17, s18
	s_mul_hi_u32 s24, s17, s21
	s_mul_i32 s17, s17, s21
	s_mul_hi_u32 s19, s12, s21
	s_add_u32 s17, s18, s17
	s_addc_u32 s18, 0, s24
	s_add_u32 s17, s17, s23
	s_mul_i32 s21, s12, s21
	s_addc_u32 s17, s18, s22
	s_addc_u32 s18, s19, 0
	s_add_u32 s17, s17, s21
	s_addc_u32 s18, 0, s18
	v_add_co_u32 v1, s17, v1, s17
	s_delay_alu instid0(VALU_DEP_1) | instskip(SKIP_2) | instid1(SALU_CYCLE_1)
	s_cmp_lg_u32 s17, 0
	s_addc_u32 s12, s12, s18
	s_ashr_i32 s18, s3, 31
	s_add_u32 s22, s11, s18
	s_addc_u32 s23, s3, s18
	v_readfirstlane_b32 s3, v1
	s_mov_b32 s19, s18
	s_delay_alu instid0(SALU_CYCLE_1) | instskip(NEXT) | instid1(SALU_CYCLE_1)
	s_xor_b64 s[22:23], s[22:23], s[18:19]
	s_mul_i32 s21, s22, s12
	s_delay_alu instid0(VALU_DEP_1)
	s_mul_hi_u32 s24, s22, s3
	s_mul_hi_u32 s17, s22, s12
	s_mul_hi_u32 s26, s23, s3
	s_mul_i32 s3, s23, s3
	s_add_u32 s21, s24, s21
	s_addc_u32 s17, 0, s17
	s_mul_hi_u32 s25, s23, s12
	s_add_u32 s3, s21, s3
	s_mul_i32 s12, s23, s12
	s_addc_u32 s3, s17, s26
	s_addc_u32 s17, s25, 0
	s_add_u32 s3, s3, s12
	s_addc_u32 s12, 0, s17
	s_mul_i32 s21, s20, s3
	s_add_u32 s17, s3, 1
	v_sub_co_u32 v1, s21, s22, s21
	s_mul_hi_u32 s22, s20, s3
	s_addc_u32 s24, s12, 0
	s_mul_i32 s25, s20, s12
	s_delay_alu instid0(VALU_DEP_1)
	v_sub_co_u32 v2, s26, v1, s20
	s_add_u32 s27, s3, 2
	s_addc_u32 s28, s12, 0
	s_add_i32 s22, s22, s25
	s_cmp_lg_u32 s21, 0
	v_readfirstlane_b32 s21, v2
	s_subb_u32 s22, s23, s22
	s_cmp_lg_u32 s26, 0
	s_subb_u32 s23, s22, 0
	s_delay_alu instid0(VALU_DEP_1) | instskip(SKIP_4) | instid1(SALU_CYCLE_1)
	s_cmp_ge_u32 s21, s20
	s_cselect_b32 s21, -1, 0
	s_cmp_eq_u32 s23, 0
	v_readfirstlane_b32 s23, v1
	s_cselect_b32 s21, s21, -1
	s_cmp_lg_u32 s21, 0
	s_cselect_b32 s17, s27, s17
	s_cselect_b32 s21, s28, s24
	s_cmp_ge_u32 s23, s20
	s_cselect_b32 s23, -1, 0
	s_cmp_eq_u32 s22, 0
	s_cselect_b32 s22, s23, -1
	s_delay_alu instid0(SALU_CYCLE_1) | instskip(SKIP_2) | instid1(SALU_CYCLE_1)
	s_cmp_lg_u32 s22, 0
	s_cselect_b32 s23, s21, s12
	s_cselect_b32 s22, s17, s3
	s_xor_b64 s[22:23], s[22:23], s[18:19]
	s_delay_alu instid0(SALU_CYCLE_1)
	s_sub_u32 s18, s22, s18
	s_and_not1_b32 vcc_lo, exec_lo, s2
	s_cbranch_vccnz .LBB54_6
.LBB54_5:
	v_cvt_f32_u32_e32 v1, s20
	s_sub_i32 s3, 0, s20
	s_delay_alu instid0(VALU_DEP_1) | instskip(SKIP_2) | instid1(VALU_DEP_1)
	v_rcp_iflag_f32_e32 v1, v1
	s_waitcnt_depctr 0xfff
	v_mul_f32_e32 v1, 0x4f7ffffe, v1
	v_cvt_u32_f32_e32 v1, v1
	s_delay_alu instid0(VALU_DEP_1) | instskip(NEXT) | instid1(VALU_DEP_1)
	v_readfirstlane_b32 s2, v1
	s_mul_i32 s3, s3, s2
	s_delay_alu instid0(SALU_CYCLE_1) | instskip(NEXT) | instid1(SALU_CYCLE_1)
	s_mul_hi_u32 s3, s2, s3
	s_add_i32 s2, s2, s3
	s_delay_alu instid0(SALU_CYCLE_1) | instskip(NEXT) | instid1(SALU_CYCLE_1)
	s_mul_hi_u32 s2, s11, s2
	s_mul_i32 s3, s2, s20
	s_delay_alu instid0(SALU_CYCLE_1)
	s_sub_i32 s3, s11, s3
	s_add_i32 s11, s2, 1
	s_sub_i32 s12, s3, s20
	s_cmp_ge_u32 s3, s20
	s_cselect_b32 s2, s11, s2
	s_cselect_b32 s3, s12, s3
	s_add_i32 s11, s2, 1
	s_cmp_ge_u32 s3, s20
	s_cselect_b32 s18, s11, s2
.LBB54_6:
	s_delay_alu instid0(SALU_CYCLE_1) | instskip(SKIP_3) | instid1(SALU_CYCLE_1)
	s_cmp_eq_u32 s16, s18
	s_mul_hi_u32 s2, s16, s8
	s_cselect_b32 s3, -1, 0
	s_add_i32 s2, s2, s16
	s_lshr_b32 s11, s2, s9
	s_delay_alu instid0(SALU_CYCLE_1) | instskip(NEXT) | instid1(SALU_CYCLE_1)
	s_mul_i32 s2, s11, s10
	s_cmp_eq_u32 s2, s16
	s_mul_hi_u32 s2, s18, s8
	s_cselect_b32 s12, -1, 0
	s_add_i32 s2, s2, s18
	s_delay_alu instid0(SALU_CYCLE_1) | instskip(NEXT) | instid1(SALU_CYCLE_1)
	s_lshr_b32 s2, s2, s9
	s_cmp_eq_u32 s11, s2
	s_mul_i32 s2, s2, s10
	s_cselect_b32 s17, -1, 0
	s_cmp_lg_u32 s2, s18
	s_cselect_b32 s2, -1, 0
	s_or_b32 s3, s3, s12
	s_and_b32 s2, s17, s2
	s_delay_alu instid0(SALU_CYCLE_1) | instskip(NEXT) | instid1(SALU_CYCLE_1)
	s_or_b32 s2, s3, s2
	s_and_b32 vcc_lo, exec_lo, s2
	s_cbranch_vccnz .LBB54_24
; %bb.7:
	s_load_b256 s[24:31], s[0:1], 0x20
	s_waitcnt lgkmcnt(0)
	s_mul_hi_u32 s2, s16, s24
	s_delay_alu instid0(SALU_CYCLE_1) | instskip(NEXT) | instid1(SALU_CYCLE_1)
	s_add_i32 s2, s2, s16
	s_lshr_b32 s18, s2, s25
	s_load_b32 s2, s[0:1], 0x40
	s_mul_i32 s3, s18, s26
	s_delay_alu instid0(SALU_CYCLE_1) | instskip(NEXT) | instid1(SALU_CYCLE_1)
	s_sub_i32 s3, s16, s3
	s_mul_hi_u32 s12, s3, s27
	s_delay_alu instid0(SALU_CYCLE_1) | instskip(NEXT) | instid1(SALU_CYCLE_1)
	s_add_i32 s12, s3, s12
	s_lshr_b32 s21, s12, s28
	s_delay_alu instid0(SALU_CYCLE_1) | instskip(NEXT) | instid1(SALU_CYCLE_1)
	s_mul_i32 s12, s21, s29
	s_sub_i32 s3, s3, s12
	s_delay_alu instid0(SALU_CYCLE_1) | instskip(NEXT) | instid1(SALU_CYCLE_1)
	s_mul_hi_u32 s12, s3, s30
	s_add_i32 s12, s3, s12
	s_delay_alu instid0(SALU_CYCLE_1) | instskip(SKIP_3) | instid1(SALU_CYCLE_1)
	s_lshr_b32 s22, s12, s31
	s_mov_b32 s12, 0
	s_waitcnt lgkmcnt(0)
	s_mul_i32 s2, s22, s2
	s_sub_i32 s2, s3, s2
	s_delay_alu instid0(SALU_CYCLE_1) | instskip(NEXT) | instid1(SALU_CYCLE_1)
	s_mul_hi_u32 s3, s2, s8
	s_add_i32 s2, s2, s3
	s_delay_alu instid0(SALU_CYCLE_1) | instskip(NEXT) | instid1(SALU_CYCLE_1)
	s_lshr_b32 s23, s2, s9
	s_lshl_b32 s2, s23, 2
	s_delay_alu instid0(SALU_CYCLE_1) | instskip(NEXT) | instid1(SALU_CYCLE_1)
	s_add_i32 s2, s2, s14
	s_cmp_lt_i32 s2, s4
	s_cselect_b32 s2, -1, 0
	s_add_i32 s3, s22, s15
	s_delay_alu instid0(SALU_CYCLE_1) | instskip(SKIP_1) | instid1(SALU_CYCLE_1)
	s_cmp_lt_i32 s3, s6
	s_cselect_b32 s3, -1, 0
	s_and_b32 s2, s2, s3
	s_delay_alu instid0(SALU_CYCLE_1)
	s_and_not1_b32 vcc_lo, exec_lo, s2
	s_cbranch_vccnz .LBB54_24
; %bb.8:
	s_load_b128 s[0:3], s[0:1], 0x0
	s_lshl_b32 s24, s20, 4
	s_mov_b32 s25, s12
	s_add_i32 s17, s14, s15
	s_lshl_b64 s[24:25], s[24:25], 2
	s_mul_i32 s4, s18, s4
	s_mul_i32 s21, s21, s6
	v_cvt_f32_ubyte0_e32 v4, 0
	v_cvt_f32_u32_e32 v5, s20
	s_waitcnt lgkmcnt(0)
	s_add_u32 s18, s2, s24
	s_addc_u32 s19, s3, s25
	s_add_i32 s4, s4, s14
	s_delay_alu instid0(SALU_CYCLE_1) | instskip(SKIP_4) | instid1(SALU_CYCLE_1)
	s_mul_i32 s4, s4, s5
	s_mul_i32 s5, s5, s23
	s_add_i32 s4, s4, s15
	s_lshl_b32 s5, s5, 10
	s_add_i32 s4, s4, s21
	s_add_i32 s4, s4, s22
	s_delay_alu instid0(SALU_CYCLE_1) | instskip(NEXT) | instid1(SALU_CYCLE_1)
	s_lshl_b32 s4, s4, 8
	s_add_i32 s5, s5, s4
	s_delay_alu instid0(SALU_CYCLE_1) | instskip(SKIP_1) | instid1(VALU_DEP_2)
	v_or_b32_e32 v1, s5, v0
	v_lshl_or_b32 v0, s17, 8, v0
	v_ashrrev_i32_e32 v2, 31, v1
	s_delay_alu instid0(VALU_DEP_1) | instskip(NEXT) | instid1(VALU_DEP_1)
	v_lshlrev_b64 v[1:2], 2, v[1:2]
	v_add_co_u32 v1, vcc_lo, s0, v1
	s_delay_alu instid0(VALU_DEP_2) | instskip(SKIP_1) | instid1(SALU_CYCLE_1)
	v_add_co_ci_u32_e32 v2, vcc_lo, s1, v2, vcc_lo
	s_lshl_b32 s0, s13, 2
	s_add_i32 s0, s0, s17
	global_load_b32 v3, v[1:2], off
	s_ashr_i32 s1, s0, 31
	s_delay_alu instid0(SALU_CYCLE_1) | instskip(NEXT) | instid1(SALU_CYCLE_1)
	s_lshl_b64 s[0:1], s[0:1], 3
	s_add_u32 s0, s2, s0
	s_addc_u32 s1, s3, s1
	s_add_i32 s14, s13, -1
	s_load_b64 s[0:1], s[0:1], 0x0
	v_fmac_f32_e32 v5, 0x4f800000, v4
	s_sub_i32 s6, 0, s20
	s_waitcnt lgkmcnt(0)
	v_mov_b32_e32 v8, s0
	s_delay_alu instid0(VALU_DEP_2) | instskip(SKIP_2) | instid1(VALU_DEP_2)
	v_rcp_f32_e32 v4, v5
	v_cvt_f32_u32_e32 v5, s20
	v_mov_b32_e32 v7, s1
	v_rcp_iflag_f32_e32 v5, v5
	s_waitcnt_depctr 0xfff
	v_mul_f32_e32 v4, 0x5f7ffffc, v4
	s_delay_alu instid0(VALU_DEP_1) | instskip(SKIP_1) | instid1(VALU_DEP_2)
	v_mul_f32_e32 v6, 0x2f800000, v4
	v_mul_f32_e32 v9, 0x4f7ffffe, v5
	v_trunc_f32_e32 v6, v6
	s_delay_alu instid0(VALU_DEP_1) | instskip(SKIP_1) | instid1(VALU_DEP_4)
	v_fmac_f32_e32 v4, 0xcf800000, v6
	v_cvt_u32_f32_e32 v5, v6
	v_cvt_u32_f32_e32 v6, v9
	s_delay_alu instid0(VALU_DEP_3)
	v_cvt_u32_f32_e32 v4, v4
.LBB54_9:                               ; =>This Inner Loop Header: Depth=1
	s_mul_hi_i32 s13, s14, s7
	s_mul_i32 s4, s14, s7
	s_cmp_lg_u64 s[12:13], 0
	s_mov_b32 s5, -1
                                        ; implicit-def: $sgpr0_sgpr1
	s_cbranch_scc0 .LBB54_11
; %bb.10:                               ;   in Loop: Header=BB54_9 Depth=1
	v_readfirstlane_b32 s0, v4
	v_readfirstlane_b32 s1, v5
	s_sub_u32 s5, 0, s20
	s_subb_u32 s15, 0, 0
	s_delay_alu instid0(VALU_DEP_2) | instskip(NEXT) | instid1(VALU_DEP_1)
	s_mul_hi_u32 s21, s5, s0
	s_mul_i32 s22, s5, s1
	s_mul_i32 s23, s15, s0
	s_add_i32 s21, s21, s22
	s_mul_i32 s22, s5, s0
	s_add_i32 s21, s21, s23
	s_mul_hi_u32 s23, s0, s22
	s_mul_i32 s24, s0, s21
	s_mul_hi_u32 s0, s0, s21
	s_add_u32 s23, s23, s24
	s_mul_i32 s25, s1, s22
	s_addc_u32 s0, 0, s0
	s_mul_hi_u32 s22, s1, s22
	s_mul_hi_u32 s24, s1, s21
	s_add_u32 s23, s23, s25
	s_addc_u32 s0, s0, s22
	s_mul_i32 s21, s1, s21
	s_addc_u32 s22, s24, 0
	s_add_u32 s0, s0, s21
	s_addc_u32 s21, 0, s22
	v_add_co_u32 v9, s0, v4, s0
	s_delay_alu instid0(VALU_DEP_1) | instskip(SKIP_1) | instid1(VALU_DEP_1)
	s_cmp_lg_u32 s0, 0
	s_addc_u32 s1, s1, s21
	v_readfirstlane_b32 s0, v9
	s_mul_i32 s21, s5, s1
	s_delay_alu instid0(VALU_DEP_1)
	s_mul_hi_u32 s22, s5, s0
	s_mul_i32 s15, s15, s0
	s_add_i32 s21, s22, s21
	s_mul_i32 s5, s5, s0
	s_add_i32 s21, s21, s15
	s_mul_hi_u32 s15, s1, s5
	s_mul_i32 s23, s1, s5
	s_mul_i32 s24, s0, s21
	s_mul_hi_u32 s5, s0, s5
	s_mul_hi_u32 s0, s0, s21
	s_add_u32 s5, s5, s24
	s_addc_u32 s0, 0, s0
	s_mul_hi_u32 s22, s1, s21
	s_add_u32 s5, s5, s23
	s_addc_u32 s0, s0, s15
	s_mul_i32 s5, s1, s21
	s_addc_u32 s15, s22, 0
	s_add_u32 s0, s0, s5
	s_addc_u32 s5, 0, s15
	v_add_co_u32 v9, s0, v9, s0
	s_delay_alu instid0(VALU_DEP_1) | instskip(SKIP_2) | instid1(SALU_CYCLE_1)
	s_cmp_lg_u32 s0, 0
	s_addc_u32 s5, s1, s5
	s_ashr_i32 s0, s13, 31
	s_add_u32 s22, s4, s0
	s_addc_u32 s23, s13, s0
	v_readfirstlane_b32 s13, v9
	s_mov_b32 s1, s0
	s_delay_alu instid0(SALU_CYCLE_1) | instskip(NEXT) | instid1(SALU_CYCLE_1)
	s_xor_b64 s[22:23], s[22:23], s[0:1]
	s_mul_i32 s15, s22, s5
	s_delay_alu instid0(VALU_DEP_1)
	s_mul_hi_u32 s21, s22, s13
	s_mul_hi_u32 s24, s22, s5
	s_add_u32 s15, s21, s15
	s_mul_i32 s25, s23, s13
	s_addc_u32 s21, 0, s24
	s_mul_hi_u32 s13, s23, s13
	s_mul_hi_u32 s24, s23, s5
	s_add_u32 s15, s15, s25
	s_addc_u32 s13, s21, s13
	s_mul_i32 s5, s23, s5
	s_addc_u32 s15, s24, 0
	s_add_u32 s5, s13, s5
	s_addc_u32 s13, 0, s15
	s_mul_i32 s21, s20, s5
	s_add_u32 s15, s5, 1
	v_sub_co_u32 v9, s21, s22, s21
	s_addc_u32 s22, s13, 0
	s_mul_i32 s25, s20, s13
	s_mul_hi_u32 s27, s20, s5
	s_delay_alu instid0(VALU_DEP_1)
	v_sub_co_u32 v10, s26, v9, s20
	s_add_u32 s24, s5, 2
	s_addc_u32 s28, s13, 0
	s_add_i32 s27, s27, s25
	s_cmp_lg_u32 s21, 0
	v_readfirstlane_b32 s21, v10
	s_subb_u32 s23, s23, s27
	s_cmp_lg_u32 s26, 0
	s_subb_u32 s25, s23, 0
	s_delay_alu instid0(VALU_DEP_1) | instskip(SKIP_4) | instid1(SALU_CYCLE_1)
	s_cmp_ge_u32 s21, s20
	s_cselect_b32 s21, -1, 0
	s_cmp_eq_u32 s25, 0
	v_readfirstlane_b32 s25, v9
	s_cselect_b32 s21, s21, -1
	s_cmp_lg_u32 s21, 0
	s_cselect_b32 s15, s24, s15
	s_cselect_b32 s21, s28, s22
	s_cmp_ge_u32 s25, s20
	s_cselect_b32 s22, -1, 0
	s_cmp_eq_u32 s23, 0
	s_cselect_b32 s22, s22, -1
	s_delay_alu instid0(SALU_CYCLE_1) | instskip(SKIP_4) | instid1(SALU_CYCLE_1)
	s_cmp_lg_u32 s22, 0
	s_cselect_b32 s23, s21, s13
	s_cselect_b32 s22, s15, s5
	s_mov_b32 s5, 0
	s_xor_b64 s[22:23], s[22:23], s[0:1]
	s_sub_u32 s0, s22, s0
.LBB54_11:                              ;   in Loop: Header=BB54_9 Depth=1
	s_and_not1_b32 vcc_lo, exec_lo, s5
	s_cbranch_vccnz .LBB54_13
; %bb.12:                               ;   in Loop: Header=BB54_9 Depth=1
	v_readfirstlane_b32 s0, v6
	s_delay_alu instid0(VALU_DEP_1) | instskip(NEXT) | instid1(SALU_CYCLE_1)
	s_mul_i32 s1, s6, s0
	s_mul_hi_u32 s1, s0, s1
	s_delay_alu instid0(SALU_CYCLE_1) | instskip(NEXT) | instid1(SALU_CYCLE_1)
	s_add_i32 s0, s0, s1
	s_mul_hi_u32 s0, s4, s0
	s_delay_alu instid0(SALU_CYCLE_1) | instskip(NEXT) | instid1(SALU_CYCLE_1)
	s_mul_i32 s1, s0, s20
	s_sub_i32 s1, s4, s1
	s_add_i32 s4, s0, 1
	s_sub_i32 s5, s1, s20
	s_cmp_ge_u32 s1, s20
	s_cselect_b32 s0, s4, s0
	s_cselect_b32 s1, s5, s1
	s_add_i32 s4, s0, 1
	s_cmp_ge_u32 s1, s20
	s_cselect_b32 s0, s4, s0
.LBB54_13:                              ;   in Loop: Header=BB54_9 Depth=1
	s_delay_alu instid0(SALU_CYCLE_1)
	s_cmp_lg_u32 s16, s0
	s_cbranch_scc0 .LBB54_17
; %bb.14:                               ;   in Loop: Header=BB54_9 Depth=1
	s_add_i32 s1, s14, s20
	s_mov_b32 s5, s12
	s_lshl_b32 s1, s1, 2
	s_mov_b32 s15, s16
	s_add_i32 s4, s1, s17
	s_mul_hi_u32 s1, s0, s8
	s_lshl_b64 s[4:5], s[4:5], 3
	s_delay_alu instid0(SALU_CYCLE_1) | instskip(SKIP_2) | instid1(SALU_CYCLE_1)
	s_add_u32 s4, s2, s4
	s_addc_u32 s5, s3, s5
	s_add_i32 s1, s1, s0
	s_lshr_b32 s1, s1, s9
	s_delay_alu instid0(SALU_CYCLE_1) | instskip(NEXT) | instid1(SALU_CYCLE_1)
	s_mul_i32 s13, s1, s10
	s_cmp_eq_u32 s13, s0
	s_cselect_b32 s13, -1, 0
	s_cmp_lt_u32 s1, s11
	s_cselect_b32 s1, -1, 0
	s_delay_alu instid0(SALU_CYCLE_1)
	s_or_b32 s1, s1, s13
	s_mov_b32 s13, -1
	s_and_b32 vcc_lo, exec_lo, s1
	s_mov_b32 s1, s14
	s_cbranch_vccnz .LBB54_16
; %bb.15:                               ;   in Loop: Header=BB54_9 Depth=1
	s_add_i32 s1, s14, -1
	s_mov_b32 s13, 0
	s_mov_b32 s15, s0
.LBB54_16:                              ;   in Loop: Header=BB54_9 Depth=1
	v_lshl_add_u32 v9, s14, 10, v0
	s_load_b64 s[4:5], s[4:5], 0x0
	s_delay_alu instid0(VALU_DEP_1) | instskip(NEXT) | instid1(VALU_DEP_1)
	v_ashrrev_i32_e32 v10, 31, v9
	v_lshlrev_b64 v[9:10], 2, v[9:10]
	s_delay_alu instid0(VALU_DEP_1) | instskip(NEXT) | instid1(VALU_DEP_2)
	v_add_co_u32 v9, vcc_lo, s18, v9
	v_add_co_ci_u32_e32 v10, vcc_lo, s19, v10, vcc_lo
	s_waitcnt lgkmcnt(0)
	v_max_f32_e64 v11, s4, s4
	global_load_b32 v10, v[9:10], off
	v_max_f32_e32 v9, v8, v8
	s_delay_alu instid0(VALU_DEP_1) | instskip(NEXT) | instid1(VALU_DEP_1)
	v_max_f32_e32 v9, v9, v11
	v_sub_f32_e32 v12, v8, v9
	s_delay_alu instid0(VALU_DEP_1) | instskip(NEXT) | instid1(VALU_DEP_1)
	v_dual_mul_f32 v14, 0x3fb8aa3b, v12 :: v_dual_sub_f32 v11, s4, v9
	v_rndne_f32_e32 v18, v14
	s_delay_alu instid0(VALU_DEP_2) | instskip(SKIP_2) | instid1(VALU_DEP_4)
	v_mul_f32_e32 v13, 0x3fb8aa3b, v11
	v_fma_f32 v17, 0x3fb8aa3b, v12, -v14
	v_cmp_ngt_f32_e32 vcc_lo, 0xc2ce8ed0, v11
	v_sub_f32_e32 v14, v14, v18
	s_delay_alu instid0(VALU_DEP_4) | instskip(SKIP_2) | instid1(VALU_DEP_3)
	v_fma_f32 v15, 0x3fb8aa3b, v11, -v13
	v_rndne_f32_e32 v16, v13
	v_fmac_f32_e32 v17, 0x32a5705f, v12
	v_fmac_f32_e32 v15, 0x32a5705f, v11
	s_delay_alu instid0(VALU_DEP_2) | instskip(NEXT) | instid1(VALU_DEP_1)
	v_dual_sub_f32 v13, v13, v16 :: v_dual_add_f32 v14, v14, v17
	v_add_f32_e32 v13, v13, v15
	s_delay_alu instid0(VALU_DEP_2) | instskip(SKIP_2) | instid1(VALU_DEP_3)
	v_exp_f32_e32 v14, v14
	v_cvt_i32_f32_e32 v15, v16
	v_cvt_i32_f32_e32 v16, v18
	v_exp_f32_e32 v13, v13
	s_waitcnt_depctr 0xfff
	v_ldexp_f32 v14, v14, v16
	v_ldexp_f32 v13, v13, v15
	s_delay_alu instid0(VALU_DEP_1) | instskip(SKIP_1) | instid1(VALU_DEP_4)
	v_cndmask_b32_e32 v13, 0, v13, vcc_lo
	v_cmp_ngt_f32_e32 vcc_lo, 0xc2ce8ed0, v12
	v_cndmask_b32_e32 v14, 0, v14, vcc_lo
	v_cmp_nlt_f32_e32 vcc_lo, 0x42b17218, v11
	s_delay_alu instid0(VALU_DEP_4) | instskip(SKIP_1) | instid1(VALU_DEP_4)
	v_cndmask_b32_e32 v13, 0x7f800000, v13, vcc_lo
	v_cmp_nlt_f32_e32 vcc_lo, 0x42b17218, v12
	v_cndmask_b32_e32 v14, 0x7f800000, v14, vcc_lo
	v_cmp_le_f32_e32 vcc_lo, 0xc1a00000, v11
	s_delay_alu instid0(VALU_DEP_4) | instskip(SKIP_1) | instid1(VALU_DEP_4)
	v_cndmask_b32_e32 v11, 0, v13, vcc_lo
	v_cmp_le_f32_e32 vcc_lo, 0xc1a00000, v12
	v_cndmask_b32_e32 v12, 0, v14, vcc_lo
	s_waitcnt vmcnt(0)
	s_delay_alu instid0(VALU_DEP_3) | instskip(NEXT) | instid1(VALU_DEP_1)
	v_mul_f32_e32 v10, v10, v11
	v_dual_mul_f32 v11, s5, v11 :: v_dual_fmac_f32 v10, v3, v12
	s_delay_alu instid0(VALU_DEP_1)
	v_fmac_f32_e32 v11, v7, v12
	s_cbranch_execz .LBB54_18
	s_branch .LBB54_19
.LBB54_17:                              ;   in Loop: Header=BB54_9 Depth=1
                                        ; implicit-def: $sgpr13
                                        ; implicit-def: $vgpr10
                                        ; implicit-def: $vgpr9
                                        ; implicit-def: $vgpr11
                                        ; implicit-def: $sgpr1
                                        ; implicit-def: $sgpr15
.LBB54_18:                              ;   in Loop: Header=BB54_9 Depth=1
	v_mov_b32_e32 v11, v7
	s_waitcnt vmcnt(0)
	v_dual_mov_b32 v9, v8 :: v_dual_mov_b32 v10, v3
	s_add_i32 s1, s14, -1
	s_mov_b32 s13, 0
	s_mov_b32 s15, s16
.LBB54_19:                              ;   in Loop: Header=BB54_9 Depth=1
	s_and_not1_b32 vcc_lo, exec_lo, s13
	s_cbranch_vccz .LBB54_23
; %bb.20:                               ;   in Loop: Header=BB54_9 Depth=1
	v_dual_mov_b32 v7, v11 :: v_dual_mov_b32 v8, v9
	s_waitcnt vmcnt(0)
	v_mov_b32_e32 v3, v10
	s_mov_b32 s16, s15
	s_mov_b32 s14, s1
	s_branch .LBB54_9
.LBB54_21:
                                        ; implicit-def: $sgpr16_sgpr17
	s_load_b128 s[8:11], s[0:1], 0x44
	s_branch .LBB54_2
.LBB54_22:
                                        ; implicit-def: $sgpr18_sgpr19
	s_branch .LBB54_5
.LBB54_23:
	v_div_scale_f32 v0, null, v11, v11, v10
	s_waitcnt vmcnt(0)
	s_delay_alu instid0(VALU_DEP_1) | instskip(SKIP_2) | instid1(VALU_DEP_1)
	v_rcp_f32_e32 v3, v0
	s_waitcnt_depctr 0xfff
	v_fma_f32 v4, -v0, v3, 1.0
	v_fmac_f32_e32 v3, v4, v3
	v_div_scale_f32 v4, vcc_lo, v10, v11, v10
	s_delay_alu instid0(VALU_DEP_1) | instskip(NEXT) | instid1(VALU_DEP_1)
	v_mul_f32_e32 v5, v4, v3
	v_fma_f32 v6, -v0, v5, v4
	s_delay_alu instid0(VALU_DEP_1) | instskip(NEXT) | instid1(VALU_DEP_1)
	v_fmac_f32_e32 v5, v6, v3
	v_fma_f32 v0, -v0, v5, v4
	s_delay_alu instid0(VALU_DEP_1) | instskip(NEXT) | instid1(VALU_DEP_1)
	v_div_fmas_f32 v0, v0, v3, v5
	v_div_fixup_f32 v0, v0, v11, v10
	global_store_b32 v[1:2], v0, off
.LBB54_24:
	s_nop 0
	s_sendmsg sendmsg(MSG_DEALLOC_VGPRS)
	s_endpgm
	.section	.rodata,"a",@progbits
	.p2align	6, 0x0
	.amdhsa_kernel _ZL33flash_attn_stream_k_fixup_generalILi256ELi4ELi1EEvPfPK15HIP_vector_typeIfLj2EEiiiiS1_IjLj3EES5_S5_S5_
		.amdhsa_group_segment_fixed_size 0
		.amdhsa_private_segment_fixed_size 0
		.amdhsa_kernarg_size 336
		.amdhsa_user_sgpr_count 13
		.amdhsa_user_sgpr_dispatch_ptr 0
		.amdhsa_user_sgpr_queue_ptr 0
		.amdhsa_user_sgpr_kernarg_segment_ptr 1
		.amdhsa_user_sgpr_dispatch_id 0
		.amdhsa_user_sgpr_private_segment_size 0
		.amdhsa_wavefront_size32 1
		.amdhsa_uses_dynamic_stack 0
		.amdhsa_enable_private_segment 0
		.amdhsa_system_sgpr_workgroup_id_x 1
		.amdhsa_system_sgpr_workgroup_id_y 1
		.amdhsa_system_sgpr_workgroup_id_z 1
		.amdhsa_system_sgpr_workgroup_info 0
		.amdhsa_system_vgpr_workitem_id 0
		.amdhsa_next_free_vgpr 19
		.amdhsa_next_free_sgpr 32
		.amdhsa_reserve_vcc 1
		.amdhsa_float_round_mode_32 0
		.amdhsa_float_round_mode_16_64 0
		.amdhsa_float_denorm_mode_32 3
		.amdhsa_float_denorm_mode_16_64 3
		.amdhsa_dx10_clamp 1
		.amdhsa_ieee_mode 1
		.amdhsa_fp16_overflow 0
		.amdhsa_workgroup_processor_mode 1
		.amdhsa_memory_ordered 1
		.amdhsa_forward_progress 0
		.amdhsa_shared_vgpr_count 0
		.amdhsa_exception_fp_ieee_invalid_op 0
		.amdhsa_exception_fp_denorm_src 0
		.amdhsa_exception_fp_ieee_div_zero 0
		.amdhsa_exception_fp_ieee_overflow 0
		.amdhsa_exception_fp_ieee_underflow 0
		.amdhsa_exception_fp_ieee_inexact 0
		.amdhsa_exception_int_div_zero 0
	.end_amdhsa_kernel
	.section	.text._ZL33flash_attn_stream_k_fixup_generalILi256ELi4ELi1EEvPfPK15HIP_vector_typeIfLj2EEiiiiS1_IjLj3EES5_S5_S5_,"axG",@progbits,_ZL33flash_attn_stream_k_fixup_generalILi256ELi4ELi1EEvPfPK15HIP_vector_typeIfLj2EEiiiiS1_IjLj3EES5_S5_S5_,comdat
.Lfunc_end54:
	.size	_ZL33flash_attn_stream_k_fixup_generalILi256ELi4ELi1EEvPfPK15HIP_vector_typeIfLj2EEiiiiS1_IjLj3EES5_S5_S5_, .Lfunc_end54-_ZL33flash_attn_stream_k_fixup_generalILi256ELi4ELi1EEvPfPK15HIP_vector_typeIfLj2EEiiiiS1_IjLj3EES5_S5_S5_
                                        ; -- End function
	.section	.AMDGPU.csdata,"",@progbits
; Kernel info:
; codeLenInByte = 3220
; NumSgprs: 34
; NumVgprs: 19
; ScratchSize: 0
; MemoryBound: 0
; FloatMode: 240
; IeeeMode: 1
; LDSByteSize: 0 bytes/workgroup (compile time only)
; SGPRBlocks: 4
; VGPRBlocks: 2
; NumSGPRsForWavesPerEU: 34
; NumVGPRsForWavesPerEU: 19
; Occupancy: 16
; WaveLimiterHint : 0
; COMPUTE_PGM_RSRC2:SCRATCH_EN: 0
; COMPUTE_PGM_RSRC2:USER_SGPR: 13
; COMPUTE_PGM_RSRC2:TRAP_HANDLER: 0
; COMPUTE_PGM_RSRC2:TGID_X_EN: 1
; COMPUTE_PGM_RSRC2:TGID_Y_EN: 1
; COMPUTE_PGM_RSRC2:TGID_Z_EN: 1
; COMPUTE_PGM_RSRC2:TIDIG_COMP_CNT: 0
	.section	.text._ZL15flash_attn_tileILi256ELi256ELi2ELi1ELb0EEvPKcS1_S1_S1_S1_PKiPfP15HIP_vector_typeIfLj2EEffffjfiS5_IjLj3EEiiiiiiiiiiiliiliiiiil,"axG",@progbits,_ZL15flash_attn_tileILi256ELi256ELi2ELi1ELb0EEvPKcS1_S1_S1_S1_PKiPfP15HIP_vector_typeIfLj2EEffffjfiS5_IjLj3EEiiiiiiiiiiiliiliiiiil,comdat
	.globl	_ZL15flash_attn_tileILi256ELi256ELi2ELi1ELb0EEvPKcS1_S1_S1_S1_PKiPfP15HIP_vector_typeIfLj2EEffffjfiS5_IjLj3EEiiiiiiiiiiiliiliiiiil ; -- Begin function _ZL15flash_attn_tileILi256ELi256ELi2ELi1ELb0EEvPKcS1_S1_S1_S1_PKiPfP15HIP_vector_typeIfLj2EEffffjfiS5_IjLj3EEiiiiiiiiiiiliiliiiiil
	.p2align	8
	.type	_ZL15flash_attn_tileILi256ELi256ELi2ELi1ELb0EEvPKcS1_S1_S1_S1_PKiPfP15HIP_vector_typeIfLj2EEffffjfiS5_IjLj3EEiiiiiiiiiiiliiliiiiil,@function
_ZL15flash_attn_tileILi256ELi256ELi2ELi1ELb0EEvPKcS1_S1_S1_S1_PKiPfP15HIP_vector_typeIfLj2EEffffjfiS5_IjLj3EEiiiiiiiiiiiliiliiiiil: ; @_ZL15flash_attn_tileILi256ELi256ELi2ELi1ELb0EEvPKcS1_S1_S1_S1_PKiPfP15HIP_vector_typeIfLj2EEffffjfiS5_IjLj3EEiiiiiiiiiiiliiliiiiil
; %bb.0:
	s_clause 0x3
	s_load_b128 s[8:11], s[0:1], 0x5c
	s_load_b64 s[42:43], s[0:1], 0x80
	s_load_b512 s[16:31], s[0:1], 0x0
	s_load_b64 s[44:45], s[0:1], 0xb8
	s_mov_b64 s[40:41], 0
	s_waitcnt lgkmcnt(0)
	v_cvt_f32_u32_e32 v1, s11
	s_sub_i32 s3, 0, s11
	s_delay_alu instid0(VALU_DEP_1) | instskip(SKIP_2) | instid1(VALU_DEP_1)
	v_rcp_iflag_f32_e32 v1, v1
	s_waitcnt_depctr 0xfff
	v_mul_f32_e32 v1, 0x4f7ffffe, v1
	v_cvt_u32_f32_e32 v1, v1
	s_delay_alu instid0(VALU_DEP_1) | instskip(NEXT) | instid1(VALU_DEP_1)
	v_readfirstlane_b32 s2, v1
	s_mul_i32 s3, s3, s2
	s_delay_alu instid0(SALU_CYCLE_1) | instskip(NEXT) | instid1(SALU_CYCLE_1)
	s_mul_hi_u32 s3, s2, s3
	s_add_i32 s2, s2, s3
	s_delay_alu instid0(SALU_CYCLE_1) | instskip(NEXT) | instid1(SALU_CYCLE_1)
	s_mul_hi_u32 s2, s15, s2
	s_mul_i32 s3, s2, s11
	s_add_i32 s4, s2, 1
	s_sub_i32 s3, s15, s3
	s_delay_alu instid0(SALU_CYCLE_1)
	s_sub_i32 s5, s3, s11
	s_cmp_ge_u32 s3, s11
	s_cselect_b32 s2, s4, s2
	s_cselect_b32 s3, s5, s3
	s_add_i32 s4, s2, 1
	s_cmp_ge_u32 s3, s11
	s_cselect_b32 s12, s4, s2
	s_abs_i32 s2, s43
	s_abs_i32 s6, s11
	v_cvt_f32_u32_e32 v1, s2
	s_sub_i32 s4, 0, s2
	s_mul_i32 s5, s12, s11
	s_delay_alu instid0(SALU_CYCLE_1) | instskip(NEXT) | instid1(VALU_DEP_1)
	s_sub_i32 s34, s15, s5
	v_rcp_iflag_f32_e32 v1, v1
	s_waitcnt_depctr 0xfff
	v_mul_f32_e32 v1, 0x4f7ffffe, v1
	s_delay_alu instid0(VALU_DEP_1) | instskip(NEXT) | instid1(VALU_DEP_1)
	v_cvt_u32_f32_e32 v1, v1
	v_readfirstlane_b32 s3, v1
	s_delay_alu instid0(VALU_DEP_1) | instskip(NEXT) | instid1(SALU_CYCLE_1)
	s_mul_i32 s4, s4, s3
	s_mul_hi_u32 s4, s3, s4
	s_delay_alu instid0(SALU_CYCLE_1) | instskip(SKIP_4) | instid1(SALU_CYCLE_1)
	s_add_i32 s3, s3, s4
	s_xor_b32 s4, s11, s43
	s_mul_hi_u32 s3, s6, s3
	s_ashr_i32 s4, s4, 31
	s_mul_i32 s5, s3, s2
	s_sub_i32 s5, s6, s5
	s_add_i32 s6, s3, 1
	s_sub_i32 s7, s5, s2
	s_cmp_ge_u32 s5, s2
	s_cselect_b32 s3, s6, s3
	s_cselect_b32 s5, s7, s5
	s_add_i32 s6, s3, 1
	s_cmp_ge_u32 s5, s2
	s_cselect_b32 s2, s6, s3
	s_abs_i32 s33, s34
	s_xor_b32 s2, s2, s4
	s_delay_alu instid0(SALU_CYCLE_1) | instskip(NEXT) | instid1(SALU_CYCLE_1)
	s_sub_i32 s5, s2, s4
	s_abs_i32 s15, s5
	s_delay_alu instid0(SALU_CYCLE_1) | instskip(SKIP_1) | instid1(VALU_DEP_1)
	v_cvt_f32_u32_e32 v1, s15
	s_sub_i32 s3, 0, s15
	v_rcp_iflag_f32_e32 v1, v1
	s_waitcnt_depctr 0xfff
	v_mul_f32_e32 v1, 0x4f7ffffe, v1
	s_delay_alu instid0(VALU_DEP_1) | instskip(NEXT) | instid1(VALU_DEP_1)
	v_cvt_u32_f32_e32 v1, v1
	v_readfirstlane_b32 s2, v1
	s_delay_alu instid0(VALU_DEP_1) | instskip(NEXT) | instid1(SALU_CYCLE_1)
	s_mul_i32 s3, s3, s2
	s_mul_hi_u32 s3, s2, s3
	s_delay_alu instid0(SALU_CYCLE_1)
	s_add_i32 s2, s2, s3
	s_cmp_eq_u64 s[22:23], 0
	s_cbranch_scc1 .LBB55_2
; %bb.1:
	s_abs_i32 s3, s44
	s_abs_i32 s35, s12
	v_cvt_f32_u32_e32 v1, s3
	s_sub_i32 s6, 0, s3
	s_delay_alu instid0(VALU_DEP_1) | instskip(SKIP_2) | instid1(VALU_DEP_1)
	v_rcp_iflag_f32_e32 v1, v1
	s_waitcnt_depctr 0xfff
	v_mul_f32_e32 v1, 0x4f7ffffe, v1
	v_cvt_u32_f32_e32 v1, v1
	s_delay_alu instid0(VALU_DEP_1) | instskip(NEXT) | instid1(VALU_DEP_1)
	v_readfirstlane_b32 s4, v1
	s_mul_i32 s6, s6, s4
	s_delay_alu instid0(SALU_CYCLE_1) | instskip(NEXT) | instid1(SALU_CYCLE_1)
	s_mul_hi_u32 s6, s4, s6
	s_add_i32 s4, s4, s6
	s_load_b64 s[6:7], s[0:1], 0xc8
	s_mul_hi_u32 s4, s35, s4
	s_delay_alu instid0(SALU_CYCLE_1) | instskip(NEXT) | instid1(SALU_CYCLE_1)
	s_mul_i32 s4, s4, s3
	s_sub_i32 s4, s35, s4
	s_ashr_i32 s35, s12, 31
	s_sub_i32 s36, s4, s3
	s_cmp_ge_u32 s4, s3
	s_cselect_b32 s4, s36, s4
	s_delay_alu instid0(SALU_CYCLE_1) | instskip(SKIP_2) | instid1(SALU_CYCLE_1)
	s_sub_i32 s36, s4, s3
	s_cmp_ge_u32 s4, s3
	s_cselect_b32 s3, s36, s4
	s_xor_b32 s3, s3, s35
	s_delay_alu instid0(SALU_CYCLE_1)
	s_sub_i32 s3, s3, s35
	s_waitcnt lgkmcnt(0)
	s_mul_i32 s4, s3, s7
	s_mul_hi_u32 s7, s3, s6
	s_ashr_i32 s35, s3, 31
	s_add_i32 s4, s7, s4
	s_mul_i32 s35, s35, s6
	s_mul_i32 s3, s3, s6
	s_add_i32 s4, s4, s35
	s_add_u32 s40, s22, s3
	s_addc_u32 s41, s23, s4
.LBB55_2:
	s_clause 0x1
	s_load_b128 s[36:39], s[0:1], 0x40
	s_load_b32 s3, s[0:1], 0x50
	v_mov_b32_e32 v28, 1.0
	s_mul_hi_u32 s22, s33, s2
	s_waitcnt lgkmcnt(0)
	v_cmp_le_f32_e64 s4, s37, 0
	s_delay_alu instid0(VALU_DEP_1)
	s_and_b32 vcc_lo, exec_lo, s4
	s_cbranch_vccnz .LBB55_4
; %bb.3:
	s_sub_i32 s2, s34, s3
	s_add_i32 s4, s34, 1
	s_lshl_b32 s2, s2, 1
	v_mov_b32_e32 v1, s38
	s_or_b32 s2, s2, 1
	s_cmp_lt_u32 s34, s3
	s_cselect_b32 vcc_lo, -1, 0
	s_delay_alu instid0(VALU_DEP_1)
	v_cndmask_b32_e32 v3, s39, v1, vcc_lo
	s_and_b32 s3, vcc_lo, exec_lo
	s_cselect_b32 s2, s4, s2
	s_mov_b32 s3, 0x3e76c4e1
	v_cvt_f32_i32_e32 v1, s2
	v_cmp_neq_f32_e32 vcc_lo, 1.0, v3
	s_delay_alu instid0(VALU_DEP_2) | instskip(NEXT) | instid1(VALU_DEP_1)
	v_cndmask_b32_e32 v4, 1.0, v1, vcc_lo
	v_cmp_eq_f32_e32 vcc_lo, 0, v4
	v_cndmask_b32_e64 v5, |v3|, 1.0, vcc_lo
	s_delay_alu instid0(VALU_DEP_1) | instskip(NEXT) | instid1(VALU_DEP_1)
	v_frexp_mant_f32_e32 v1, v5
	v_cmp_gt_f32_e64 s2, 0x3f2aaaab, v1
	s_delay_alu instid0(VALU_DEP_1) | instskip(NEXT) | instid1(VALU_DEP_1)
	v_cndmask_b32_e64 v2, 1.0, 2.0, s2
	v_mul_f32_e32 v1, v1, v2
	s_delay_alu instid0(VALU_DEP_1) | instskip(SKIP_1) | instid1(VALU_DEP_2)
	v_add_f32_e32 v2, 1.0, v1
	v_add_f32_e32 v7, -1.0, v1
	v_rcp_f32_e32 v6, v2
	s_waitcnt_depctr 0xfff
	v_mul_f32_e32 v8, v7, v6
	s_delay_alu instid0(VALU_DEP_1) | instskip(NEXT) | instid1(VALU_DEP_1)
	v_dual_add_f32 v9, -1.0, v2 :: v_dual_mul_f32 v10, v2, v8
	v_sub_f32_e32 v1, v1, v9
	v_cndmask_b32_e64 v3, v3, 1.0, vcc_lo
	s_delay_alu instid0(VALU_DEP_3) | instskip(NEXT) | instid1(VALU_DEP_2)
	v_fma_f32 v2, v8, v2, -v10
	v_cmp_eq_f32_e64 s4, 0, v3
	s_delay_alu instid0(VALU_DEP_2) | instskip(NEXT) | instid1(VALU_DEP_1)
	v_fmac_f32_e32 v2, v8, v1
	v_add_f32_e32 v1, v10, v2
	s_delay_alu instid0(VALU_DEP_1) | instskip(NEXT) | instid1(VALU_DEP_1)
	v_dual_sub_f32 v10, v1, v10 :: v_dual_sub_f32 v9, v7, v1
	v_dual_sub_f32 v2, v10, v2 :: v_dual_sub_f32 v7, v7, v9
	s_delay_alu instid0(VALU_DEP_1) | instskip(NEXT) | instid1(VALU_DEP_1)
	v_sub_f32_e32 v1, v7, v1
	v_add_f32_e32 v1, v2, v1
	s_delay_alu instid0(VALU_DEP_1) | instskip(NEXT) | instid1(VALU_DEP_1)
	v_add_f32_e32 v1, v9, v1
	v_mul_f32_e32 v1, v6, v1
	s_delay_alu instid0(VALU_DEP_1) | instskip(NEXT) | instid1(VALU_DEP_1)
	v_add_f32_e32 v6, v8, v1
	v_sub_f32_e32 v2, v6, v8
	v_mul_f32_e32 v7, v6, v6
	s_delay_alu instid0(VALU_DEP_2) | instskip(NEXT) | instid1(VALU_DEP_2)
	v_sub_f32_e32 v8, v1, v2
	v_fma_f32 v9, v6, v6, -v7
	s_delay_alu instid0(VALU_DEP_2) | instskip(NEXT) | instid1(VALU_DEP_1)
	v_add_f32_e32 v1, v8, v8
	v_fmac_f32_e32 v9, v6, v1
	v_cvt_f64_f32_e32 v[1:2], v5
	s_delay_alu instid0(VALU_DEP_2) | instskip(NEXT) | instid1(VALU_DEP_1)
	v_add_f32_e32 v10, v7, v9
	v_fmaak_f32 v11, s3, v10, 0x3e91f4c4
	v_sub_f32_e32 v7, v10, v7
	v_mul_f32_e32 v14, v6, v10
	s_delay_alu instid0(VALU_DEP_3) | instskip(NEXT) | instid1(VALU_DEP_3)
	v_fmaak_f32 v11, v10, v11, 0x3ecccdef
	v_sub_f32_e32 v7, v9, v7
	s_delay_alu instid0(VALU_DEP_2) | instskip(NEXT) | instid1(VALU_DEP_1)
	v_mul_f32_e32 v12, v10, v11
	v_fma_f32 v9, v10, v11, -v12
	s_delay_alu instid0(VALU_DEP_1) | instskip(NEXT) | instid1(VALU_DEP_1)
	v_fmac_f32_e32 v9, v7, v11
	v_add_f32_e32 v11, v12, v9
	v_frexp_exp_i32_f64_e32 v1, v[1:2]
	s_delay_alu instid0(VALU_DEP_2) | instskip(NEXT) | instid1(VALU_DEP_1)
	v_sub_f32_e32 v12, v11, v12
	v_sub_f32_e32 v2, v9, v12
	v_fma_f32 v12, v10, v6, -v14
	s_delay_alu instid0(VALU_DEP_2) | instskip(NEXT) | instid1(VALU_DEP_2)
	v_add_f32_e32 v2, 0x31739010, v2
	v_dual_add_f32 v13, 0x3f2aaaaa, v11 :: v_dual_fmac_f32 v12, v10, v8
	v_ldexp_f32 v8, v8, 1
	s_delay_alu instid0(VALU_DEP_2) | instskip(NEXT) | instid1(VALU_DEP_1)
	v_dual_add_f32 v9, 0xbf2aaaaa, v13 :: v_dual_fmac_f32 v12, v7, v6
	v_sub_f32_e32 v9, v11, v9
	s_delay_alu instid0(VALU_DEP_1) | instskip(NEXT) | instid1(VALU_DEP_3)
	v_add_f32_e32 v2, v2, v9
	v_add_f32_e32 v9, v14, v12
	s_delay_alu instid0(VALU_DEP_2) | instskip(NEXT) | instid1(VALU_DEP_1)
	v_add_f32_e32 v7, v13, v2
	v_sub_f32_e32 v10, v13, v7
	s_delay_alu instid0(VALU_DEP_3) | instskip(SKIP_2) | instid1(VALU_DEP_4)
	v_mul_f32_e32 v11, v9, v7
	v_sub_f32_e32 v13, v9, v14
	v_subrev_co_ci_u32_e64 v1, s2, 0, v1, s2
	v_add_f32_e32 v2, v2, v10
	s_delay_alu instid0(VALU_DEP_4) | instskip(NEXT) | instid1(VALU_DEP_4)
	v_fma_f32 v10, v9, v7, -v11
	v_sub_f32_e32 v12, v12, v13
	s_delay_alu instid0(VALU_DEP_4) | instskip(NEXT) | instid1(VALU_DEP_3)
	v_cvt_f32_i32_e32 v1, v1
	v_fmac_f32_e32 v10, v9, v2
	v_ldexp_f32 v2, v6, 1
	s_delay_alu instid0(VALU_DEP_2) | instskip(NEXT) | instid1(VALU_DEP_1)
	v_fmac_f32_e32 v10, v12, v7
	v_add_f32_e32 v6, v11, v10
	s_delay_alu instid0(VALU_DEP_1) | instskip(NEXT) | instid1(VALU_DEP_1)
	v_add_f32_e32 v7, v2, v6
	v_dual_sub_f32 v2, v7, v2 :: v_dual_sub_f32 v9, v6, v11
	s_delay_alu instid0(VALU_DEP_1) | instskip(NEXT) | instid1(VALU_DEP_2)
	v_sub_f32_e32 v2, v6, v2
	v_sub_f32_e32 v9, v10, v9
	s_delay_alu instid0(VALU_DEP_1) | instskip(NEXT) | instid1(VALU_DEP_1)
	v_add_f32_e32 v6, v8, v9
	v_dual_mul_f32 v11, 0x3f317218, v1 :: v_dual_add_f32 v2, v6, v2
	s_delay_alu instid0(VALU_DEP_1) | instskip(NEXT) | instid1(VALU_DEP_2)
	v_fma_f32 v10, 0x3f317218, v1, -v11
	v_add_f32_e32 v8, v7, v2
	s_delay_alu instid0(VALU_DEP_1) | instskip(NEXT) | instid1(VALU_DEP_1)
	v_sub_f32_e32 v7, v8, v7
	v_dual_fmamk_f32 v1, v1, 0xb102e308, v10 :: v_dual_sub_f32 v2, v2, v7
	s_delay_alu instid0(VALU_DEP_1) | instskip(NEXT) | instid1(VALU_DEP_1)
	v_add_f32_e32 v6, v11, v1
	v_add_f32_e32 v9, v6, v8
	s_delay_alu instid0(VALU_DEP_1) | instskip(NEXT) | instid1(VALU_DEP_1)
	v_dual_sub_f32 v11, v6, v11 :: v_dual_sub_f32 v10, v9, v6
	v_sub_f32_e32 v12, v9, v10
	s_delay_alu instid0(VALU_DEP_2) | instskip(NEXT) | instid1(VALU_DEP_2)
	v_sub_f32_e32 v1, v1, v11
	v_dual_sub_f32 v7, v8, v10 :: v_dual_sub_f32 v6, v6, v12
	s_delay_alu instid0(VALU_DEP_2) | instskip(NEXT) | instid1(VALU_DEP_2)
	v_add_f32_e32 v8, v1, v2
	v_add_f32_e32 v6, v7, v6
	s_delay_alu instid0(VALU_DEP_1) | instskip(NEXT) | instid1(VALU_DEP_1)
	v_add_f32_e32 v6, v8, v6
	v_dual_sub_f32 v7, v8, v1 :: v_dual_add_f32 v10, v9, v6
	s_delay_alu instid0(VALU_DEP_1) | instskip(SKIP_1) | instid1(VALU_DEP_3)
	v_sub_f32_e32 v8, v8, v7
	v_sub_f32_e32 v2, v2, v7
	;; [unrolled: 1-line block ×3, first 2 shown]
	s_delay_alu instid0(VALU_DEP_3) | instskip(NEXT) | instid1(VALU_DEP_1)
	v_sub_f32_e32 v1, v1, v8
	v_add_f32_e32 v1, v2, v1
	s_delay_alu instid0(VALU_DEP_3) | instskip(NEXT) | instid1(VALU_DEP_1)
	v_sub_f32_e32 v2, v6, v7
	v_add_f32_e32 v1, v1, v2
	s_delay_alu instid0(VALU_DEP_1) | instskip(NEXT) | instid1(VALU_DEP_1)
	v_add_f32_e32 v2, v10, v1
	v_mul_f32_e32 v7, v4, v2
	v_sub_f32_e32 v6, v2, v10
	s_delay_alu instid0(VALU_DEP_2) | instskip(NEXT) | instid1(VALU_DEP_2)
	v_fma_f32 v2, v4, v2, -v7
	v_sub_f32_e32 v1, v1, v6
	v_cmp_class_f32_e64 s2, v7, 0x204
	s_delay_alu instid0(VALU_DEP_2) | instskip(NEXT) | instid1(VALU_DEP_1)
	v_fmac_f32_e32 v2, v4, v1
	v_add_f32_e32 v1, v7, v2
	s_delay_alu instid0(VALU_DEP_1) | instskip(NEXT) | instid1(VALU_DEP_1)
	v_cndmask_b32_e64 v6, v1, v7, s2
	v_cmp_eq_f32_e64 s2, 0x42b17218, v6
	s_delay_alu instid0(VALU_DEP_1) | instskip(SKIP_1) | instid1(VALU_DEP_2)
	v_cndmask_b32_e64 v8, 0, 0x37000000, s2
	v_cmp_neq_f32_e64 s2, 0x7f800000, |v6|
	v_sub_f32_e32 v9, v6, v8
	v_trunc_f32_e32 v6, v4
	s_delay_alu instid0(VALU_DEP_2) | instskip(NEXT) | instid1(VALU_DEP_1)
	v_mul_f32_e32 v10, 0x3fb8aa3b, v9
	v_fma_f32 v11, 0x3fb8aa3b, v9, -v10
	v_rndne_f32_e32 v12, v10
	s_delay_alu instid0(VALU_DEP_1) | instskip(NEXT) | instid1(VALU_DEP_1)
	v_dual_fmamk_f32 v11, v9, 0x32a5705f, v11 :: v_dual_sub_f32 v10, v10, v12
	v_add_f32_e32 v10, v10, v11
	v_sub_f32_e32 v1, v1, v7
	v_cvt_i32_f32_e32 v7, v12
	s_delay_alu instid0(VALU_DEP_3) | instskip(NEXT) | instid1(VALU_DEP_2)
	v_exp_f32_e32 v10, v10
	v_sub_f32_e32 v1, v2, v1
	s_delay_alu instid0(VALU_DEP_1)
	v_cndmask_b32_e64 v1, 0, v1, s2
	v_cmp_ngt_f32_e64 s2, 0xc2ce8ed0, v9
	s_waitcnt_depctr 0xfff
	v_ldexp_f32 v2, v10, v7
	v_mul_f32_e32 v7, 0.5, v4
	v_add_f32_e32 v1, v8, v1
	s_delay_alu instid0(VALU_DEP_3) | instskip(NEXT) | instid1(VALU_DEP_3)
	v_cndmask_b32_e64 v2, 0, v2, s2
	v_trunc_f32_e32 v10, v7
	v_cmp_nlt_f32_e64 s2, 0x42b17218, v9
	s_delay_alu instid0(VALU_DEP_2) | instskip(NEXT) | instid1(VALU_DEP_2)
	v_cmp_neq_f32_e64 s3, v10, v7
	v_cndmask_b32_e64 v2, 0x7f800000, v2, s2
	v_cmp_eq_f32_e64 s2, v6, v4
	s_delay_alu instid0(VALU_DEP_2) | instskip(NEXT) | instid1(VALU_DEP_2)
	v_fma_f32 v1, v2, v1, v2
	s_and_b32 vcc_lo, s2, s3
	v_cmp_class_f32_e64 s3, v2, 0x204
	v_cndmask_b32_e32 v6, 1.0, v3, vcc_lo
	s_delay_alu instid0(VALU_DEP_2) | instskip(SKIP_1) | instid1(VALU_DEP_2)
	v_cndmask_b32_e64 v1, v1, v2, s3
	v_cmp_gt_f32_e64 s3, 0, v4
	v_bfi_b32 v1, 0x7fffffff, v1, v6
	s_delay_alu instid0(VALU_DEP_2)
	s_xor_b32 s3, s3, s4
	v_cndmask_b32_e32 v6, 0, v3, vcc_lo
	v_cndmask_b32_e64 v2, 0x7f800000, 0, s3
	v_cmp_eq_f32_e32 vcc_lo, 0x7f800000, v5
	v_cndmask_b32_e64 v4, 0x7fc00000, v1, s2
	v_cmp_gt_f32_e64 s2, 0, v3
	s_delay_alu instid0(VALU_DEP_4) | instskip(SKIP_1) | instid1(VALU_DEP_2)
	v_bfi_b32 v2, 0x7fffffff, v2, v6
	s_or_b32 vcc_lo, vcc_lo, s4
	v_cndmask_b32_e64 v1, v1, v4, s2
	s_delay_alu instid0(VALU_DEP_1) | instskip(SKIP_1) | instid1(VALU_DEP_2)
	v_cndmask_b32_e32 v1, v1, v2, vcc_lo
	v_cmp_o_f32_e32 vcc_lo, v3, v3
	v_cndmask_b32_e32 v28, 0x7fc00000, v1, vcc_lo
.LBB55_4:
	v_bfe_u32 v54, v0, 10, 10
	s_load_b128 s[48:51], s[0:1], 0x70
	s_ashr_i32 s35, s34, 31
	s_ashr_i32 s23, s5, 31
	v_and_b32_e32 v39, 0x3ff, v0
	v_lshl_add_u32 v40, s13, 1, v54
	v_lshlrev_b32_e32 v27, 9, v54
	s_delay_alu instid0(VALU_DEP_3) | instskip(NEXT) | instid1(VALU_DEP_3)
	v_lshlrev_b32_e32 v50, 2, v39
	v_mul_hi_u32 v1, s8, v40
	s_delay_alu instid0(VALU_DEP_3) | instskip(NEXT) | instid1(VALU_DEP_2)
	v_lshl_or_b32 v12, v39, 3, v27
	v_add_nc_u32_e32 v1, v40, v1
	s_waitcnt lgkmcnt(0)
	s_mul_i32 s2, s12, s50
	s_mul_i32 s3, s34, s49
	s_delay_alu instid0(VALU_DEP_1)
	v_lshrrev_b32_e32 v1, s9, v1
	s_ashr_i32 s4, s2, 31
	s_add_u32 s2, s16, s2
	s_addc_u32 s4, s17, s4
	s_ashr_i32 s5, s3, 31
	v_mul_lo_u32 v1, v1, s10
	s_add_u32 s2, s2, s3
	s_addc_u32 s3, s4, s5
	s_ashr_i32 s4, s48, 31
	s_delay_alu instid0(SALU_CYCLE_1) | instskip(SKIP_2) | instid1(VALU_DEP_2)
	v_alignbit_b32 v3, s4, s48, 2
	s_lshr_b32 s4, s4, 2
	s_cmp_eq_u64 s[26:27], 0
	v_sub_nc_u32_e32 v29, v40, v1
	s_delay_alu instid0(VALU_DEP_1) | instskip(NEXT) | instid1(VALU_DEP_1)
	v_mad_u64_u32 v[1:2], null, v3, v29, 0
	v_mad_u64_u32 v[3:4], null, s4, v29, v[2:3]
	s_delay_alu instid0(VALU_DEP_1) | instskip(NEXT) | instid1(VALU_DEP_1)
	v_mov_b32_e32 v2, v3
	v_lshlrev_b64 v[0:1], 2, v[1:2]
	v_lshlrev_b32_e32 v2, 4, v39
	s_delay_alu instid0(VALU_DEP_2) | instskip(NEXT) | instid1(VALU_DEP_3)
	v_add_co_u32 v0, vcc_lo, s2, v0
	v_add_co_ci_u32_e32 v1, vcc_lo, s3, v1, vcc_lo
	s_mov_b32 s3, 0
	s_delay_alu instid0(VALU_DEP_2) | instskip(NEXT) | instid1(VALU_DEP_2)
	v_add_co_u32 v4, vcc_lo, v0, v2
	v_add_co_ci_u32_e32 v5, vcc_lo, 0, v1, vcc_lo
	s_clause 0x1
	global_load_b128 v[0:3], v[4:5], off
	global_load_b128 v[4:7], v[4:5], off offset:512
	s_waitcnt vmcnt(1)
	v_fma_mixlo_f16 v9, v2, s36, 0
	v_fma_mixlo_f16 v8, v0, s36, 0
	s_waitcnt vmcnt(0)
	v_fma_mixlo_f16 v11, v6, s36, 0
	v_fma_mixlo_f16 v10, v4, s36, 0
	v_add_nc_u32_e32 v0, 0x1000, v12
	v_fma_mixhi_f16 v9, v3, s36, 0
	v_fma_mixhi_f16 v8, v1, s36, 0
	;; [unrolled: 1-line block ×4, first 2 shown]
	ds_store_2addr_b64 v0, v[8:9], v[10:11] offset0:64 offset1:96
	s_waitcnt lgkmcnt(0)
	s_barrier
	buffer_gl0_inv
	s_cbranch_scc1 .LBB55_6
; %bb.5:
	s_load_b32 s2, s[0:1], 0xd0
	s_waitcnt lgkmcnt(0)
	s_mul_i32 s2, s2, s12
	s_delay_alu instid0(SALU_CYCLE_1) | instskip(NEXT) | instid1(SALU_CYCLE_1)
	s_add_i32 s2, s2, s13
	s_lshl_b64 s[2:3], s[2:3], 2
	s_delay_alu instid0(SALU_CYCLE_1)
	s_add_u32 s2, s26, s2
	s_addc_u32 s3, s27, s3
	s_load_b32 s42, s[2:3], 0x0
.LBB55_6:
	s_clause 0x2
	s_load_b64 s[2:3], s[0:1], 0x8c
	s_load_b128 s[4:7], s[0:1], 0x98
	s_load_b64 s[26:27], s[0:1], 0xa8
	s_ashr_i32 s9, s12, 31
	s_ashr_i32 s16, s45, 1
	s_mul_i32 s13, s22, s15
	v_dual_mov_b32 v56, 0 :: v_dual_and_b32 v31, 28, v50
	v_lshrrev_b32_e32 v32, 3, v39
	v_mul_u32_u24_e32 v30, 0x90, v39
	v_lshlrev_b32_e32 v52, 3, v39
	v_mbcnt_lo_u32_b32 v51, -1, 0
	s_waitcnt lgkmcnt(0)
	s_ashr_i32 s17, s2, 2
	s_mul_i32 s2, s12, s5
	s_mul_hi_u32 s5, s12, s4
	s_ashr_i32 s8, s6, 2
	s_mul_i32 s6, s9, s4
	s_add_i32 s2, s5, s2
	s_mul_i32 s4, s12, s4
	s_add_i32 s2, s2, s6
	s_add_u32 s4, s18, s4
	s_addc_u32 s2, s19, s2
	s_sub_i32 s6, s33, s13
	s_xor_b32 s5, s35, s23
	s_add_i32 s13, s22, 1
	s_sub_i32 s18, s6, s15
	s_cmp_ge_u32 s6, s15
	v_mul_lo_u32 v4, s8, v54
	s_cselect_b32 s13, s13, s22
	s_cselect_b32 s6, s18, s6
	s_add_i32 s18, s13, 1
	s_cmp_ge_u32 s6, s15
	s_mul_i32 s19, s12, s27
	s_cselect_b32 s6, s18, s13
	s_mul_hi_u32 s13, s12, s26
	s_xor_b32 s6, s6, s5
	s_mul_i32 s9, s9, s26
	s_sub_i32 s6, s6, s5
	s_mul_i32 s15, s12, s26
	s_mul_i32 s3, s6, s3
	;; [unrolled: 1-line block ×3, first 2 shown]
	s_ashr_i32 s5, s3, 31
	s_add_u32 s4, s4, s3
	s_addc_u32 s5, s2, s5
	s_add_i32 s2, s13, s19
	v_ashrrev_i32_e32 v5, 31, v4
	s_add_i32 s2, s2, s9
	s_add_u32 s3, s20, s15
	s_addc_u32 s2, s21, s2
	s_ashr_i32 s7, s6, 31
	s_add_u32 s9, s3, s6
	s_addc_u32 s13, s2, s7
	s_lshl_b32 s15, s14, 5
	s_sub_i32 s6, s42, 32
	s_delay_alu instid0(SALU_CYCLE_1)
	s_cmp_ge_i32 s15, s6
	s_cbranch_scc1 .LBB55_12
; %bb.7:
	v_lshl_add_u32 v1, v54, 2, v32
	s_lshl_b32 s2, s17, 3
	s_cmp_lg_u64 s[40:41], 0
	v_dual_mov_b32 v58, 0 :: v_dual_lshlrev_b32 v3, 2, v31
	s_delay_alu instid0(VALU_DEP_2)
	v_mul_lo_u32 v0, s17, v1
	s_cselect_b32 s7, -1, 0
	s_lshl_b32 s3, s8, 1
	v_mov_b32_e32 v55, 0
	v_add_nc_u32_e32 v17, s3, v4
	v_mad_u32_u24 v36, 0x90, v1, v3
	v_lshl_add_u32 v34, v54, 6, 0x1600
	v_lshl_add_u32 v35, v50, 2, v27
	v_add_nc_u32_e32 v2, s2, v0
	v_add_nc_u32_e32 v19, s3, v17
	v_ashrrev_i32_e32 v1, 31, v0
	v_ashrrev_i32_e32 v18, 31, v17
	v_mad_u64_u32 v[6:7], null, v29, s16, v[39:40]
	v_add_nc_u32_e32 v11, s2, v2
	v_add_nc_u32_e32 v21, s3, v19
	v_ashrrev_i32_e32 v3, 31, v2
	v_ashrrev_i32_e32 v20, 31, v19
	v_lshlrev_b64 v[7:8], 2, v[0:1]
	v_add_nc_u32_e32 v13, s2, v11
	v_ashrrev_i32_e32 v12, 31, v11
	v_ashrrev_i32_e32 v22, 31, v21
	v_lshlrev_b64 v[9:10], 2, v[2:3]
	v_lshlrev_b64 v[15:16], 2, v[4:5]
	v_ashrrev_i32_e32 v14, 31, v13
	v_lshlrev_b64 v[11:12], 2, v[11:12]
	v_lshlrev_b64 v[17:18], 2, v[17:18]
	;; [unrolled: 1-line block ×5, first 2 shown]
	v_dual_mov_b32 v56, 0 :: v_dual_add_nc_u32 v33, 0x1200, v27
	v_lshl_add_u32 v37, v39, 1, v34
	v_dual_mov_b32 v57, 0 :: v_dual_add_nc_u32 v38, 0x400, v35
	v_dual_mov_b32 v53, 0 :: v_dual_add_nc_u32 v42, 0x480, v36
	v_add_nc_u32_e32 v43, 0x900, v36
	v_add_nc_u32_e32 v44, 0xd80, v36
	;; [unrolled: 1-line block ×4, first 2 shown]
	v_mov_b32_e32 v49, 0xfeffffff
	v_lshlrev_b32_e32 v47, 2, v31
	v_mbcnt_lo_u32_b32 v48, -1, 0
	s_add_u32 s2, s0, 0xd0
	s_addc_u32 s3, s1, 0
.LBB55_8:                               ; =>This Inner Loop Header: Depth=1
	s_mul_hi_i32 s19, s15, s17
	s_mul_i32 s18, s15, s17
	v_mov_b32_e32 v41, 0
	s_lshl_b64 s[18:19], s[18:19], 2
	s_delay_alu instid0(SALU_CYCLE_1)
	s_add_u32 s18, s4, s18
	s_addc_u32 s19, s5, s19
	v_add_co_u32 v0, vcc_lo, s18, v7
	v_add_co_ci_u32_e32 v1, vcc_lo, s19, v8, vcc_lo
	v_add_co_u32 v2, vcc_lo, s18, v9
	v_add_co_ci_u32_e32 v3, vcc_lo, s19, v10, vcc_lo
	s_delay_alu instid0(VALU_DEP_4) | instskip(NEXT) | instid1(VALU_DEP_4)
	v_add_co_u32 v0, vcc_lo, v0, v47
	v_add_co_ci_u32_e32 v1, vcc_lo, 0, v1, vcc_lo
	s_delay_alu instid0(VALU_DEP_4) | instskip(NEXT) | instid1(VALU_DEP_4)
	v_add_co_u32 v2, vcc_lo, v2, v47
	v_add_co_ci_u32_e32 v3, vcc_lo, 0, v3, vcc_lo
	v_add_co_u32 v23, vcc_lo, s18, v11
	v_add_co_ci_u32_e32 v24, vcc_lo, s19, v12, vcc_lo
	;; [unrolled: 2-line block ×3, first 2 shown]
	s_delay_alu instid0(VALU_DEP_4) | instskip(NEXT) | instid1(VALU_DEP_4)
	v_add_co_u32 v23, vcc_lo, v23, v47
	v_add_co_ci_u32_e32 v24, vcc_lo, 0, v24, vcc_lo
	s_delay_alu instid0(VALU_DEP_4) | instskip(NEXT) | instid1(VALU_DEP_4)
	v_add_co_u32 v25, vcc_lo, v25, v47
	v_add_co_ci_u32_e32 v26, vcc_lo, 0, v26, vcc_lo
	s_clause 0x3
	global_load_b128 v[59:62], v[0:1], off
	global_load_b128 v[63:66], v[2:3], off
	;; [unrolled: 1-line block ×4, first 2 shown]
	s_and_not1_b32 vcc_lo, exec_lo, s7
	s_waitcnt vmcnt(3)
	ds_store_b128 v36, v[59:62]
	s_waitcnt vmcnt(2)
	ds_store_b128 v42, v[63:66]
	;; [unrolled: 2-line block ×4, first 2 shown]
	s_waitcnt lgkmcnt(0)
	s_barrier
	buffer_gl0_inv
	ds_load_b128 v[59:62], v30
	ds_load_b128 v[63:66], v33
	s_waitcnt lgkmcnt(0)
	;;#ASMSTART
	v_dot2_f32_f16 v41, v59, v63, v41
	;;#ASMEND
	;;#ASMSTART
	v_dot2_f32_f16 v41, v60, v64, v41
	;;#ASMEND
	;;#ASMSTART
	v_dot2_f32_f16 v41, v61, v65, v41
	;;#ASMEND
	;;#ASMSTART
	v_dot2_f32_f16 v41, v62, v66, v41
	;;#ASMEND
	ds_load_b128 v[59:62], v30 offset:16
	ds_load_b128 v[63:66], v33 offset:16
	s_waitcnt lgkmcnt(0)
	;;#ASMSTART
	v_dot2_f32_f16 v41, v59, v63, v41
	;;#ASMEND
	;;#ASMSTART
	v_dot2_f32_f16 v41, v60, v64, v41
	;;#ASMEND
	;;#ASMSTART
	v_dot2_f32_f16 v41, v61, v65, v41
	;;#ASMEND
	;;#ASMSTART
	v_dot2_f32_f16 v41, v62, v66, v41
	;;#ASMEND
	ds_load_b128 v[59:62], v30 offset:32
	ds_load_b128 v[63:66], v33 offset:32
	;; [unrolled: 15-line block ×7, first 2 shown]
	s_waitcnt lgkmcnt(0)
	;;#ASMSTART
	v_dot2_f32_f16 v41, v59, v63, v41
	;;#ASMEND
	;;#ASMSTART
	v_dot2_f32_f16 v41, v60, v64, v41
	;;#ASMEND
	;; [unrolled: 3-line block ×4, first 2 shown]
	s_barrier
	buffer_gl0_inv
	s_clause 0x3
	global_load_b128 v[59:62], v[0:1], off offset:128
	global_load_b128 v[63:66], v[2:3], off offset:128
	global_load_b128 v[67:70], v[23:24], off offset:128
	global_load_b128 v[71:74], v[25:26], off offset:128
	s_waitcnt vmcnt(3)
	ds_store_b128 v36, v[59:62]
	s_waitcnt vmcnt(2)
	ds_store_b128 v42, v[63:66]
	;; [unrolled: 2-line block ×4, first 2 shown]
	s_waitcnt lgkmcnt(0)
	s_barrier
	buffer_gl0_inv
	ds_load_b128 v[59:62], v30
	ds_load_b128 v[63:66], v33 offset:128
	s_waitcnt lgkmcnt(0)
	;;#ASMSTART
	v_dot2_f32_f16 v41, v59, v63, v41
	;;#ASMEND
	;;#ASMSTART
	v_dot2_f32_f16 v41, v60, v64, v41
	;;#ASMEND
	;;#ASMSTART
	v_dot2_f32_f16 v41, v61, v65, v41
	;;#ASMEND
	;;#ASMSTART
	v_dot2_f32_f16 v41, v62, v66, v41
	;;#ASMEND
	ds_load_b128 v[59:62], v30 offset:16
	ds_load_b128 v[63:66], v33 offset:144
	s_waitcnt lgkmcnt(0)
	;;#ASMSTART
	v_dot2_f32_f16 v41, v59, v63, v41
	;;#ASMEND
	;;#ASMSTART
	v_dot2_f32_f16 v41, v60, v64, v41
	;;#ASMEND
	;;#ASMSTART
	v_dot2_f32_f16 v41, v61, v65, v41
	;;#ASMEND
	;;#ASMSTART
	v_dot2_f32_f16 v41, v62, v66, v41
	;;#ASMEND
	ds_load_b128 v[59:62], v30 offset:32
	ds_load_b128 v[63:66], v33 offset:160
	s_waitcnt lgkmcnt(0)
	;;#ASMSTART
	v_dot2_f32_f16 v41, v59, v63, v41
	;;#ASMEND
	;;#ASMSTART
	v_dot2_f32_f16 v41, v60, v64, v41
	;;#ASMEND
	;;#ASMSTART
	v_dot2_f32_f16 v41, v61, v65, v41
	;;#ASMEND
	;;#ASMSTART
	v_dot2_f32_f16 v41, v62, v66, v41
	;;#ASMEND
	ds_load_b128 v[59:62], v30 offset:48
	ds_load_b128 v[63:66], v33 offset:176
	s_waitcnt lgkmcnt(0)
	;;#ASMSTART
	v_dot2_f32_f16 v41, v59, v63, v41
	;;#ASMEND
	;;#ASMSTART
	v_dot2_f32_f16 v41, v60, v64, v41
	;;#ASMEND
	;;#ASMSTART
	v_dot2_f32_f16 v41, v61, v65, v41
	;;#ASMEND
	;;#ASMSTART
	v_dot2_f32_f16 v41, v62, v66, v41
	;;#ASMEND
	ds_load_b128 v[59:62], v30 offset:64
	ds_load_b128 v[63:66], v33 offset:192
	s_waitcnt lgkmcnt(0)
	;;#ASMSTART
	v_dot2_f32_f16 v41, v59, v63, v41
	;;#ASMEND
	;;#ASMSTART
	v_dot2_f32_f16 v41, v60, v64, v41
	;;#ASMEND
	;;#ASMSTART
	v_dot2_f32_f16 v41, v61, v65, v41
	;;#ASMEND
	;;#ASMSTART
	v_dot2_f32_f16 v41, v62, v66, v41
	;;#ASMEND
	ds_load_b128 v[59:62], v30 offset:80
	ds_load_b128 v[63:66], v33 offset:208
	s_waitcnt lgkmcnt(0)
	;;#ASMSTART
	v_dot2_f32_f16 v41, v59, v63, v41
	;;#ASMEND
	;;#ASMSTART
	v_dot2_f32_f16 v41, v60, v64, v41
	;;#ASMEND
	;;#ASMSTART
	v_dot2_f32_f16 v41, v61, v65, v41
	;;#ASMEND
	;;#ASMSTART
	v_dot2_f32_f16 v41, v62, v66, v41
	;;#ASMEND
	ds_load_b128 v[59:62], v30 offset:96
	ds_load_b128 v[63:66], v33 offset:224
	s_waitcnt lgkmcnt(0)
	;;#ASMSTART
	v_dot2_f32_f16 v41, v59, v63, v41
	;;#ASMEND
	;;#ASMSTART
	v_dot2_f32_f16 v41, v60, v64, v41
	;;#ASMEND
	;;#ASMSTART
	v_dot2_f32_f16 v41, v61, v65, v41
	;;#ASMEND
	;;#ASMSTART
	v_dot2_f32_f16 v41, v62, v66, v41
	;;#ASMEND
	ds_load_b128 v[59:62], v30 offset:112
	ds_load_b128 v[63:66], v33 offset:240
	s_waitcnt lgkmcnt(0)
	;;#ASMSTART
	v_dot2_f32_f16 v41, v59, v63, v41
	;;#ASMEND
	;;#ASMSTART
	v_dot2_f32_f16 v41, v60, v64, v41
	;;#ASMEND
	;; [unrolled: 3-line block ×4, first 2 shown]
	s_barrier
	buffer_gl0_inv
	s_clause 0x3
	global_load_b128 v[59:62], v[0:1], off offset:256
	global_load_b128 v[63:66], v[2:3], off offset:256
	;; [unrolled: 1-line block ×4, first 2 shown]
	s_waitcnt vmcnt(3)
	ds_store_b128 v36, v[59:62]
	s_waitcnt vmcnt(2)
	ds_store_b128 v42, v[63:66]
	;; [unrolled: 2-line block ×4, first 2 shown]
	s_waitcnt lgkmcnt(0)
	s_barrier
	buffer_gl0_inv
	ds_load_b128 v[59:62], v30
	ds_load_b128 v[63:66], v33 offset:256
	s_waitcnt lgkmcnt(0)
	;;#ASMSTART
	v_dot2_f32_f16 v41, v59, v63, v41
	;;#ASMEND
	;;#ASMSTART
	v_dot2_f32_f16 v41, v60, v64, v41
	;;#ASMEND
	;;#ASMSTART
	v_dot2_f32_f16 v41, v61, v65, v41
	;;#ASMEND
	;;#ASMSTART
	v_dot2_f32_f16 v41, v62, v66, v41
	;;#ASMEND
	ds_load_b128 v[59:62], v30 offset:16
	ds_load_b128 v[63:66], v33 offset:272
	s_waitcnt lgkmcnt(0)
	;;#ASMSTART
	v_dot2_f32_f16 v41, v59, v63, v41
	;;#ASMEND
	;;#ASMSTART
	v_dot2_f32_f16 v41, v60, v64, v41
	;;#ASMEND
	;;#ASMSTART
	v_dot2_f32_f16 v41, v61, v65, v41
	;;#ASMEND
	;;#ASMSTART
	v_dot2_f32_f16 v41, v62, v66, v41
	;;#ASMEND
	ds_load_b128 v[59:62], v30 offset:32
	;; [unrolled: 15-line block ×7, first 2 shown]
	ds_load_b128 v[63:66], v33 offset:368
	s_waitcnt lgkmcnt(0)
	;;#ASMSTART
	v_dot2_f32_f16 v41, v59, v63, v41
	;;#ASMEND
	;;#ASMSTART
	v_dot2_f32_f16 v41, v60, v64, v41
	;;#ASMEND
	;; [unrolled: 3-line block ×4, first 2 shown]
	s_barrier
	buffer_gl0_inv
	s_clause 0x3
	global_load_b128 v[59:62], v[0:1], off offset:384
	global_load_b128 v[0:3], v[2:3], off offset:384
	;; [unrolled: 1-line block ×4, first 2 shown]
	s_waitcnt vmcnt(3)
	ds_store_b128 v36, v[59:62]
	s_waitcnt vmcnt(2)
	ds_store_b128 v42, v[0:3]
	;; [unrolled: 2-line block ×4, first 2 shown]
	s_waitcnt lgkmcnt(0)
	s_barrier
	buffer_gl0_inv
	ds_load_b128 v[0:3], v30
	ds_load_b128 v[23:26], v33 offset:384
	s_waitcnt lgkmcnt(0)
	;;#ASMSTART
	v_dot2_f32_f16 v41, v0, v23, v41
	;;#ASMEND
	;;#ASMSTART
	v_dot2_f32_f16 v41, v1, v24, v41
	;;#ASMEND
	;;#ASMSTART
	v_dot2_f32_f16 v41, v2, v25, v41
	;;#ASMEND
	;;#ASMSTART
	v_dot2_f32_f16 v41, v3, v26, v41
	;;#ASMEND
	ds_load_b128 v[0:3], v30 offset:16
	ds_load_b128 v[23:26], v33 offset:400
	s_waitcnt lgkmcnt(0)
	;;#ASMSTART
	v_dot2_f32_f16 v41, v0, v23, v41
	;;#ASMEND
	;;#ASMSTART
	v_dot2_f32_f16 v41, v1, v24, v41
	;;#ASMEND
	;;#ASMSTART
	v_dot2_f32_f16 v41, v2, v25, v41
	;;#ASMEND
	;;#ASMSTART
	v_dot2_f32_f16 v41, v3, v26, v41
	;;#ASMEND
	ds_load_b128 v[0:3], v30 offset:32
	ds_load_b128 v[23:26], v33 offset:416
	s_waitcnt lgkmcnt(0)
	;;#ASMSTART
	v_dot2_f32_f16 v41, v0, v23, v41
	;;#ASMEND
	;;#ASMSTART
	v_dot2_f32_f16 v41, v1, v24, v41
	;;#ASMEND
	;;#ASMSTART
	v_dot2_f32_f16 v41, v2, v25, v41
	;;#ASMEND
	;;#ASMSTART
	v_dot2_f32_f16 v41, v3, v26, v41
	;;#ASMEND
	ds_load_b128 v[0:3], v30 offset:48
	ds_load_b128 v[23:26], v33 offset:432
	s_waitcnt lgkmcnt(0)
	;;#ASMSTART
	v_dot2_f32_f16 v41, v0, v23, v41
	;;#ASMEND
	;;#ASMSTART
	v_dot2_f32_f16 v41, v1, v24, v41
	;;#ASMEND
	;;#ASMSTART
	v_dot2_f32_f16 v41, v2, v25, v41
	;;#ASMEND
	;;#ASMSTART
	v_dot2_f32_f16 v41, v3, v26, v41
	;;#ASMEND
	ds_load_b128 v[0:3], v30 offset:64
	ds_load_b128 v[23:26], v33 offset:448
	s_waitcnt lgkmcnt(0)
	;;#ASMSTART
	v_dot2_f32_f16 v41, v0, v23, v41
	;;#ASMEND
	;;#ASMSTART
	v_dot2_f32_f16 v41, v1, v24, v41
	;;#ASMEND
	;;#ASMSTART
	v_dot2_f32_f16 v41, v2, v25, v41
	;;#ASMEND
	;;#ASMSTART
	v_dot2_f32_f16 v41, v3, v26, v41
	;;#ASMEND
	ds_load_b128 v[0:3], v30 offset:80
	ds_load_b128 v[23:26], v33 offset:464
	s_waitcnt lgkmcnt(0)
	;;#ASMSTART
	v_dot2_f32_f16 v41, v0, v23, v41
	;;#ASMEND
	;;#ASMSTART
	v_dot2_f32_f16 v41, v1, v24, v41
	;;#ASMEND
	;;#ASMSTART
	v_dot2_f32_f16 v41, v2, v25, v41
	;;#ASMEND
	;;#ASMSTART
	v_dot2_f32_f16 v41, v3, v26, v41
	;;#ASMEND
	ds_load_b128 v[0:3], v30 offset:96
	ds_load_b128 v[23:26], v33 offset:480
	s_waitcnt lgkmcnt(0)
	;;#ASMSTART
	v_dot2_f32_f16 v41, v0, v23, v41
	;;#ASMEND
	v_mov_b32_e32 v0, 0
	;;#ASMSTART
	v_dot2_f32_f16 v41, v1, v24, v41
	;;#ASMEND
	;;#ASMSTART
	v_dot2_f32_f16 v41, v2, v25, v41
	;;#ASMEND
	;; [unrolled: 3-line block ×3, first 2 shown]
	ds_load_b128 v[23:26], v30 offset:112
	ds_load_b128 v[59:62], v33 offset:496
	s_waitcnt lgkmcnt(0)
	;;#ASMSTART
	v_dot2_f32_f16 v41, v23, v59, v41
	;;#ASMEND
	;;#ASMSTART
	v_dot2_f32_f16 v41, v24, v60, v41
	;;#ASMEND
	;; [unrolled: 3-line block ×4, first 2 shown]
	s_cbranch_vccnz .LBB55_10
; %bb.9:                                ;   in Loop: Header=BB55_8 Depth=1
	v_add_nc_u32_e32 v0, s15, v6
	s_delay_alu instid0(VALU_DEP_1) | instskip(NEXT) | instid1(VALU_DEP_1)
	v_ashrrev_i32_e32 v1, 31, v0
	v_lshlrev_b64 v[0:1], 1, v[0:1]
	s_delay_alu instid0(VALU_DEP_1) | instskip(NEXT) | instid1(VALU_DEP_2)
	v_add_co_u32 v0, vcc_lo, s40, v0
	v_add_co_ci_u32_e32 v1, vcc_lo, s41, v1, vcc_lo
	flat_load_u16 v0, v[0:1]
	s_waitcnt vmcnt(0) lgkmcnt(0)
	v_cvt_f32_f16_e32 v0, v0
	s_delay_alu instid0(VALU_DEP_1)
	v_mul_f32_e32 v0, v28, v0
.LBB55_10:                              ;   in Loop: Header=BB55_8 Depth=1
	s_mul_hi_i32 s19, s15, s8
	s_mul_i32 s18, s15, s8
	s_delay_alu instid0(VALU_DEP_1) | instskip(SKIP_1) | instid1(SALU_CYCLE_1)
	v_dual_add_f32 v0, v41, v0 :: v_dual_lshlrev_b32 v25, 2, v50
	s_lshl_b64 s[18:19], s[18:19], 2
	s_add_u32 s18, s9, s18
	s_addc_u32 s19, s13, s19
	v_add_co_u32 v1, vcc_lo, s18, v15
	v_add_co_ci_u32_e32 v2, vcc_lo, s19, v16, vcc_lo
	v_add_co_u32 v3, vcc_lo, s18, v17
	v_add_co_ci_u32_e32 v24, vcc_lo, s19, v18, vcc_lo
	s_delay_alu instid0(VALU_DEP_4) | instskip(NEXT) | instid1(VALU_DEP_4)
	v_add_co_u32 v1, vcc_lo, v1, v25
	v_add_co_ci_u32_e32 v2, vcc_lo, 0, v2, vcc_lo
	s_delay_alu instid0(VALU_DEP_4) | instskip(NEXT) | instid1(VALU_DEP_4)
	v_add_co_u32 v23, vcc_lo, v3, v25
	v_add_co_ci_u32_e32 v24, vcc_lo, 0, v24, vcc_lo
	v_add_co_u32 v3, vcc_lo, s18, v19
	v_add_co_ci_u32_e32 v26, vcc_lo, s19, v20, vcc_lo
	;; [unrolled: 2-line block ×3, first 2 shown]
	s_delay_alu instid0(VALU_DEP_4) | instskip(NEXT) | instid1(VALU_DEP_4)
	v_add_co_u32 v67, vcc_lo, v3, v25
	v_add_co_ci_u32_e32 v68, vcc_lo, 0, v26, vcc_lo
	s_delay_alu instid0(VALU_DEP_4) | instskip(NEXT) | instid1(VALU_DEP_4)
	v_add_co_u32 v71, vcc_lo, v59, v25
	v_add_co_ci_u32_e32 v72, vcc_lo, 0, v60, vcc_lo
	s_barrier
	buffer_gl0_inv
	s_clause 0x3
	global_load_b128 v[59:62], v[1:2], off
	global_load_b128 v[63:66], v[23:24], off
	global_load_b128 v[67:70], v[67:68], off
	global_load_b128 v[71:74], v[71:72], off
	v_xor_b32_e32 v1, 16, v48
	v_dual_max_f32 v2, v49, v49 :: v_dual_add_f32 v3, 0x40051340, v0
	s_or_b32 s18, s15, 8
	v_add_nc_u32_e32 v23, 0x800, v52
	s_delay_alu instid0(VALU_DEP_3)
	v_cmp_gt_i32_e32 vcc_lo, 32, v1
	s_mul_hi_i32 s19, s18, s8
	v_max_f32_e32 v2, v2, v3
	v_xor_b32_e32 v3, 8, v48
	s_mul_i32 s18, s18, s8
	v_cndmask_b32_e32 v1, v48, v1, vcc_lo
	s_lshl_b64 s[18:19], s[18:19], 2
	s_delay_alu instid0(VALU_DEP_2) | instskip(SKIP_1) | instid1(VALU_DEP_2)
	v_cmp_gt_i32_e32 vcc_lo, 32, v3
	s_add_u32 s18, s9, s18
	v_lshlrev_b32_e32 v1, 2, v1
	s_addc_u32 s19, s13, s19
	v_cndmask_b32_e32 v3, v48, v3, vcc_lo
	ds_bpermute_b32 v1, v1, v2
	v_lshlrev_b32_e32 v3, 2, v3
	s_waitcnt lgkmcnt(0)
	v_max_f32_e32 v1, v1, v1
	s_delay_alu instid0(VALU_DEP_1) | instskip(SKIP_2) | instid1(VALU_DEP_1)
	v_max_f32_e32 v1, v2, v1
	ds_bpermute_b32 v2, v3, v1
	v_xor_b32_e32 v3, 4, v48
	v_cmp_gt_i32_e32 vcc_lo, 32, v3
	v_cndmask_b32_e32 v3, v48, v3, vcc_lo
	s_waitcnt lgkmcnt(0)
	s_delay_alu instid0(VALU_DEP_1) | instskip(NEXT) | instid1(VALU_DEP_1)
	v_dual_max_f32 v2, v2, v2 :: v_dual_lshlrev_b32 v3, 2, v3
	v_max_f32_e32 v1, v1, v2
	ds_bpermute_b32 v2, v3, v1
	v_xor_b32_e32 v3, 2, v48
	s_delay_alu instid0(VALU_DEP_1) | instskip(SKIP_2) | instid1(VALU_DEP_1)
	v_cmp_gt_i32_e32 vcc_lo, 32, v3
	v_cndmask_b32_e32 v3, v48, v3, vcc_lo
	s_waitcnt lgkmcnt(0)
	v_dual_max_f32 v2, v2, v2 :: v_dual_lshlrev_b32 v3, 2, v3
	s_delay_alu instid0(VALU_DEP_1) | instskip(SKIP_2) | instid1(VALU_DEP_1)
	v_max_f32_e32 v1, v1, v2
	ds_bpermute_b32 v2, v3, v1
	v_xor_b32_e32 v3, 1, v48
	v_cmp_gt_i32_e32 vcc_lo, 32, v3
	v_cndmask_b32_e32 v3, v48, v3, vcc_lo
	v_add_co_u32 v24, vcc_lo, s18, v15
	v_add_co_ci_u32_e32 v26, vcc_lo, s19, v16, vcc_lo
	s_waitcnt lgkmcnt(0)
	s_delay_alu instid0(VALU_DEP_3) | instskip(NEXT) | instid1(VALU_DEP_1)
	v_dual_max_f32 v2, v2, v2 :: v_dual_lshlrev_b32 v3, 2, v3
	v_max_f32_e32 v1, v1, v2
	ds_bpermute_b32 v2, v3, v1
	s_waitcnt lgkmcnt(0)
	v_max_f32_e32 v2, v2, v2
	s_delay_alu instid0(VALU_DEP_1) | instskip(NEXT) | instid1(VALU_DEP_1)
	v_max_f32_e32 v41, v1, v2
	v_sub_f32_e32 v0, v0, v41
	s_delay_alu instid0(VALU_DEP_1) | instskip(NEXT) | instid1(VALU_DEP_1)
	v_mul_f32_e32 v1, 0x3fb8aa3b, v0
	v_fma_f32 v2, 0x3fb8aa3b, v0, -v1
	v_rndne_f32_e32 v3, v1
	s_delay_alu instid0(VALU_DEP_1) | instskip(SKIP_1) | instid1(VALU_DEP_2)
	v_dual_fmac_f32 v2, 0x32a5705f, v0 :: v_dual_sub_f32 v1, v1, v3
	v_cvt_i32_f32_e32 v3, v3
	v_add_f32_e32 v1, v1, v2
	v_add_co_u32 v2, vcc_lo, s18, v17
	v_add_co_ci_u32_e32 v75, vcc_lo, s19, v18, vcc_lo
	s_delay_alu instid0(VALU_DEP_3)
	v_exp_f32_e32 v1, v1
	v_add_co_u32 v76, vcc_lo, s18, v19
	v_add_co_ci_u32_e32 v77, vcc_lo, s19, v20, vcc_lo
	v_add_co_u32 v78, vcc_lo, s18, v21
	v_add_co_ci_u32_e32 v79, vcc_lo, s19, v22, vcc_lo
	;; [unrolled: 2-line block ×3, first 2 shown]
	s_delay_alu instid0(TRANS32_DEP_1) | instskip(SKIP_2) | instid1(SALU_CYCLE_1)
	v_ldexp_f32 v1, v1, v3
	v_cmp_ngt_f32_e32 vcc_lo, 0xc2ce8ed0, v0
	s_or_b32 s18, s15, 16
	s_mul_hi_i32 s19, s18, s8
	s_mul_i32 s18, s18, s8
	v_cndmask_b32_e32 v1, 0, v1, vcc_lo
	v_add_co_u32 v95, vcc_lo, v2, v25
	v_add_co_ci_u32_e32 v96, vcc_lo, 0, v75, vcc_lo
	v_cmp_nlt_f32_e32 vcc_lo, 0x42b17218, v0
	s_lshl_b64 s[18:19], s[18:19], 2
	s_delay_alu instid0(SALU_CYCLE_1) | instskip(SKIP_4) | instid1(VALU_DEP_3)
	s_add_u32 s18, s9, s18
	s_addc_u32 s19, s13, s19
	v_cndmask_b32_e32 v24, 0x7f800000, v1, vcc_lo
	v_add_co_u32 v99, vcc_lo, v76, v25
	v_add_co_ci_u32_e32 v100, vcc_lo, 0, v77, vcc_lo
	v_cvt_f16_f32_e32 v0, v24
	v_add_co_u32 v103, vcc_lo, v78, v25
	v_add_co_ci_u32_e32 v104, vcc_lo, 0, v79, vcc_lo
	v_add_co_u32 v26, vcc_lo, s18, v15
	v_add_co_ci_u32_e32 v107, vcc_lo, s19, v16, vcc_lo
	;; [unrolled: 2-line block ×9, first 2 shown]
	s_or_b32 s18, s15, 24
	ds_store_b16 v37, v0
	s_waitcnt vmcnt(3)
	ds_store_b128 v35, v[59:62]
	s_waitcnt vmcnt(2)
	ds_store_b128 v38, v[63:66]
	;; [unrolled: 2-line block ×4, first 2 shown]
	s_waitcnt lgkmcnt(0)
	s_barrier
	buffer_gl0_inv
	ds_load_2addr_b64 v[59:62], v52 offset1:32
	ds_load_b128 v[0:3], v34
	ds_load_2addr_b64 v[63:66], v52 offset0:64 offset1:96
	ds_load_2addr_b64 v[67:70], v52 offset0:128 offset1:160
	;; [unrolled: 1-line block ×3, first 2 shown]
	ds_load_2addr_b64 v[75:78], v23 offset1:32
	ds_load_2addr_b64 v[79:82], v23 offset0:64 offset1:96
	ds_load_2addr_b64 v[83:86], v23 offset0:128 offset1:160
	;; [unrolled: 1-line block ×3, first 2 shown]
	s_waitcnt lgkmcnt(0)
	s_barrier
	buffer_gl0_inv
	s_clause 0x3
	global_load_b128 v[91:94], v[91:92], off
	global_load_b128 v[95:98], v[95:96], off
	;; [unrolled: 1-line block ×4, first 2 shown]
	s_mul_hi_i32 s19, s18, s8
	s_mul_i32 s18, s18, s8
	s_waitcnt vmcnt(3)
	ds_store_b128 v35, v[91:94]
	s_waitcnt vmcnt(2)
	ds_store_b128 v38, v[95:98]
	;; [unrolled: 2-line block ×4, first 2 shown]
	s_waitcnt lgkmcnt(0)
	s_barrier
	buffer_gl0_inv
	ds_load_2addr_b64 v[91:94], v52 offset1:32
	ds_load_b128 v[95:98], v34 offset:16
	ds_load_2addr_b64 v[99:102], v52 offset0:64 offset1:96
	ds_load_2addr_b64 v[103:106], v52 offset0:128 offset1:160
	;; [unrolled: 1-line block ×3, first 2 shown]
	ds_load_2addr_b64 v[111:114], v23 offset1:32
	ds_load_2addr_b64 v[115:118], v23 offset0:64 offset1:96
	ds_load_2addr_b64 v[119:122], v23 offset0:128 offset1:160
	;; [unrolled: 1-line block ×3, first 2 shown]
	s_waitcnt lgkmcnt(0)
	s_barrier
	buffer_gl0_inv
	s_clause 0x3
	global_load_b128 v[127:130], v[127:128], off
	global_load_b128 v[131:134], v[131:132], off
	;; [unrolled: 1-line block ×4, first 2 shown]
	s_lshl_b64 s[18:19], s[18:19], 2
	s_waitcnt vmcnt(3)
	ds_store_b128 v35, v[127:130]
	s_waitcnt vmcnt(2)
	ds_store_b128 v38, v[131:134]
	;; [unrolled: 2-line block ×4, first 2 shown]
	s_add_u32 s18, s9, s18
	s_addc_u32 s19, s13, s19
	v_add_co_u32 v26, vcc_lo, s18, v15
	v_add_co_ci_u32_e32 v143, vcc_lo, s19, v16, vcc_lo
	v_add_co_u32 v144, vcc_lo, s18, v17
	v_add_co_ci_u32_e32 v145, vcc_lo, s19, v18, vcc_lo
	;; [unrolled: 2-line block ×8, first 2 shown]
	s_waitcnt lgkmcnt(0)
	s_barrier
	buffer_gl0_inv
	ds_load_2addr_b64 v[127:130], v52 offset1:32
	ds_load_b128 v[131:134], v34 offset:32
	ds_load_2addr_b64 v[135:138], v52 offset0:64 offset1:96
	ds_load_2addr_b64 v[139:142], v52 offset0:128 offset1:160
	;; [unrolled: 1-line block ×3, first 2 shown]
	ds_load_2addr_b64 v[147:150], v23 offset1:32
	ds_load_2addr_b64 v[151:154], v23 offset0:64 offset1:96
	ds_load_2addr_b64 v[155:158], v23 offset0:128 offset1:160
	;; [unrolled: 1-line block ×3, first 2 shown]
	s_waitcnt lgkmcnt(0)
	s_barrier
	buffer_gl0_inv
	s_clause 0x3
	global_load_b128 v[163:166], v[163:164], off
	global_load_b128 v[167:170], v[167:168], off
	;; [unrolled: 1-line block ×4, first 2 shown]
	v_sub_f32_e32 v25, v49, v41
	s_waitcnt vmcnt(3)
	ds_store_b128 v35, v[163:166]
	s_waitcnt vmcnt(2)
	ds_store_b128 v38, v[167:170]
	;; [unrolled: 2-line block ×4, first 2 shown]
	v_mul_f32_e32 v26, 0x3fb8aa3b, v25
	v_cmp_ngt_f32_e32 vcc_lo, 0xc2ce8ed0, v25
	s_waitcnt lgkmcnt(0)
	s_barrier
	buffer_gl0_inv
	v_fma_f32 v49, 0x3fb8aa3b, v25, -v26
	v_rndne_f32_e32 v179, v26
	s_delay_alu instid0(VALU_DEP_1) | instskip(NEXT) | instid1(VALU_DEP_1)
	v_dual_fmac_f32 v49, 0x32a5705f, v25 :: v_dual_sub_f32 v26, v26, v179
	v_add_f32_e32 v26, v26, v49
	v_cvt_i32_f32_e32 v49, v179
	s_delay_alu instid0(VALU_DEP_2) | instskip(SKIP_4) | instid1(VALU_DEP_3)
	v_exp_f32_e32 v26, v26
	s_waitcnt_depctr 0xfff
	v_ldexp_f32 v26, v26, v49
	v_pk_mul_f16 v49, v59, v0 op_sel_hi:[1,0]
	v_pk_mul_f16 v59, v60, v0 op_sel_hi:[1,0]
	v_cndmask_b32_e32 v26, 0, v26, vcc_lo
	v_cmp_nlt_f32_e32 vcc_lo, 0x42b17218, v25
	s_delay_alu instid0(VALU_DEP_2) | instskip(NEXT) | instid1(VALU_DEP_1)
	v_cndmask_b32_e32 v25, 0x7f800000, v26, vcc_lo
	v_cvt_f16_f32_e32 v26, v25
	v_fma_f32 v53, v53, v25, v24
	s_delay_alu instid0(VALU_DEP_2) | instskip(SKIP_3) | instid1(VALU_DEP_4)
	v_pk_mul_f16 v57, v26, v57 op_sel_hi:[0,1]
	v_pk_mul_f16 v55, v26, v55 op_sel_hi:[0,1]
	v_pk_fma_f16 v49, v56, v26, v49 op_sel_hi:[1,0,1]
	v_pk_fma_f16 v26, v58, v26, v59 op_sel_hi:[1,0,1]
	;; [unrolled: 1-line block ×3, first 2 shown]
	s_delay_alu instid0(VALU_DEP_4) | instskip(NEXT) | instid1(VALU_DEP_4)
	v_pk_fma_f16 v55, v62, v0, v55 op_sel_hi:[1,0,1]
	v_pk_fma_f16 v49, v63, v0, v49 op_sel:[0,1,0]
	s_delay_alu instid0(VALU_DEP_4) | instskip(NEXT) | instid1(VALU_DEP_4)
	v_pk_fma_f16 v26, v64, v0, v26 op_sel:[0,1,0]
	v_pk_fma_f16 v56, v65, v0, v56 op_sel:[0,1,0]
	s_delay_alu instid0(VALU_DEP_4) | instskip(NEXT) | instid1(VALU_DEP_4)
	v_pk_fma_f16 v0, v66, v0, v55 op_sel:[0,1,0]
	v_pk_fma_f16 v49, v67, v1, v49 op_sel_hi:[1,0,1]
	s_delay_alu instid0(VALU_DEP_4) | instskip(NEXT) | instid1(VALU_DEP_4)
	v_pk_fma_f16 v26, v68, v1, v26 op_sel_hi:[1,0,1]
	v_pk_fma_f16 v55, v69, v1, v56 op_sel_hi:[1,0,1]
	s_delay_alu instid0(VALU_DEP_4) | instskip(NEXT) | instid1(VALU_DEP_4)
	v_pk_fma_f16 v0, v70, v1, v0 op_sel_hi:[1,0,1]
	v_pk_fma_f16 v49, v71, v1, v49 op_sel:[0,1,0]
	s_delay_alu instid0(VALU_DEP_4) | instskip(NEXT) | instid1(VALU_DEP_4)
	v_pk_fma_f16 v26, v72, v1, v26 op_sel:[0,1,0]
	v_pk_fma_f16 v55, v73, v1, v55 op_sel:[0,1,0]
	s_delay_alu instid0(VALU_DEP_4) | instskip(NEXT) | instid1(VALU_DEP_4)
	v_pk_fma_f16 v0, v74, v1, v0 op_sel:[0,1,0]
	v_pk_fma_f16 v1, v75, v2, v49 op_sel_hi:[1,0,1]
	s_delay_alu instid0(VALU_DEP_4) | instskip(NEXT) | instid1(VALU_DEP_4)
	v_pk_fma_f16 v26, v76, v2, v26 op_sel_hi:[1,0,1]
	v_pk_fma_f16 v49, v77, v2, v55 op_sel_hi:[1,0,1]
	;; [unrolled: 12-line block ×10, first 2 shown]
	s_delay_alu instid0(VALU_DEP_4) | instskip(NEXT) | instid1(VALU_DEP_4)
	v_pk_fma_f16 v55, v150, v133, v0 op_sel_hi:[1,0,1]
	v_pk_fma_f16 v60, v151, v133, v1 op_sel:[0,1,0]
	ds_load_2addr_b64 v[0:3], v52 offset1:32
	ds_load_b128 v[56:59], v34 offset:48
	v_pk_fma_f16 v26, v152, v133, v26 op_sel:[0,1,0]
	v_pk_fma_f16 v49, v153, v133, v49 op_sel:[0,1,0]
	;; [unrolled: 1-line block ×3, first 2 shown]
	v_pk_fma_f16 v64, v155, v134, v60 op_sel_hi:[1,0,1]
	ds_load_2addr_b64 v[60:63], v52 offset0:64 offset1:96
	v_pk_fma_f16 v26, v156, v134, v26 op_sel_hi:[1,0,1]
	v_pk_fma_f16 v49, v157, v134, v49 op_sel_hi:[1,0,1]
	;; [unrolled: 1-line block ×3, first 2 shown]
	v_pk_fma_f16 v88, v159, v134, v64 op_sel:[0,1,0]
	ds_load_2addr_b64 v[64:67], v52 offset0:128 offset1:160
	v_pk_fma_f16 v26, v160, v134, v26 op_sel:[0,1,0]
	v_pk_fma_f16 v49, v161, v134, v49 op_sel:[0,1,0]
	;; [unrolled: 1-line block ×3, first 2 shown]
	ds_load_2addr_b64 v[68:71], v52 offset0:192 offset1:224
	ds_load_2addr_b64 v[72:75], v23 offset1:32
	ds_load_2addr_b64 v[76:79], v23 offset0:64 offset1:96
	ds_load_2addr_b64 v[80:83], v23 offset0:128 offset1:160
	;; [unrolled: 1-line block ×3, first 2 shown]
	s_waitcnt lgkmcnt(0)
	s_barrier
	buffer_gl0_inv
	s_load_b32 s18, s[2:3], 0x4
	v_pk_fma_f16 v0, v0, v56, v88 op_sel_hi:[1,0,1]
	v_pk_fma_f16 v1, v1, v56, v26 op_sel_hi:[1,0,1]
	;; [unrolled: 1-line block ×4, first 2 shown]
	s_delay_alu instid0(VALU_DEP_4) | instskip(NEXT) | instid1(VALU_DEP_4)
	v_pk_fma_f16 v0, v60, v56, v0 op_sel:[0,1,0]
	v_pk_fma_f16 v1, v61, v56, v1 op_sel:[0,1,0]
	s_delay_alu instid0(VALU_DEP_4) | instskip(NEXT) | instid1(VALU_DEP_4)
	v_pk_fma_f16 v2, v62, v56, v2 op_sel:[0,1,0]
	v_pk_fma_f16 v3, v63, v56, v3 op_sel:[0,1,0]
	s_delay_alu instid0(VALU_DEP_4) | instskip(NEXT) | instid1(VALU_DEP_4)
	v_pk_fma_f16 v0, v64, v57, v0 op_sel_hi:[1,0,1]
	v_pk_fma_f16 v1, v65, v57, v1 op_sel_hi:[1,0,1]
	s_delay_alu instid0(VALU_DEP_4) | instskip(NEXT) | instid1(VALU_DEP_4)
	v_pk_fma_f16 v2, v66, v57, v2 op_sel_hi:[1,0,1]
	v_pk_fma_f16 v3, v67, v57, v3 op_sel_hi:[1,0,1]
	s_delay_alu instid0(VALU_DEP_4) | instskip(NEXT) | instid1(VALU_DEP_4)
	v_pk_fma_f16 v0, v68, v57, v0 op_sel:[0,1,0]
	v_pk_fma_f16 v1, v69, v57, v1 op_sel:[0,1,0]
	s_delay_alu instid0(VALU_DEP_4) | instskip(NEXT) | instid1(VALU_DEP_4)
	v_pk_fma_f16 v2, v70, v57, v2 op_sel:[0,1,0]
	v_pk_fma_f16 v3, v71, v57, v3 op_sel:[0,1,0]
	s_waitcnt lgkmcnt(0)
	s_lshl_b32 s18, s18, 5
	v_pk_fma_f16 v0, v72, v58, v0 op_sel_hi:[1,0,1]
	v_pk_fma_f16 v1, v73, v58, v1 op_sel_hi:[1,0,1]
	;; [unrolled: 1-line block ×4, first 2 shown]
	s_add_i32 s15, s18, s15
	v_pk_fma_f16 v0, v76, v58, v0 op_sel:[0,1,0]
	v_pk_fma_f16 v1, v77, v58, v1 op_sel:[0,1,0]
	;; [unrolled: 1-line block ×4, first 2 shown]
	s_cmp_lt_i32 s15, s6
	v_pk_fma_f16 v0, v80, v59, v0 op_sel_hi:[1,0,1]
	v_pk_fma_f16 v1, v81, v59, v1 op_sel_hi:[1,0,1]
	;; [unrolled: 1-line block ×4, first 2 shown]
	s_delay_alu instid0(VALU_DEP_4) | instskip(NEXT) | instid1(VALU_DEP_4)
	v_pk_fma_f16 v56, v84, v59, v0 op_sel:[0,1,0]
	v_pk_fma_f16 v58, v85, v59, v1 op_sel:[0,1,0]
	s_delay_alu instid0(VALU_DEP_4) | instskip(NEXT) | instid1(VALU_DEP_4)
	v_pk_fma_f16 v57, v86, v59, v2 op_sel:[0,1,0]
	v_pk_fma_f16 v55, v87, v59, v3 op_sel:[0,1,0]
	s_cbranch_scc0 .LBB55_13
; %bb.11:                               ;   in Loop: Header=BB55_8 Depth=1
	v_mov_b32_e32 v49, v41
	s_branch .LBB55_8
.LBB55_12:
	v_dual_mov_b32 v41, 0xfeffffff :: v_dual_mov_b32 v58, 0
	v_mov_b32_e32 v53, 0
	v_mov_b32_e32 v57, 0
	;; [unrolled: 1-line block ×3, first 2 shown]
.LBB55_13:
	s_cmp_gt_i32 s42, s15
	s_cbranch_scc1 .LBB55_15
; %bb.14:
	v_mbcnt_lo_u32_b32 v1, -1, 0
	v_mov_b32_e32 v0, 32
	s_delay_alu instid0(VALU_DEP_2)
	v_xor_b32_e32 v59, 16, v1
	v_xor_b32_e32 v60, 8, v1
	v_xor_b32_e32 v61, 4, v1
	v_xor_b32_e32 v62, 2, v1
	v_xor_b32_e32 v63, 1, v1
	s_cbranch_execz .LBB55_16
	s_branch .LBB55_21
.LBB55_15:
                                        ; implicit-def: $vgpr1
                                        ; implicit-def: $vgpr0
                                        ; implicit-def: $vgpr59
                                        ; implicit-def: $vgpr60
                                        ; implicit-def: $vgpr61
                                        ; implicit-def: $vgpr62
                                        ; implicit-def: $vgpr63
.LBB55_16:
	v_lshl_add_u32 v3, v54, 2, v32
	s_mul_hi_i32 s3, s15, s17
	s_mul_i32 s2, s15, s17
	s_sub_i32 s18, s42, s15
	s_lshl_b64 s[2:3], s[2:3], 2
	v_mul_lo_u32 v7, s17, v3
	s_mov_b32 s20, 0
	s_add_u32 s4, s4, s2
	s_addc_u32 s5, s5, s3
	s_mov_b32 s21, s20
	s_mov_b32 s22, s20
	v_lshlrev_b32_e32 v22, 2, v31
	s_mov_b64 s[6:7], src_private_base
	v_ashrrev_i32_e32 v8, 31, v7
	s_lshl_b32 s6, s17, 3
	s_delay_alu instid0(SALU_CYCLE_1) | instskip(NEXT) | instid1(VALU_DEP_2)
	v_add_nc_u32_e32 v18, s6, v7
	v_lshlrev_b64 v[0:1], 2, v[7:8]
	s_delay_alu instid0(VALU_DEP_2) | instskip(SKIP_1) | instid1(VALU_DEP_3)
	v_ashrrev_i32_e32 v19, 31, v18
	v_add_nc_u32_e32 v20, s6, v18
	v_add_co_u32 v0, vcc_lo, s4, v0
	s_delay_alu instid0(VALU_DEP_4) | instskip(NEXT) | instid1(VALU_DEP_3)
	v_add_co_ci_u32_e32 v1, vcc_lo, s5, v1, vcc_lo
	v_ashrrev_i32_e32 v21, 31, v20
	s_delay_alu instid0(VALU_DEP_3) | instskip(NEXT) | instid1(VALU_DEP_3)
	v_add_co_u32 v8, vcc_lo, v0, v22
	v_add_co_ci_u32_e32 v9, vcc_lo, 0, v1, vcc_lo
	v_cmp_gt_i32_e32 vcc_lo, s18, v3
	v_mov_b32_e32 v6, 0
	v_dual_mov_b32 v0, s20 :: v_dual_mov_b32 v1, s21
	v_mov_b32_e32 v2, s22
	v_cndmask_b32_e32 v11, s7, v9, vcc_lo
	v_cndmask_b32_e32 v10, 0, v8, vcc_lo
	s_clause 0x1
	scratch_store_b32 off, v6, off
	scratch_store_b96 off, v[0:2], off offset:4
	v_add_nc_u32_e32 v16, 8, v3
	flat_load_b128 v[12:15], v[10:11]
	v_lshlrev_b64 v[10:11], 2, v[18:19]
	v_add_nc_u32_e32 v18, 16, v3
	s_delay_alu instid0(VALU_DEP_2) | instskip(NEXT) | instid1(VALU_DEP_1)
	v_add_co_u32 v7, s2, s4, v10
	v_add_co_ci_u32_e64 v11, s2, s5, v11, s2
	s_delay_alu instid0(VALU_DEP_2) | instskip(NEXT) | instid1(VALU_DEP_1)
	v_add_co_u32 v10, s2, v7, v22
	v_add_co_ci_u32_e64 v11, s2, 0, v11, s2
	v_cmp_gt_i32_e64 s2, s18, v16
	v_mad_u32_u24 v7, 0x90, v3, v22
	v_add_nc_u32_e32 v3, 24, v3
	s_clause 0x1
	scratch_store_b32 off, v6, off
	scratch_store_b96 off, v[0:2], off offset:4
	v_cndmask_b32_e64 v17, s7, v11, s2
	v_cndmask_b32_e64 v16, 0, v10, s2
	s_waitcnt vmcnt(0) lgkmcnt(0)
	ds_store_b128 v7, v[12:15]
	flat_load_b128 v[14:17], v[16:17]
	v_lshlrev_b64 v[12:13], 2, v[20:21]
	s_clause 0x1
	scratch_store_b32 off, v6, off
	scratch_store_b96 off, v[0:2], off offset:4
	v_add_co_u32 v12, s3, s4, v12
	s_delay_alu instid0(VALU_DEP_1) | instskip(NEXT) | instid1(VALU_DEP_2)
	v_add_co_ci_u32_e64 v13, s3, s5, v13, s3
	v_add_co_u32 v12, s3, v12, v22
	s_delay_alu instid0(VALU_DEP_1) | instskip(SKIP_1) | instid1(VALU_DEP_1)
	v_add_co_ci_u32_e64 v13, s3, 0, v13, s3
	v_cmp_gt_i32_e64 s3, s18, v18
	v_cndmask_b32_e64 v19, s7, v13, s3
	s_delay_alu instid0(VALU_DEP_4) | instskip(SKIP_4) | instid1(VALU_DEP_1)
	v_cndmask_b32_e64 v18, 0, v12, s3
	s_waitcnt vmcnt(0) lgkmcnt(0)
	ds_store_b128 v7, v[14:17] offset:1152
	flat_load_b128 v[16:19], v[18:19]
	v_add_nc_u32_e32 v14, s6, v20
	v_ashrrev_i32_e32 v15, 31, v14
	s_delay_alu instid0(VALU_DEP_1) | instskip(NEXT) | instid1(VALU_DEP_1)
	v_lshlrev_b64 v[14:15], 2, v[14:15]
	v_add_co_u32 v14, s4, s4, v14
	s_delay_alu instid0(VALU_DEP_1) | instskip(SKIP_1) | instid1(VALU_DEP_3)
	v_add_co_ci_u32_e64 v15, s4, s5, v15, s4
	v_add_co_u32 v24, s5, 0x80, v8
	v_add_co_u32 v14, s4, v14, v22
	s_delay_alu instid0(VALU_DEP_1)
	v_add_co_ci_u32_e64 v15, s4, 0, v15, s4
	v_cmp_gt_i32_e64 s4, s18, v3
	v_mov_b32_e32 v3, 0
	s_clause 0x1
	scratch_store_b32 off, v6, off
	scratch_store_b96 off, v[0:2], off offset:4
	v_add_co_ci_u32_e64 v25, s5, 0, v9, s5
	v_cndmask_b32_e64 v21, s7, v15, s4
	v_cndmask_b32_e64 v20, 0, v14, s4
	v_cndmask_b32_e32 v24, 0, v24, vcc_lo
	s_delay_alu instid0(VALU_DEP_4)
	v_cndmask_b32_e32 v25, s7, v25, vcc_lo
	s_waitcnt vmcnt(0) lgkmcnt(0)
	ds_store_b128 v7, v[16:19] offset:2304
	flat_load_b128 v[16:19], v[20:21]
	s_waitcnt vmcnt(0) lgkmcnt(0)
	ds_store_b128 v7, v[16:19] offset:3456
	s_waitcnt lgkmcnt(0)
	s_waitcnt_vscnt null, 0x0
	s_barrier
	buffer_gl0_inv
	ds_load_b128 v[16:19], v30
	ds_load_b128 v[20:23], v27 offset:4608
	s_waitcnt lgkmcnt(0)
	;;#ASMSTART
	v_dot2_f32_f16 v3, v16, v20, v3
	;;#ASMEND
	;;#ASMSTART
	v_dot2_f32_f16 v3, v17, v21, v3
	;;#ASMEND
	;;#ASMSTART
	v_dot2_f32_f16 v3, v18, v22, v3
	;;#ASMEND
	;;#ASMSTART
	v_dot2_f32_f16 v3, v19, v23, v3
	;;#ASMEND
	ds_load_b128 v[16:19], v30 offset:16
	ds_load_b128 v[20:23], v27 offset:4624
	s_waitcnt lgkmcnt(0)
	;;#ASMSTART
	v_dot2_f32_f16 v3, v16, v20, v3
	;;#ASMEND
	;;#ASMSTART
	v_dot2_f32_f16 v3, v17, v21, v3
	;;#ASMEND
	;;#ASMSTART
	v_dot2_f32_f16 v3, v18, v22, v3
	;;#ASMEND
	;;#ASMSTART
	v_dot2_f32_f16 v3, v19, v23, v3
	;;#ASMEND
	ds_load_b128 v[16:19], v30 offset:32
	;; [unrolled: 15-line block ×7, first 2 shown]
	ds_load_b128 v[20:23], v27 offset:4720
	s_waitcnt lgkmcnt(0)
	;;#ASMSTART
	v_dot2_f32_f16 v3, v16, v20, v3
	;;#ASMEND
	;;#ASMSTART
	v_dot2_f32_f16 v3, v17, v21, v3
	;;#ASMEND
	;; [unrolled: 3-line block ×4, first 2 shown]
	s_barrier
	buffer_gl0_inv
	s_clause 0x1
	scratch_store_b32 off, v6, off
	scratch_store_b96 off, v[0:2], off offset:4
	flat_load_b128 v[16:19], v[24:25]
	v_add_co_u32 v20, s5, 0x80, v10
	s_delay_alu instid0(VALU_DEP_1)
	v_add_co_ci_u32_e64 v21, s5, 0, v11, s5
	s_clause 0x1
	scratch_store_b32 off, v6, off
	scratch_store_b96 off, v[0:2], off offset:4
	v_cndmask_b32_e64 v20, 0, v20, s2
	v_cndmask_b32_e64 v21, s7, v21, s2
	s_waitcnt vmcnt(0) lgkmcnt(0)
	ds_store_b128 v7, v[16:19]
	flat_load_b128 v[16:19], v[20:21]
	v_add_co_u32 v20, s5, 0x80, v12
	s_delay_alu instid0(VALU_DEP_1)
	v_add_co_ci_u32_e64 v21, s5, 0, v13, s5
	s_clause 0x1
	scratch_store_b32 off, v6, off
	scratch_store_b96 off, v[0:2], off offset:4
	v_cndmask_b32_e64 v20, 0, v20, s3
	v_cndmask_b32_e64 v21, s7, v21, s3
	s_waitcnt vmcnt(0) lgkmcnt(0)
	ds_store_b128 v7, v[16:19] offset:1152
	flat_load_b128 v[16:19], v[20:21]
	v_add_co_u32 v20, s5, 0x80, v14
	s_delay_alu instid0(VALU_DEP_1)
	v_add_co_ci_u32_e64 v21, s5, 0, v15, s5
	s_clause 0x1
	scratch_store_b32 off, v6, off
	scratch_store_b96 off, v[0:2], off offset:4
	v_cndmask_b32_e64 v20, 0, v20, s4
	v_add_co_u32 v24, s5, 0x100, v8
	v_cndmask_b32_e64 v21, s7, v21, s4
	v_add_co_ci_u32_e64 v25, s5, 0, v9, s5
	s_delay_alu instid0(VALU_DEP_3) | instskip(NEXT) | instid1(VALU_DEP_2)
	v_cndmask_b32_e32 v24, 0, v24, vcc_lo
	v_cndmask_b32_e32 v25, s7, v25, vcc_lo
	s_waitcnt vmcnt(0) lgkmcnt(0)
	ds_store_b128 v7, v[16:19] offset:2304
	flat_load_b128 v[16:19], v[20:21]
	s_waitcnt vmcnt(0) lgkmcnt(0)
	ds_store_b128 v7, v[16:19] offset:3456
	s_waitcnt lgkmcnt(0)
	s_waitcnt_vscnt null, 0x0
	s_barrier
	buffer_gl0_inv
	ds_load_b128 v[16:19], v30
	ds_load_b128 v[20:23], v27 offset:4736
	s_waitcnt lgkmcnt(0)
	;;#ASMSTART
	v_dot2_f32_f16 v3, v16, v20, v3
	;;#ASMEND
	;;#ASMSTART
	v_dot2_f32_f16 v3, v17, v21, v3
	;;#ASMEND
	;;#ASMSTART
	v_dot2_f32_f16 v3, v18, v22, v3
	;;#ASMEND
	;;#ASMSTART
	v_dot2_f32_f16 v3, v19, v23, v3
	;;#ASMEND
	ds_load_b128 v[16:19], v30 offset:16
	ds_load_b128 v[20:23], v27 offset:4752
	s_waitcnt lgkmcnt(0)
	;;#ASMSTART
	v_dot2_f32_f16 v3, v16, v20, v3
	;;#ASMEND
	;;#ASMSTART
	v_dot2_f32_f16 v3, v17, v21, v3
	;;#ASMEND
	;;#ASMSTART
	v_dot2_f32_f16 v3, v18, v22, v3
	;;#ASMEND
	;;#ASMSTART
	v_dot2_f32_f16 v3, v19, v23, v3
	;;#ASMEND
	ds_load_b128 v[16:19], v30 offset:32
	;; [unrolled: 15-line block ×7, first 2 shown]
	ds_load_b128 v[20:23], v27 offset:4848
	s_waitcnt lgkmcnt(0)
	;;#ASMSTART
	v_dot2_f32_f16 v3, v16, v20, v3
	;;#ASMEND
	;;#ASMSTART
	v_dot2_f32_f16 v3, v17, v21, v3
	;;#ASMEND
	;; [unrolled: 3-line block ×4, first 2 shown]
	s_barrier
	buffer_gl0_inv
	s_clause 0x1
	scratch_store_b32 off, v6, off
	scratch_store_b96 off, v[0:2], off offset:4
	flat_load_b128 v[16:19], v[24:25]
	v_add_co_u32 v20, s5, 0x100, v10
	s_delay_alu instid0(VALU_DEP_1)
	v_add_co_ci_u32_e64 v21, s5, 0, v11, s5
	s_clause 0x1
	scratch_store_b32 off, v6, off
	scratch_store_b96 off, v[0:2], off offset:4
	v_cndmask_b32_e64 v20, 0, v20, s2
	v_cndmask_b32_e64 v21, s7, v21, s2
	s_waitcnt vmcnt(0) lgkmcnt(0)
	ds_store_b128 v7, v[16:19]
	flat_load_b128 v[16:19], v[20:21]
	v_add_co_u32 v20, s5, 0x100, v12
	s_delay_alu instid0(VALU_DEP_1)
	v_add_co_ci_u32_e64 v21, s5, 0, v13, s5
	s_clause 0x1
	scratch_store_b32 off, v6, off
	scratch_store_b96 off, v[0:2], off offset:4
	v_cndmask_b32_e64 v20, 0, v20, s3
	v_cndmask_b32_e64 v21, s7, v21, s3
	s_waitcnt vmcnt(0) lgkmcnt(0)
	ds_store_b128 v7, v[16:19] offset:1152
	flat_load_b128 v[16:19], v[20:21]
	v_add_co_u32 v20, s5, 0x100, v14
	s_delay_alu instid0(VALU_DEP_1)
	v_add_co_ci_u32_e64 v21, s5, 0, v15, s5
	s_clause 0x1
	scratch_store_b32 off, v6, off
	scratch_store_b96 off, v[0:2], off offset:4
	v_cndmask_b32_e64 v20, 0, v20, s4
	v_add_co_u32 v8, s5, 0x180, v8
	v_cndmask_b32_e64 v21, s7, v21, s4
	v_add_co_ci_u32_e64 v9, s5, 0, v9, s5
	s_delay_alu instid0(VALU_DEP_3) | instskip(NEXT) | instid1(VALU_DEP_2)
	v_cndmask_b32_e32 v8, 0, v8, vcc_lo
	v_cndmask_b32_e32 v9, s7, v9, vcc_lo
	s_waitcnt vmcnt(0) lgkmcnt(0)
	ds_store_b128 v7, v[16:19] offset:2304
	flat_load_b128 v[16:19], v[20:21]
	s_waitcnt vmcnt(0) lgkmcnt(0)
	ds_store_b128 v7, v[16:19] offset:3456
	s_waitcnt lgkmcnt(0)
	s_waitcnt_vscnt null, 0x0
	s_barrier
	buffer_gl0_inv
	ds_load_b128 v[16:19], v30
	ds_load_b128 v[20:23], v27 offset:4864
	s_waitcnt lgkmcnt(0)
	;;#ASMSTART
	v_dot2_f32_f16 v3, v16, v20, v3
	;;#ASMEND
	;;#ASMSTART
	v_dot2_f32_f16 v3, v17, v21, v3
	;;#ASMEND
	;;#ASMSTART
	v_dot2_f32_f16 v3, v18, v22, v3
	;;#ASMEND
	;;#ASMSTART
	v_dot2_f32_f16 v3, v19, v23, v3
	;;#ASMEND
	ds_load_b128 v[16:19], v30 offset:16
	ds_load_b128 v[20:23], v27 offset:4880
	s_waitcnt lgkmcnt(0)
	;;#ASMSTART
	v_dot2_f32_f16 v3, v16, v20, v3
	;;#ASMEND
	;;#ASMSTART
	v_dot2_f32_f16 v3, v17, v21, v3
	;;#ASMEND
	;;#ASMSTART
	v_dot2_f32_f16 v3, v18, v22, v3
	;;#ASMEND
	;;#ASMSTART
	v_dot2_f32_f16 v3, v19, v23, v3
	;;#ASMEND
	ds_load_b128 v[16:19], v30 offset:32
	;; [unrolled: 15-line block ×7, first 2 shown]
	ds_load_b128 v[20:23], v27 offset:4976
	s_waitcnt lgkmcnt(0)
	;;#ASMSTART
	v_dot2_f32_f16 v3, v16, v20, v3
	;;#ASMEND
	;;#ASMSTART
	v_dot2_f32_f16 v3, v17, v21, v3
	;;#ASMEND
	;; [unrolled: 3-line block ×4, first 2 shown]
	s_barrier
	buffer_gl0_inv
	s_clause 0x1
	scratch_store_b32 off, v6, off
	scratch_store_b96 off, v[0:2], off offset:4
	flat_load_b128 v[16:19], v[8:9]
	v_add_co_u32 v8, vcc_lo, 0x180, v10
	v_add_co_ci_u32_e32 v9, vcc_lo, 0, v11, vcc_lo
	s_clause 0x1
	scratch_store_b32 off, v6, off
	scratch_store_b96 off, v[0:2], off offset:4
	v_cndmask_b32_e64 v8, 0, v8, s2
	v_add_co_u32 v12, vcc_lo, 0x180, v12
	v_cndmask_b32_e64 v9, s7, v9, s2
	v_add_co_ci_u32_e32 v13, vcc_lo, 0, v13, vcc_lo
	s_delay_alu instid0(VALU_DEP_3) | instskip(SKIP_1) | instid1(VALU_DEP_2)
	v_cndmask_b32_e64 v12, 0, v12, s3
	s_mov_b32 s2, exec_lo
	v_cndmask_b32_e64 v13, s7, v13, s3
	s_waitcnt vmcnt(0) lgkmcnt(0)
	ds_store_b128 v7, v[16:19]
	flat_load_b128 v[8:11], v[8:9]
	s_clause 0x1
	scratch_store_b32 off, v6, off
	scratch_store_b96 off, v[0:2], off offset:4
	s_waitcnt vmcnt(0) lgkmcnt(0)
	ds_store_b128 v7, v[8:11] offset:1152
	flat_load_b128 v[8:11], v[12:13]
	v_add_co_u32 v12, vcc_lo, 0x180, v14
	v_add_co_ci_u32_e32 v13, vcc_lo, 0, v15, vcc_lo
	s_clause 0x1
	scratch_store_b32 off, v6, off
	scratch_store_b96 off, v[0:2], off offset:4
	v_mov_b32_e32 v0, v41
	v_cndmask_b32_e64 v12, 0, v12, s4
	v_cndmask_b32_e64 v13, s7, v13, s4
	s_waitcnt vmcnt(0) lgkmcnt(0)
	ds_store_b128 v7, v[8:11] offset:2304
	flat_load_b128 v[8:11], v[12:13]
	s_waitcnt vmcnt(0) lgkmcnt(0)
	ds_store_b128 v7, v[8:11] offset:3456
	s_waitcnt lgkmcnt(0)
	s_waitcnt_vscnt null, 0x0
	s_barrier
	buffer_gl0_inv
	ds_load_b128 v[7:10], v30
	ds_load_b128 v[11:14], v27 offset:4992
	s_waitcnt lgkmcnt(0)
	;;#ASMSTART
	v_dot2_f32_f16 v3, v7, v11, v3
	;;#ASMEND
	;;#ASMSTART
	v_dot2_f32_f16 v3, v8, v12, v3
	;;#ASMEND
	;;#ASMSTART
	v_dot2_f32_f16 v3, v9, v13, v3
	;;#ASMEND
	;;#ASMSTART
	v_dot2_f32_f16 v3, v10, v14, v3
	;;#ASMEND
	ds_load_b128 v[7:10], v30 offset:16
	ds_load_b128 v[11:14], v27 offset:5008
	s_waitcnt lgkmcnt(0)
	;;#ASMSTART
	v_dot2_f32_f16 v3, v7, v11, v3
	;;#ASMEND
	;;#ASMSTART
	v_dot2_f32_f16 v3, v8, v12, v3
	;;#ASMEND
	;;#ASMSTART
	v_dot2_f32_f16 v3, v9, v13, v3
	;;#ASMEND
	;;#ASMSTART
	v_dot2_f32_f16 v3, v10, v14, v3
	;;#ASMEND
	ds_load_b128 v[7:10], v30 offset:32
	;; [unrolled: 15-line block ×7, first 2 shown]
	ds_load_b128 v[11:14], v27 offset:5104
	s_waitcnt lgkmcnt(0)
	;;#ASMSTART
	v_dot2_f32_f16 v3, v7, v11, v3
	;;#ASMEND
	;;#ASMSTART
	v_dot2_f32_f16 v3, v8, v12, v3
	;;#ASMEND
	;; [unrolled: 3-line block ×4, first 2 shown]
	v_cmpx_gt_i32_e64 s18, v39
	s_cbranch_execz .LBB55_20
; %bb.17:
	s_cmp_eq_u64 s[40:41], 0
	s_cbranch_scc1 .LBB55_19
; %bb.18:
	v_mul_lo_u32 v0, v29, s16
	s_delay_alu instid0(VALU_DEP_1) | instskip(NEXT) | instid1(VALU_DEP_1)
	v_add3_u32 v0, v0, v39, s15
	v_ashrrev_i32_e32 v1, 31, v0
	s_delay_alu instid0(VALU_DEP_1) | instskip(NEXT) | instid1(VALU_DEP_1)
	v_lshlrev_b64 v[0:1], 1, v[0:1]
	v_add_co_u32 v0, vcc_lo, s40, v0
	s_delay_alu instid0(VALU_DEP_2) | instskip(SKIP_3) | instid1(VALU_DEP_1)
	v_add_co_ci_u32_e32 v1, vcc_lo, s41, v1, vcc_lo
	flat_load_u16 v0, v[0:1]
	s_waitcnt vmcnt(0) lgkmcnt(0)
	v_cvt_f32_f16_e32 v0, v0
	v_mul_f32_e32 v6, v28, v0
.LBB55_19:
	v_max_f32_e32 v1, v41, v41
	s_delay_alu instid0(VALU_DEP_2) | instskip(NEXT) | instid1(VALU_DEP_1)
	v_add_f32_e32 v3, v3, v6
	v_add_f32_e32 v0, 0x40051340, v3
	s_delay_alu instid0(VALU_DEP_1)
	v_max_f32_e32 v0, v1, v0
.LBB55_20:
	s_or_b32 exec_lo, exec_lo, s2
	v_xor_b32_e32 v59, 16, v51
	v_xor_b32_e32 v60, 8, v51
	;; [unrolled: 1-line block ×5, first 2 shown]
	v_cmp_gt_i32_e32 vcc_lo, 32, v59
	s_mov_b32 s4, 0
	s_mul_hi_i32 s7, s15, s8
	s_mul_i32 s6, s15, s8
	s_mov_b32 s5, s4
	v_cndmask_b32_e32 v1, v51, v59, vcc_lo
	v_cmp_gt_i32_e32 vcc_lo, 32, v60
	s_lshl_b64 s[16:17], s[6:7], 2
	s_mov_b32 s6, s4
	s_mov_b64 s[2:3], src_private_base
	v_dual_cndmask_b32 v2, v51, v60 :: v_dual_lshlrev_b32 v1, 2, v1
	v_cmp_gt_i32_e32 vcc_lo, 32, v61
	v_dual_mov_b32 v38, s6 :: v_dual_add_nc_u32 v69, 0x800, v52
	ds_bpermute_b32 v1, v1, v0
	v_max_f32_e32 v0, v0, v0
	v_lshlrev_b64 v[42:43], 2, v[4:5]
	s_lshl_b32 s2, s8, 1
	s_add_u32 s7, s9, s16
	s_addc_u32 s16, s13, s17
	v_lshlrev_b32_e32 v66, 6, v54
	v_mov_b32_e32 v68, 0
	v_mov_b32_e32 v36, s4
	s_waitcnt lgkmcnt(0)
	s_barrier
	buffer_gl0_inv
	v_add_nc_u32_e32 v4, s2, v4
	v_add_nc_u32_e32 v74, 4, v54
	;; [unrolled: 1-line block ×3, first 2 shown]
	v_lshlrev_b32_e32 v2, 2, v2
	v_lshlrev_b32_e32 v67, 2, v50
	v_mov_b32_e32 v37, s5
	s_clause 0x1
	scratch_store_b32 off, v68, off
	scratch_store_b96 off, v[36:38], off offset:4
	v_dual_max_f32 v1, v1, v1 :: v_dual_add_nc_u32 v76, v27, v67
	v_lshl_add_u32 v71, v74, 9, v67
	v_lshl_add_u32 v70, v72, 9, v67
	s_delay_alu instid0(VALU_DEP_3) | instskip(NEXT) | instid1(VALU_DEP_1)
	v_dual_max_f32 v0, v0, v1 :: v_dual_add_nc_u32 v75, 2, v54
	v_lshl_add_u32 v73, v75, 9, v67
	ds_bpermute_b32 v1, v2, v0
	v_cndmask_b32_e32 v2, v51, v61, vcc_lo
	v_cmp_gt_i32_e32 vcc_lo, 32, v62
	s_waitcnt lgkmcnt(0)
	s_delay_alu instid0(VALU_DEP_2) | instskip(NEXT) | instid1(VALU_DEP_1)
	v_dual_max_f32 v1, v1, v1 :: v_dual_lshlrev_b32 v2, 2, v2
	v_max_f32_e32 v0, v0, v1
	ds_bpermute_b32 v1, v2, v0
	v_cndmask_b32_e32 v2, v51, v62, vcc_lo
	v_cmp_gt_i32_e32 vcc_lo, 32, v63
	s_waitcnt lgkmcnt(0)
	s_delay_alu instid0(VALU_DEP_2) | instskip(NEXT) | instid1(VALU_DEP_1)
	v_dual_max_f32 v1, v1, v1 :: v_dual_lshlrev_b32 v2, 2, v2
	v_max_f32_e32 v0, v0, v1
	ds_bpermute_b32 v1, v2, v0
	v_cndmask_b32_e32 v2, v51, v63, vcc_lo
	s_waitcnt lgkmcnt(0)
	s_delay_alu instid0(VALU_DEP_1) | instskip(NEXT) | instid1(VALU_DEP_1)
	v_dual_max_f32 v1, v1, v1 :: v_dual_lshlrev_b32 v2, 2, v2
	v_max_f32_e32 v0, v0, v1
	ds_bpermute_b32 v1, v2, v0
	s_waitcnt lgkmcnt(0)
	v_max_f32_e32 v1, v1, v1
	s_delay_alu instid0(VALU_DEP_1) | instskip(NEXT) | instid1(VALU_DEP_1)
	v_max_f32_e32 v64, v0, v1
	v_sub_f32_e32 v0, v3, v64
	s_delay_alu instid0(VALU_DEP_1) | instskip(SKIP_1) | instid1(VALU_DEP_2)
	v_mul_f32_e32 v1, 0x3fb8aa3b, v0
	v_cmp_ngt_f32_e32 vcc_lo, 0xc2ce8ed0, v0
	v_fma_f32 v2, 0x3fb8aa3b, v0, -v1
	v_rndne_f32_e32 v3, v1
	s_delay_alu instid0(VALU_DEP_1) | instskip(SKIP_1) | instid1(VALU_DEP_2)
	v_dual_fmac_f32 v2, 0x32a5705f, v0 :: v_dual_sub_f32 v1, v1, v3
	v_cvt_i32_f32_e32 v3, v3
	v_dual_add_f32 v1, v1, v2 :: v_dual_lshlrev_b32 v2, 1, v39
	s_delay_alu instid0(VALU_DEP_1) | instskip(NEXT) | instid1(VALU_DEP_1)
	v_exp_f32_e32 v1, v1
	v_add3_u32 v2, 0x1600, v66, v2
	s_waitcnt_depctr 0xfff
	v_ldexp_f32 v1, v1, v3
	s_delay_alu instid0(VALU_DEP_1) | instskip(SKIP_3) | instid1(VALU_DEP_4)
	v_cndmask_b32_e32 v1, 0, v1, vcc_lo
	v_add_co_u32 v3, vcc_lo, s7, v42
	v_add_co_ci_u32_e32 v5, vcc_lo, s16, v43, vcc_lo
	v_cmp_nlt_f32_e32 vcc_lo, 0x42b17218, v0
	v_cndmask_b32_e32 v0, 0x7f800000, v1, vcc_lo
	s_delay_alu instid0(VALU_DEP_4) | instskip(NEXT) | instid1(VALU_DEP_4)
	v_add_co_u32 v1, vcc_lo, v3, v67
	v_add_co_ci_u32_e32 v3, vcc_lo, 0, v5, vcc_lo
	v_cmp_gt_u32_e32 vcc_lo, s18, v39
	s_delay_alu instid0(VALU_DEP_4) | instskip(SKIP_1) | instid1(VALU_DEP_2)
	v_cndmask_b32_e32 v65, 0, v0, vcc_lo
	v_cmp_gt_i32_e32 vcc_lo, s18, v54
	v_cvt_f16_f32_e32 v5, v65
	v_cndmask_b32_e32 v0, 0, v1, vcc_lo
	v_cndmask_b32_e32 v1, s3, v3, vcc_lo
	ds_store_b16 v2, v5
	v_ashrrev_i32_e32 v5, 31, v4
	flat_load_b128 v[0:3], v[0:1]
	s_clause 0x1
	scratch_store_b32 off, v68, off
	scratch_store_b96 off, v[36:38], off offset:4
	v_lshlrev_b64 v[46:47], 2, v[4:5]
	v_add_nc_u32_e32 v4, s2, v4
	s_delay_alu instid0(VALU_DEP_2) | instskip(NEXT) | instid1(VALU_DEP_3)
	v_add_co_u32 v5, vcc_lo, s7, v46
	v_add_co_ci_u32_e32 v6, vcc_lo, s16, v47, vcc_lo
	s_delay_alu instid0(VALU_DEP_2) | instskip(NEXT) | instid1(VALU_DEP_2)
	v_add_co_u32 v5, vcc_lo, v5, v67
	v_add_co_ci_u32_e32 v6, vcc_lo, 0, v6, vcc_lo
	v_cmp_gt_i32_e32 vcc_lo, s18, v75
	s_delay_alu instid0(VALU_DEP_3) | instskip(NEXT) | instid1(VALU_DEP_3)
	v_cndmask_b32_e32 v5, 0, v5, vcc_lo
	v_cndmask_b32_e32 v6, s3, v6, vcc_lo
	s_waitcnt vmcnt(0) lgkmcnt(0)
	ds_store_b128 v76, v[0:3]
	flat_load_b128 v[0:3], v[5:6]
	v_ashrrev_i32_e32 v5, 31, v4
	s_clause 0x1
	scratch_store_b32 off, v68, off
	scratch_store_b96 off, v[36:38], off offset:4
	v_lshlrev_b64 v[48:49], 2, v[4:5]
	v_add_nc_u32_e32 v4, s2, v4
	s_or_b32 s2, s15, 8
	s_delay_alu instid0(SALU_CYCLE_1) | instskip(SKIP_1) | instid1(VALU_DEP_2)
	s_mul_hi_i32 s5, s2, s8
	s_mul_i32 s4, s2, s8
	v_add_co_u32 v5, vcc_lo, s7, v48
	v_add_co_ci_u32_e32 v6, vcc_lo, s16, v49, vcc_lo
	s_lshl_b64 s[4:5], s[4:5], 2
	s_delay_alu instid0(VALU_DEP_2) | instskip(NEXT) | instid1(VALU_DEP_2)
	v_add_co_u32 v5, vcc_lo, v5, v67
	v_add_co_ci_u32_e32 v6, vcc_lo, 0, v6, vcc_lo
	v_cmp_gt_i32_e32 vcc_lo, s18, v74
	s_add_u32 s2, s9, s4
	s_addc_u32 s4, s13, s5
	s_add_i32 s5, s18, -8
	v_cndmask_b32_e32 v5, 0, v5, vcc_lo
	v_cndmask_b32_e32 v6, s3, v6, vcc_lo
	s_waitcnt vmcnt(0) lgkmcnt(0)
	ds_store_b128 v73, v[0:3]
	flat_load_b128 v[0:3], v[5:6]
	v_ashrrev_i32_e32 v5, 31, v4
	s_delay_alu instid0(VALU_DEP_1) | instskip(NEXT) | instid1(VALU_DEP_1)
	v_lshlrev_b64 v[44:45], 2, v[4:5]
	v_add_co_u32 v4, vcc_lo, s7, v44
	s_delay_alu instid0(VALU_DEP_2) | instskip(NEXT) | instid1(VALU_DEP_2)
	v_add_co_ci_u32_e32 v5, vcc_lo, s16, v45, vcc_lo
	v_add_co_u32 v4, vcc_lo, v4, v67
	s_delay_alu instid0(VALU_DEP_2) | instskip(SKIP_1) | instid1(VALU_DEP_3)
	v_add_co_ci_u32_e32 v5, vcc_lo, 0, v5, vcc_lo
	v_cmp_gt_i32_e32 vcc_lo, s18, v72
	v_cndmask_b32_e32 v4, 0, v4, vcc_lo
	s_delay_alu instid0(VALU_DEP_3)
	v_cndmask_b32_e32 v5, s3, v5, vcc_lo
	s_clause 0x1
	scratch_store_b32 off, v68, off
	scratch_store_b96 off, v[36:38], off offset:4
	s_waitcnt vmcnt(0) lgkmcnt(0)
	ds_store_b128 v71, v[0:3]
	flat_load_b128 v[0:3], v[4:5]
	v_add_co_u32 v4, vcc_lo, s2, v42
	v_add_co_ci_u32_e32 v5, vcc_lo, s4, v43, vcc_lo
	s_delay_alu instid0(VALU_DEP_2) | instskip(NEXT) | instid1(VALU_DEP_2)
	v_add_co_u32 v4, vcc_lo, v4, v67
	v_add_co_ci_u32_e32 v5, vcc_lo, 0, v5, vcc_lo
	v_cmp_gt_i32_e32 vcc_lo, s5, v54
	s_delay_alu instid0(VALU_DEP_3) | instskip(NEXT) | instid1(VALU_DEP_3)
	v_cndmask_b32_e32 v77, 0, v4, vcc_lo
	v_cndmask_b32_e32 v78, s3, v5, vcc_lo
	v_add_co_u32 v81, vcc_lo, s2, v46
	v_add_co_ci_u32_e32 v82, vcc_lo, s4, v47, vcc_lo
	s_delay_alu instid0(VALU_DEP_2) | instskip(NEXT) | instid1(VALU_DEP_2)
	v_add_co_u32 v81, vcc_lo, v81, v67
	v_add_co_ci_u32_e32 v82, vcc_lo, 0, v82, vcc_lo
	v_cmp_gt_i32_e32 vcc_lo, s5, v75
	s_delay_alu instid0(VALU_DEP_3) | instskip(NEXT) | instid1(VALU_DEP_3)
	v_cndmask_b32_e32 v81, 0, v81, vcc_lo
	v_cndmask_b32_e32 v82, s3, v82, vcc_lo
	s_waitcnt vmcnt(0) lgkmcnt(0)
	ds_store_b128 v70, v[0:3]
	s_waitcnt lgkmcnt(0)
	s_waitcnt_vscnt null, 0x0
	s_barrier
	buffer_gl0_inv
	ds_load_2addr_b64 v[32:35], v52 offset1:32
	ds_load_b128 v[0:3], v66 offset:5632
	ds_load_2addr_b64 v[28:31], v52 offset0:64 offset1:96
	ds_load_2addr_b64 v[24:27], v52 offset0:128 offset1:160
	;; [unrolled: 1-line block ×3, first 2 shown]
	ds_load_2addr_b64 v[16:19], v69 offset1:32
	ds_load_2addr_b64 v[12:15], v69 offset0:64 offset1:96
	ds_load_2addr_b64 v[8:11], v69 offset0:128 offset1:160
	;; [unrolled: 1-line block ×3, first 2 shown]
	s_waitcnt lgkmcnt(0)
	s_barrier
	buffer_gl0_inv
	s_clause 0x1
	scratch_store_b32 off, v68, off
	scratch_store_b96 off, v[36:38], off offset:4
	flat_load_b128 v[77:80], v[77:78]
	s_clause 0x1
	scratch_store_b32 off, v68, off
	scratch_store_b96 off, v[36:38], off offset:4
	v_pk_mul_f16 v32, v32, v0 op_sel_hi:[1,0]
	v_pk_mul_f16 v33, v33, v0 op_sel_hi:[1,0]
	s_waitcnt vmcnt(0) lgkmcnt(0)
	ds_store_b128 v76, v[77:80]
	flat_load_b128 v[77:80], v[81:82]
	v_add_co_u32 v81, vcc_lo, s2, v48
	v_add_co_ci_u32_e32 v82, vcc_lo, s4, v49, vcc_lo
	s_clause 0x1
	scratch_store_b32 off, v68, off
	scratch_store_b96 off, v[36:38], off offset:4
	v_add_co_u32 v81, vcc_lo, v81, v67
	v_add_co_ci_u32_e32 v82, vcc_lo, 0, v82, vcc_lo
	v_cmp_gt_i32_e32 vcc_lo, s5, v74
	s_delay_alu instid0(VALU_DEP_3) | instskip(NEXT) | instid1(VALU_DEP_3)
	v_cndmask_b32_e32 v81, 0, v81, vcc_lo
	v_cndmask_b32_e32 v82, s3, v82, vcc_lo
	s_waitcnt vmcnt(0) lgkmcnt(0)
	ds_store_b128 v73, v[77:80]
	flat_load_b128 v[77:80], v[81:82]
	v_add_co_u32 v81, vcc_lo, s2, v44
	v_add_co_ci_u32_e32 v82, vcc_lo, s4, v45, vcc_lo
	s_clause 0x1
	scratch_store_b32 off, v68, off
	scratch_store_b96 off, v[36:38], off offset:4
	v_add_co_u32 v81, vcc_lo, v81, v67
	v_add_co_ci_u32_e32 v82, vcc_lo, 0, v82, vcc_lo
	v_cmp_gt_i32_e32 vcc_lo, s5, v72
	s_or_b32 s2, s15, 16
	s_delay_alu instid0(SALU_CYCLE_1) | instskip(SKIP_4) | instid1(SALU_CYCLE_1)
	s_mul_hi_i32 s5, s2, s8
	s_mul_i32 s4, s2, s8
	v_cndmask_b32_e32 v81, 0, v81, vcc_lo
	v_cndmask_b32_e32 v82, s3, v82, vcc_lo
	s_lshl_b64 s[4:5], s[4:5], 2
	s_add_u32 s2, s9, s4
	s_addc_u32 s4, s13, s5
	s_add_i32 s5, s18, -16
	s_waitcnt vmcnt(0) lgkmcnt(0)
	ds_store_b128 v71, v[77:80]
	flat_load_b128 v[77:80], v[81:82]
	v_add_co_u32 v81, vcc_lo, s2, v42
	v_add_co_ci_u32_e32 v82, vcc_lo, s4, v43, vcc_lo
	s_delay_alu instid0(VALU_DEP_2) | instskip(NEXT) | instid1(VALU_DEP_2)
	v_add_co_u32 v81, vcc_lo, v81, v67
	v_add_co_ci_u32_e32 v82, vcc_lo, 0, v82, vcc_lo
	v_cmp_gt_i32_e32 vcc_lo, s5, v54
	s_delay_alu instid0(VALU_DEP_3) | instskip(NEXT) | instid1(VALU_DEP_3)
	v_cndmask_b32_e32 v113, 0, v81, vcc_lo
	v_cndmask_b32_e32 v114, s3, v82, vcc_lo
	v_add_co_u32 v117, vcc_lo, s2, v46
	v_add_co_ci_u32_e32 v118, vcc_lo, s4, v47, vcc_lo
	s_delay_alu instid0(VALU_DEP_2) | instskip(NEXT) | instid1(VALU_DEP_2)
	v_add_co_u32 v117, vcc_lo, v117, v67
	v_add_co_ci_u32_e32 v118, vcc_lo, 0, v118, vcc_lo
	v_cmp_gt_i32_e32 vcc_lo, s5, v75
	s_delay_alu instid0(VALU_DEP_3) | instskip(NEXT) | instid1(VALU_DEP_3)
	v_cndmask_b32_e32 v117, 0, v117, vcc_lo
	v_cndmask_b32_e32 v118, s3, v118, vcc_lo
	s_waitcnt vmcnt(0) lgkmcnt(0)
	ds_store_b128 v70, v[77:80]
	s_waitcnt lgkmcnt(0)
	s_waitcnt_vscnt null, 0x0
	s_barrier
	buffer_gl0_inv
	ds_load_2addr_b64 v[77:80], v52 offset1:32
	ds_load_b128 v[81:84], v66 offset:5648
	ds_load_2addr_b64 v[85:88], v52 offset0:64 offset1:96
	ds_load_2addr_b64 v[89:92], v52 offset0:128 offset1:160
	;; [unrolled: 1-line block ×3, first 2 shown]
	ds_load_2addr_b64 v[97:100], v69 offset1:32
	ds_load_2addr_b64 v[101:104], v69 offset0:64 offset1:96
	ds_load_2addr_b64 v[105:108], v69 offset0:128 offset1:160
	;; [unrolled: 1-line block ×3, first 2 shown]
	s_waitcnt lgkmcnt(0)
	s_barrier
	buffer_gl0_inv
	s_clause 0x1
	scratch_store_b32 off, v68, off
	scratch_store_b96 off, v[36:38], off offset:4
	flat_load_b128 v[113:116], v[113:114]
	s_clause 0x1
	scratch_store_b32 off, v68, off
	scratch_store_b96 off, v[36:38], off offset:4
	s_waitcnt vmcnt(0) lgkmcnt(0)
	ds_store_b128 v76, v[113:116]
	flat_load_b128 v[113:116], v[117:118]
	v_add_co_u32 v117, vcc_lo, s2, v48
	v_add_co_ci_u32_e32 v118, vcc_lo, s4, v49, vcc_lo
	s_clause 0x1
	scratch_store_b32 off, v68, off
	scratch_store_b96 off, v[36:38], off offset:4
	v_add_co_u32 v117, vcc_lo, v117, v67
	v_add_co_ci_u32_e32 v118, vcc_lo, 0, v118, vcc_lo
	v_cmp_gt_i32_e32 vcc_lo, s5, v74
	s_delay_alu instid0(VALU_DEP_3) | instskip(NEXT) | instid1(VALU_DEP_3)
	v_cndmask_b32_e32 v117, 0, v117, vcc_lo
	v_cndmask_b32_e32 v118, s3, v118, vcc_lo
	s_waitcnt vmcnt(0) lgkmcnt(0)
	ds_store_b128 v73, v[113:116]
	flat_load_b128 v[113:116], v[117:118]
	v_add_co_u32 v117, vcc_lo, s2, v44
	v_add_co_ci_u32_e32 v118, vcc_lo, s4, v45, vcc_lo
	s_clause 0x1
	scratch_store_b32 off, v68, off
	scratch_store_b96 off, v[36:38], off offset:4
	v_add_co_u32 v117, vcc_lo, v117, v67
	v_add_co_ci_u32_e32 v118, vcc_lo, 0, v118, vcc_lo
	v_cmp_gt_i32_e32 vcc_lo, s5, v72
	s_or_b32 s2, s15, 24
	s_delay_alu instid0(SALU_CYCLE_1) | instskip(SKIP_4) | instid1(SALU_CYCLE_1)
	s_mul_hi_i32 s5, s2, s8
	s_mul_i32 s4, s2, s8
	v_cndmask_b32_e32 v117, 0, v117, vcc_lo
	v_cndmask_b32_e32 v118, s3, v118, vcc_lo
	s_lshl_b64 s[4:5], s[4:5], 2
	s_add_u32 s2, s9, s4
	s_addc_u32 s4, s13, s5
	v_add_co_u32 v42, vcc_lo, s2, v42
	v_add_co_ci_u32_e32 v43, vcc_lo, s4, v43, vcc_lo
	s_sub_i32 s5, s18, 24
	s_delay_alu instid0(VALU_DEP_2) | instskip(NEXT) | instid1(VALU_DEP_2)
	v_add_co_u32 v42, vcc_lo, v42, v67
	v_add_co_ci_u32_e32 v43, vcc_lo, 0, v43, vcc_lo
	v_cmp_gt_i32_e32 vcc_lo, s5, v54
	s_delay_alu instid0(VALU_DEP_3) | instskip(NEXT) | instid1(VALU_DEP_3)
	v_cndmask_b32_e32 v42, 0, v42, vcc_lo
	v_cndmask_b32_e32 v43, s3, v43, vcc_lo
	s_waitcnt vmcnt(0) lgkmcnt(0)
	ds_store_b128 v71, v[113:116]
	flat_load_b128 v[113:116], v[117:118]
	s_waitcnt vmcnt(0) lgkmcnt(0)
	ds_store_b128 v70, v[113:116]
	s_waitcnt lgkmcnt(0)
	s_waitcnt_vscnt null, 0x0
	s_barrier
	buffer_gl0_inv
	ds_load_2addr_b64 v[113:116], v52 offset1:32
	ds_load_b128 v[117:120], v66 offset:5664
	ds_load_2addr_b64 v[121:124], v52 offset0:64 offset1:96
	ds_load_2addr_b64 v[125:128], v52 offset0:128 offset1:160
	;; [unrolled: 1-line block ×3, first 2 shown]
	ds_load_2addr_b64 v[133:136], v69 offset1:32
	ds_load_2addr_b64 v[137:140], v69 offset0:64 offset1:96
	ds_load_2addr_b64 v[141:144], v69 offset0:128 offset1:160
	;; [unrolled: 1-line block ×3, first 2 shown]
	s_waitcnt lgkmcnt(0)
	s_barrier
	buffer_gl0_inv
	s_clause 0x1
	scratch_store_b32 off, v68, off
	scratch_store_b96 off, v[36:38], off offset:4
	flat_load_b128 v[149:152], v[42:43]
	v_add_co_u32 v42, vcc_lo, s2, v46
	v_add_co_ci_u32_e32 v43, vcc_lo, s4, v47, vcc_lo
	s_clause 0x1
	scratch_store_b32 off, v68, off
	scratch_store_b96 off, v[36:38], off offset:4
	v_add_co_u32 v42, vcc_lo, v42, v67
	v_add_co_ci_u32_e32 v43, vcc_lo, 0, v43, vcc_lo
	v_cmp_gt_i32_e32 vcc_lo, s5, v75
	s_delay_alu instid0(VALU_DEP_3) | instskip(NEXT) | instid1(VALU_DEP_3)
	v_cndmask_b32_e32 v42, 0, v42, vcc_lo
	v_cndmask_b32_e32 v43, s3, v43, vcc_lo
	s_waitcnt vmcnt(0) lgkmcnt(0)
	ds_store_b128 v76, v[149:152]
	flat_load_b128 v[149:152], v[42:43]
	v_add_co_u32 v42, vcc_lo, s2, v48
	v_add_co_ci_u32_e32 v43, vcc_lo, s4, v49, vcc_lo
	s_clause 0x1
	scratch_store_b32 off, v68, off
	scratch_store_b96 off, v[36:38], off offset:4
	v_add_co_u32 v42, vcc_lo, v42, v67
	v_add_co_ci_u32_e32 v43, vcc_lo, 0, v43, vcc_lo
	v_cmp_gt_i32_e32 vcc_lo, s5, v74
	s_delay_alu instid0(VALU_DEP_3) | instskip(NEXT) | instid1(VALU_DEP_3)
	v_cndmask_b32_e32 v42, 0, v42, vcc_lo
	v_cndmask_b32_e32 v43, s3, v43, vcc_lo
	s_waitcnt vmcnt(0) lgkmcnt(0)
	ds_store_b128 v73, v[149:152]
	flat_load_b128 v[46:49], v[42:43]
	v_add_co_u32 v42, vcc_lo, s2, v44
	v_add_co_ci_u32_e32 v43, vcc_lo, s4, v45, vcc_lo
	s_clause 0x1
	scratch_store_b96 off, v[36:38], off offset:4
	scratch_store_b32 off, v68, off
	v_add_co_u32 v42, vcc_lo, v42, v67
	v_add_co_ci_u32_e32 v43, vcc_lo, 0, v43, vcc_lo
	v_cmp_gt_i32_e32 vcc_lo, s5, v72
	v_sub_f32_e32 v36, v41, v64
	s_delay_alu instid0(VALU_DEP_4) | instskip(NEXT) | instid1(VALU_DEP_4)
	v_cndmask_b32_e32 v42, 0, v42, vcc_lo
	v_cndmask_b32_e32 v43, s3, v43, vcc_lo
	s_delay_alu instid0(VALU_DEP_3) | instskip(SKIP_1) | instid1(VALU_DEP_2)
	v_mul_f32_e32 v37, 0x3fb8aa3b, v36
	v_cmp_ngt_f32_e32 vcc_lo, 0xc2ce8ed0, v36
	v_fma_f32 v38, 0x3fb8aa3b, v36, -v37
	v_rndne_f32_e32 v41, v37
	s_delay_alu instid0(VALU_DEP_1) | instskip(NEXT) | instid1(VALU_DEP_1)
	v_dual_fmac_f32 v38, 0x32a5705f, v36 :: v_dual_sub_f32 v37, v37, v41
	v_add_f32_e32 v37, v37, v38
	v_cvt_i32_f32_e32 v38, v41
	s_delay_alu instid0(VALU_DEP_2) | instskip(SKIP_2) | instid1(VALU_DEP_1)
	v_exp_f32_e32 v37, v37
	s_waitcnt_depctr 0xfff
	v_ldexp_f32 v37, v37, v38
	v_cndmask_b32_e32 v37, 0, v37, vcc_lo
	v_cmp_nlt_f32_e32 vcc_lo, 0x42b17218, v36
	s_delay_alu instid0(VALU_DEP_2) | instskip(NEXT) | instid1(VALU_DEP_1)
	v_cndmask_b32_e32 v36, 0x7f800000, v37, vcc_lo
	v_cvt_f16_f32_e32 v37, v36
	v_fma_f32 v53, v53, v36, v65
	s_delay_alu instid0(VALU_DEP_2) | instskip(SKIP_3) | instid1(VALU_DEP_4)
	v_pk_mul_f16 v38, v37, v57 op_sel_hi:[0,1]
	v_pk_mul_f16 v41, v37, v55 op_sel_hi:[0,1]
	v_pk_fma_f16 v32, v56, v37, v32 op_sel_hi:[1,0,1]
	v_pk_fma_f16 v33, v58, v37, v33 op_sel_hi:[1,0,1]
	;; [unrolled: 1-line block ×3, first 2 shown]
	s_delay_alu instid0(VALU_DEP_4) | instskip(NEXT) | instid1(VALU_DEP_4)
	v_pk_fma_f16 v35, v35, v0, v41 op_sel_hi:[1,0,1]
	v_pk_fma_f16 v28, v28, v0, v32 op_sel:[0,1,0]
	s_delay_alu instid0(VALU_DEP_4)
	v_pk_fma_f16 v29, v29, v0, v33 op_sel:[0,1,0]
	v_mov_b32_e32 v41, v64
	v_pk_fma_f16 v30, v30, v0, v34 op_sel:[0,1,0]
	v_pk_fma_f16 v0, v31, v0, v35 op_sel:[0,1,0]
	v_pk_fma_f16 v24, v24, v1, v28 op_sel_hi:[1,0,1]
	v_pk_fma_f16 v25, v25, v1, v29 op_sel_hi:[1,0,1]
	s_delay_alu instid0(VALU_DEP_4) | instskip(NEXT) | instid1(VALU_DEP_4)
	v_pk_fma_f16 v26, v26, v1, v30 op_sel_hi:[1,0,1]
	v_pk_fma_f16 v0, v27, v1, v0 op_sel_hi:[1,0,1]
	s_delay_alu instid0(VALU_DEP_4) | instskip(NEXT) | instid1(VALU_DEP_4)
	v_pk_fma_f16 v20, v20, v1, v24 op_sel:[0,1,0]
	v_pk_fma_f16 v21, v21, v1, v25 op_sel:[0,1,0]
	s_delay_alu instid0(VALU_DEP_4) | instskip(NEXT) | instid1(VALU_DEP_4)
	v_pk_fma_f16 v22, v22, v1, v26 op_sel:[0,1,0]
	v_pk_fma_f16 v0, v23, v1, v0 op_sel:[0,1,0]
	s_delay_alu instid0(VALU_DEP_4) | instskip(NEXT) | instid1(VALU_DEP_4)
	v_pk_fma_f16 v1, v16, v2, v20 op_sel_hi:[1,0,1]
	v_pk_fma_f16 v16, v17, v2, v21 op_sel_hi:[1,0,1]
	s_delay_alu instid0(VALU_DEP_4) | instskip(NEXT) | instid1(VALU_DEP_4)
	v_pk_fma_f16 v17, v18, v2, v22 op_sel_hi:[1,0,1]
	v_pk_fma_f16 v0, v19, v2, v0 op_sel_hi:[1,0,1]
	s_delay_alu instid0(VALU_DEP_4) | instskip(NEXT) | instid1(VALU_DEP_4)
	v_pk_fma_f16 v1, v12, v2, v1 op_sel:[0,1,0]
	v_pk_fma_f16 v12, v13, v2, v16 op_sel:[0,1,0]
	s_delay_alu instid0(VALU_DEP_4) | instskip(NEXT) | instid1(VALU_DEP_4)
	v_pk_fma_f16 v13, v14, v2, v17 op_sel:[0,1,0]
	v_pk_fma_f16 v0, v15, v2, v0 op_sel:[0,1,0]
	s_delay_alu instid0(VALU_DEP_4) | instskip(NEXT) | instid1(VALU_DEP_4)
	;; [unrolled: 12-line block ×10, first 2 shown]
	v_pk_fma_f16 v19, v141, v120, v15 op_sel_hi:[1,0,1]
	v_pk_fma_f16 v20, v142, v120, v16 op_sel_hi:[1,0,1]
	s_delay_alu instid0(VALU_DEP_4) | instskip(NEXT) | instid1(VALU_DEP_4)
	v_pk_fma_f16 v21, v143, v120, v17 op_sel_hi:[1,0,1]
	v_pk_fma_f16 v22, v144, v120, v18 op_sel_hi:[1,0,1]
	s_delay_alu instid0(VALU_DEP_4) | instskip(NEXT) | instid1(VALU_DEP_4)
	v_pk_fma_f16 v24, v145, v120, v19 op_sel:[0,1,0]
	v_pk_fma_f16 v25, v146, v120, v20 op_sel:[0,1,0]
	s_delay_alu instid0(VALU_DEP_4) | instskip(NEXT) | instid1(VALU_DEP_4)
	v_pk_fma_f16 v26, v147, v120, v21 op_sel:[0,1,0]
	v_pk_fma_f16 v27, v148, v120, v22 op_sel:[0,1,0]
	s_waitcnt vmcnt(0) lgkmcnt(0)
	ds_store_b128 v71, v[46:49]
	flat_load_b128 v[42:45], v[42:43]
	s_waitcnt vmcnt(0) lgkmcnt(0)
	ds_store_b128 v70, v[42:45]
	s_waitcnt lgkmcnt(0)
	s_waitcnt_vscnt null, 0x0
	s_barrier
	buffer_gl0_inv
	ds_load_2addr_b64 v[0:3], v52 offset1:32
	ds_load_b128 v[4:7], v66 offset:5680
	ds_load_2addr_b64 v[8:11], v52 offset0:64 offset1:96
	ds_load_2addr_b64 v[12:15], v52 offset0:128 offset1:160
	;; [unrolled: 1-line block ×3, first 2 shown]
	ds_load_2addr_b64 v[20:23], v69 offset1:32
	s_waitcnt lgkmcnt(4)
	v_pk_fma_f16 v0, v0, v4, v24 op_sel_hi:[1,0,1]
	v_pk_fma_f16 v1, v1, v4, v25 op_sel_hi:[1,0,1]
	;; [unrolled: 1-line block ×4, first 2 shown]
	ds_load_2addr_b64 v[24:27], v69 offset0:64 offset1:96
	s_waitcnt lgkmcnt(4)
	v_pk_fma_f16 v0, v8, v4, v0 op_sel:[0,1,0]
	v_pk_fma_f16 v8, v9, v4, v1 op_sel:[0,1,0]
	;; [unrolled: 1-line block ×4, first 2 shown]
	ds_load_2addr_b64 v[1:4], v69 offset0:128 offset1:160
	s_waitcnt lgkmcnt(4)
	v_pk_fma_f16 v0, v12, v5, v0 op_sel_hi:[1,0,1]
	v_pk_fma_f16 v12, v13, v5, v8 op_sel_hi:[1,0,1]
	;; [unrolled: 1-line block ×4, first 2 shown]
	ds_load_2addr_b64 v[8:11], v69 offset0:192 offset1:224
	s_waitcnt lgkmcnt(4)
	v_pk_fma_f16 v0, v16, v5, v0 op_sel:[0,1,0]
	v_pk_fma_f16 v12, v17, v5, v12 op_sel:[0,1,0]
	;; [unrolled: 1-line block ×4, first 2 shown]
	s_waitcnt lgkmcnt(0)
	v_pk_fma_f16 v14, v20, v6, v0 op_sel_hi:[1,0,1]
	v_mov_b32_e32 v0, 32
	v_pk_fma_f16 v12, v21, v6, v12 op_sel_hi:[1,0,1]
	v_pk_fma_f16 v13, v22, v6, v13 op_sel_hi:[1,0,1]
	;; [unrolled: 1-line block ×3, first 2 shown]
	v_pk_fma_f16 v14, v24, v6, v14 op_sel:[0,1,0]
	s_barrier
	v_pk_fma_f16 v12, v25, v6, v12 op_sel:[0,1,0]
	v_pk_fma_f16 v13, v26, v6, v13 op_sel:[0,1,0]
	;; [unrolled: 1-line block ×3, first 2 shown]
	v_pk_fma_f16 v1, v1, v7, v14 op_sel_hi:[1,0,1]
	buffer_gl0_inv
	v_pk_fma_f16 v2, v2, v7, v12 op_sel_hi:[1,0,1]
	v_pk_fma_f16 v3, v3, v7, v13 op_sel_hi:[1,0,1]
	;; [unrolled: 1-line block ×3, first 2 shown]
	v_pk_fma_f16 v56, v8, v7, v1 op_sel:[0,1,0]
	v_mov_b32_e32 v1, v51
	v_pk_fma_f16 v58, v9, v7, v2 op_sel:[0,1,0]
	v_pk_fma_f16 v57, v10, v7, v3 op_sel:[0,1,0]
	;; [unrolled: 1-line block ×3, first 2 shown]
.LBB55_21:
	v_cmp_lt_i32_e32 vcc_lo, v59, v0
	s_cmp_eq_u64 s[24:25], 0
	s_cselect_b32 s2, -1, 0
	s_cmp_lg_u32 s14, 0
	v_cndmask_b32_e32 v2, v1, v59, vcc_lo
	v_cmp_lt_i32_e32 vcc_lo, v60, v0
	s_cselect_b32 s3, -1, 0
	s_delay_alu instid0(SALU_CYCLE_1) | instskip(NEXT) | instid1(VALU_DEP_2)
	s_or_b32 s2, s3, s2
	v_dual_cndmask_b32 v3, v1, v60 :: v_dual_lshlrev_b32 v2, 2, v2
	v_cmp_lt_i32_e32 vcc_lo, v61, v0
	ds_bpermute_b32 v2, v2, v53
	v_dual_cndmask_b32 v4, v1, v61 :: v_dual_lshlrev_b32 v3, 2, v3
	v_cmp_lt_i32_e32 vcc_lo, v62, v0
	s_delay_alu instid0(VALU_DEP_2)
	v_lshlrev_b32_e32 v4, 2, v4
	s_waitcnt lgkmcnt(0)
	v_add_f32_e32 v2, v53, v2
	ds_bpermute_b32 v3, v3, v2
	s_waitcnt lgkmcnt(0)
	v_add_f32_e32 v2, v2, v3
	ds_bpermute_b32 v3, v4, v2
	v_cndmask_b32_e32 v4, v1, v62, vcc_lo
	v_cmp_lt_i32_e32 vcc_lo, v63, v0
	s_delay_alu instid0(VALU_DEP_2) | instskip(SKIP_2) | instid1(VALU_DEP_1)
	v_lshlrev_b32_e32 v4, 2, v4
	v_cndmask_b32_e32 v0, v1, v63, vcc_lo
	s_and_b32 vcc_lo, exec_lo, s2
	v_lshlrev_b32_e32 v0, 2, v0
	s_waitcnt lgkmcnt(0)
	v_add_f32_e32 v2, v2, v3
	ds_bpermute_b32 v3, v4, v2
	s_waitcnt lgkmcnt(0)
	v_add_f32_e32 v1, v2, v3
	ds_bpermute_b32 v0, v0, v1
	s_waitcnt lgkmcnt(0)
	v_add_f32_e32 v42, v1, v0
	s_cbranch_vccnz .LBB55_23
; %bb.22:
	s_lshl_b64 s[2:3], s[34:35], 2
	v_dual_mov_b32 v0, 0 :: v_dual_max_f32 v1, v41, v41
	s_add_u32 s2, s24, s2
	s_addc_u32 s3, s25, s3
	global_load_b32 v0, v0, s[2:3]
	s_waitcnt vmcnt(0)
	v_max_f32_e32 v2, v0, v0
	s_delay_alu instid0(VALU_DEP_1) | instskip(NEXT) | instid1(VALU_DEP_1)
	v_max_f32_e32 v1, v1, v2
	v_sub_f32_e32 v0, v0, v1
	s_delay_alu instid0(VALU_DEP_1) | instskip(NEXT) | instid1(VALU_DEP_1)
	v_mul_f32_e32 v4, 0x3fb8aa3b, v0
	v_fma_f32 v7, 0x3fb8aa3b, v0, -v4
	v_sub_f32_e32 v2, v41, v1
	v_rndne_f32_e32 v8, v4
	v_mov_b32_e32 v41, v1
	s_delay_alu instid0(VALU_DEP_4) | instskip(NEXT) | instid1(VALU_DEP_3)
	v_fmac_f32_e32 v7, 0x32a5705f, v0
	v_dual_mul_f32 v3, 0x3fb8aa3b, v2 :: v_dual_sub_f32 v4, v4, v8
	v_cmp_ngt_f32_e32 vcc_lo, 0xc2ce8ed0, v2
	s_delay_alu instid0(VALU_DEP_2) | instskip(SKIP_1) | instid1(VALU_DEP_2)
	v_fma_f32 v5, 0x3fb8aa3b, v2, -v3
	v_rndne_f32_e32 v6, v3
	v_dual_add_f32 v4, v4, v7 :: v_dual_fmac_f32 v5, 0x32a5705f, v2
	s_delay_alu instid0(VALU_DEP_2) | instskip(NEXT) | instid1(VALU_DEP_2)
	v_sub_f32_e32 v3, v3, v6
	v_exp_f32_e32 v4, v4
	s_delay_alu instid0(VALU_DEP_1) | instskip(SKIP_2) | instid1(VALU_DEP_3)
	v_add_f32_e32 v3, v3, v5
	v_cvt_i32_f32_e32 v5, v6
	v_cvt_i32_f32_e32 v6, v8
	v_exp_f32_e32 v3, v3
	s_waitcnt_depctr 0xfff
	v_ldexp_f32 v4, v4, v6
	v_ldexp_f32 v3, v3, v5
	s_delay_alu instid0(VALU_DEP_1) | instskip(SKIP_1) | instid1(VALU_DEP_4)
	v_cndmask_b32_e32 v3, 0, v3, vcc_lo
	v_cmp_ngt_f32_e32 vcc_lo, 0xc2ce8ed0, v0
	v_cndmask_b32_e32 v4, 0, v4, vcc_lo
	v_cmp_nlt_f32_e32 vcc_lo, 0x42b17218, v2
	s_delay_alu instid0(VALU_DEP_4) | instskip(SKIP_1) | instid1(VALU_DEP_2)
	v_cndmask_b32_e32 v2, 0x7f800000, v3, vcc_lo
	v_cmp_nlt_f32_e32 vcc_lo, 0x42b17218, v0
	v_cvt_f16_f32_e32 v3, v2
	v_cndmask_b32_e32 v0, 0x7f800000, v4, vcc_lo
	s_delay_alu instid0(VALU_DEP_2) | instskip(NEXT) | instid1(VALU_DEP_2)
	v_pk_mul_f16 v56, v3, v56 op_sel_hi:[0,1]
	v_fmac_f32_e32 v0, v42, v2
	v_pk_mul_f16 v58, v3, v58 op_sel_hi:[0,1]
	v_pk_mul_f16 v57, v3, v57 op_sel_hi:[0,1]
	;; [unrolled: 1-line block ×3, first 2 shown]
	s_delay_alu instid0(VALU_DEP_4)
	v_mov_b32_e32 v42, v0
.LBB55_23:
	s_mov_b32 s2, exec_lo
	v_cmpx_gt_i32_e64 s10, v40
	s_cbranch_execz .LBB55_26
; %bb.24:
	s_delay_alu instid0(VALU_DEP_2) | instskip(SKIP_2) | instid1(VALU_DEP_2)
	v_div_scale_f32 v4, null, v42, v42, 1.0
	s_load_b32 s1, s[0:1], 0xd4
	v_mad_u64_u32 v[0:1], null, s12, s10, v[40:41]
	v_rcp_f32_e32 v5, v4
	v_div_scale_f32 v6, vcc_lo, 1.0, v42, 1.0
	v_lshrrev_b32_e32 v8, 16, v56
	v_lshrrev_b32_e32 v10, 16, v55
	;; [unrolled: 1-line block ×3, first 2 shown]
	v_mad_u64_u32 v[2:3], null, v0, s11, s[34:35]
	v_lshrrev_b32_e32 v3, 16, v58
	v_cvt_f32_f16_e32 v8, v8
	s_delay_alu instid0(TRANS32_DEP_1)
	v_fma_f32 v1, -v4, v5, 1.0
	v_cvt_f32_f16_e32 v7, v58
	v_cvt_f32_f16_e32 v13, v56
	;; [unrolled: 1-line block ×4, first 2 shown]
	v_fmac_f32_e32 v5, v1, v5
	v_cvt_f32_f16_e32 v15, v57
	s_waitcnt lgkmcnt(0)
	v_mad_u64_u32 v[0:1], null, s1, v2, s[14:15]
	s_delay_alu instid0(VALU_DEP_3)
	v_dual_mov_b32 v2, 0 :: v_dual_mul_f32 v9, v6, v5
	s_cmp_lg_u32 s1, 1
	v_cvt_f32_f16_e32 v17, v11
	s_cselect_b32 s1, -1, 0
	v_cmp_eq_u32_e64 s0, 0, v39
	v_fma_f32 v1, -v4, v9, v6
	s_delay_alu instid0(VALU_DEP_2) | instskip(NEXT) | instid1(VALU_DEP_1)
	s_and_b32 s0, s0, s1
	v_fmac_f32_e32 v9, v1, v5
	v_lshl_add_u32 v1, v0, 8, v50
	s_delay_alu instid0(VALU_DEP_2) | instskip(NEXT) | instid1(VALU_DEP_2)
	v_fma_f32 v6, -v4, v9, v6
	v_lshlrev_b64 v[3:4], 2, v[1:2]
	s_delay_alu instid0(VALU_DEP_2) | instskip(SKIP_1) | instid1(VALU_DEP_3)
	v_div_fmas_f32 v5, v6, v5, v9
	v_cvt_f32_f16_e32 v6, v10
	v_add_co_u32 v9, vcc_lo, s28, v3
	s_delay_alu instid0(VALU_DEP_4) | instskip(NEXT) | instid1(VALU_DEP_4)
	v_add_co_ci_u32_e32 v10, vcc_lo, s29, v4, vcc_lo
	v_div_fixup_f32 v5, v5, v42, 1.0
	s_delay_alu instid0(VALU_DEP_1) | instskip(NEXT) | instid1(VALU_DEP_1)
	v_cndmask_b32_e64 v5, v5, 1.0, s1
	v_dual_mul_f32 v4, v5, v16 :: v_dual_add_nc_u32 v1, 0x80, v1
	s_delay_alu instid0(VALU_DEP_1) | instskip(SKIP_2) | instid1(VALU_DEP_3)
	v_lshlrev_b64 v[1:2], 2, v[1:2]
	v_mul_f32_e32 v3, v5, v7
	v_mul_f32_e32 v7, v5, v14
	v_add_co_u32 v11, vcc_lo, s28, v1
	s_delay_alu instid0(VALU_DEP_4)
	v_add_co_ci_u32_e32 v12, vcc_lo, s29, v2, vcc_lo
	v_mul_f32_e32 v2, v5, v8
	v_mul_f32_e32 v1, v5, v13
	;; [unrolled: 1-line block ×5, first 2 shown]
	s_clause 0x1
	global_store_b128 v[9:10], v[1:4], off
	global_store_b128 v[11:12], v[5:8], off
	s_and_b32 exec_lo, exec_lo, s0
	s_cbranch_execz .LBB55_26
; %bb.25:
	v_ashrrev_i32_e32 v1, 31, v0
	s_delay_alu instid0(VALU_DEP_1) | instskip(NEXT) | instid1(VALU_DEP_1)
	v_lshlrev_b64 v[0:1], 3, v[0:1]
	v_add_co_u32 v0, vcc_lo, s30, v0
	s_delay_alu instid0(VALU_DEP_2)
	v_add_co_ci_u32_e32 v1, vcc_lo, s31, v1, vcc_lo
	global_store_b64 v[0:1], v[41:42], off
.LBB55_26:
	s_nop 0
	s_sendmsg sendmsg(MSG_DEALLOC_VGPRS)
	s_endpgm
	.section	.rodata,"a",@progbits
	.p2align	6, 0x0
	.amdhsa_kernel _ZL15flash_attn_tileILi256ELi256ELi2ELi1ELb0EEvPKcS1_S1_S1_S1_PKiPfP15HIP_vector_typeIfLj2EEffffjfiS5_IjLj3EEiiiiiiiiiiiliiliiiiil
		.amdhsa_group_segment_fixed_size 5760
		.amdhsa_private_segment_fixed_size 32
		.amdhsa_kernarg_size 464
		.amdhsa_user_sgpr_count 13
		.amdhsa_user_sgpr_dispatch_ptr 0
		.amdhsa_user_sgpr_queue_ptr 0
		.amdhsa_user_sgpr_kernarg_segment_ptr 1
		.amdhsa_user_sgpr_dispatch_id 0
		.amdhsa_user_sgpr_private_segment_size 0
		.amdhsa_wavefront_size32 1
		.amdhsa_uses_dynamic_stack 0
		.amdhsa_enable_private_segment 1
		.amdhsa_system_sgpr_workgroup_id_x 1
		.amdhsa_system_sgpr_workgroup_id_y 1
		.amdhsa_system_sgpr_workgroup_id_z 1
		.amdhsa_system_sgpr_workgroup_info 0
		.amdhsa_system_vgpr_workitem_id 1
		.amdhsa_next_free_vgpr 180
		.amdhsa_next_free_sgpr 52
		.amdhsa_reserve_vcc 1
		.amdhsa_float_round_mode_32 0
		.amdhsa_float_round_mode_16_64 0
		.amdhsa_float_denorm_mode_32 3
		.amdhsa_float_denorm_mode_16_64 3
		.amdhsa_dx10_clamp 1
		.amdhsa_ieee_mode 1
		.amdhsa_fp16_overflow 0
		.amdhsa_workgroup_processor_mode 1
		.amdhsa_memory_ordered 1
		.amdhsa_forward_progress 0
		.amdhsa_shared_vgpr_count 0
		.amdhsa_exception_fp_ieee_invalid_op 0
		.amdhsa_exception_fp_denorm_src 0
		.amdhsa_exception_fp_ieee_div_zero 0
		.amdhsa_exception_fp_ieee_overflow 0
		.amdhsa_exception_fp_ieee_underflow 0
		.amdhsa_exception_fp_ieee_inexact 0
		.amdhsa_exception_int_div_zero 0
	.end_amdhsa_kernel
	.section	.text._ZL15flash_attn_tileILi256ELi256ELi2ELi1ELb0EEvPKcS1_S1_S1_S1_PKiPfP15HIP_vector_typeIfLj2EEffffjfiS5_IjLj3EEiiiiiiiiiiiliiliiiiil,"axG",@progbits,_ZL15flash_attn_tileILi256ELi256ELi2ELi1ELb0EEvPKcS1_S1_S1_S1_PKiPfP15HIP_vector_typeIfLj2EEffffjfiS5_IjLj3EEiiiiiiiiiiiliiliiiiil,comdat
.Lfunc_end55:
	.size	_ZL15flash_attn_tileILi256ELi256ELi2ELi1ELb0EEvPKcS1_S1_S1_S1_PKiPfP15HIP_vector_typeIfLj2EEffffjfiS5_IjLj3EEiiiiiiiiiiiliiliiiiil, .Lfunc_end55-_ZL15flash_attn_tileILi256ELi256ELi2ELi1ELb0EEvPKcS1_S1_S1_S1_PKiPfP15HIP_vector_typeIfLj2EEffffjfiS5_IjLj3EEiiiiiiiiiiiliiliiiiil
                                        ; -- End function
	.section	.AMDGPU.csdata,"",@progbits
; Kernel info:
; codeLenInByte = 19312
; NumSgprs: 54
; NumVgprs: 180
; ScratchSize: 32
; MemoryBound: 0
; FloatMode: 240
; IeeeMode: 1
; LDSByteSize: 5760 bytes/workgroup (compile time only)
; SGPRBlocks: 6
; VGPRBlocks: 22
; NumSGPRsForWavesPerEU: 54
; NumVGPRsForWavesPerEU: 180
; Occupancy: 8
; WaveLimiterHint : 1
; COMPUTE_PGM_RSRC2:SCRATCH_EN: 1
; COMPUTE_PGM_RSRC2:USER_SGPR: 13
; COMPUTE_PGM_RSRC2:TRAP_HANDLER: 0
; COMPUTE_PGM_RSRC2:TGID_X_EN: 1
; COMPUTE_PGM_RSRC2:TGID_Y_EN: 1
; COMPUTE_PGM_RSRC2:TGID_Z_EN: 1
; COMPUTE_PGM_RSRC2:TIDIG_COMP_CNT: 1
	.section	.text._ZL33flash_attn_stream_k_fixup_uniformILi256ELi2ELi1EEvPfPK15HIP_vector_typeIfLj2EEiiiiiiS1_IjLj3EES5_S5_,"axG",@progbits,_ZL33flash_attn_stream_k_fixup_uniformILi256ELi2ELi1EEvPfPK15HIP_vector_typeIfLj2EEiiiiiiS1_IjLj3EES5_S5_,comdat
	.globl	_ZL33flash_attn_stream_k_fixup_uniformILi256ELi2ELi1EEvPfPK15HIP_vector_typeIfLj2EEiiiiiiS1_IjLj3EES5_S5_ ; -- Begin function _ZL33flash_attn_stream_k_fixup_uniformILi256ELi2ELi1EEvPfPK15HIP_vector_typeIfLj2EEiiiiiiS1_IjLj3EES5_S5_
	.p2align	8
	.type	_ZL33flash_attn_stream_k_fixup_uniformILi256ELi2ELi1EEvPfPK15HIP_vector_typeIfLj2EEiiiiiiS1_IjLj3EES5_S5_,@function
_ZL33flash_attn_stream_k_fixup_uniformILi256ELi2ELi1EEvPfPK15HIP_vector_typeIfLj2EEiiiiiiS1_IjLj3EES5_S5_: ; @_ZL33flash_attn_stream_k_fixup_uniformILi256ELi2ELi1EEvPfPK15HIP_vector_typeIfLj2EEiiiiiiS1_IjLj3EES5_S5_
; %bb.0:
	s_clause 0x1
	s_load_b256 s[4:11], s[0:1], 0x1c
	s_load_b128 s[16:19], s[0:1], 0x3c
	s_waitcnt lgkmcnt(0)
	s_mul_hi_u32 s2, s7, s13
	s_delay_alu instid0(SALU_CYCLE_1) | instskip(NEXT) | instid1(SALU_CYCLE_1)
	s_add_i32 s2, s13, s2
	s_lshr_b32 s2, s2, s8
	s_delay_alu instid0(SALU_CYCLE_1) | instskip(SKIP_2) | instid1(SALU_CYCLE_1)
	s_mul_i32 s3, s2, s9
	s_load_b64 s[8:9], s[0:1], 0x10
	s_sub_i32 s7, s13, s3
	s_mul_hi_u32 s3, s7, s10
	s_delay_alu instid0(SALU_CYCLE_1) | instskip(NEXT) | instid1(SALU_CYCLE_1)
	s_add_i32 s3, s7, s3
	s_lshr_b32 s3, s3, s11
	s_delay_alu instid0(SALU_CYCLE_1) | instskip(NEXT) | instid1(SALU_CYCLE_1)
	s_mul_i32 s10, s3, s16
	s_sub_i32 s10, s7, s10
	s_delay_alu instid0(SALU_CYCLE_1) | instskip(NEXT) | instid1(SALU_CYCLE_1)
	s_mul_hi_u32 s7, s10, s17
	s_add_i32 s7, s10, s7
	s_delay_alu instid0(SALU_CYCLE_1) | instskip(NEXT) | instid1(SALU_CYCLE_1)
	s_lshr_b32 s7, s7, s18
	s_mul_i32 s11, s7, s19
	s_delay_alu instid0(SALU_CYCLE_1) | instskip(NEXT) | instid1(SALU_CYCLE_1)
	s_sub_i32 s10, s10, s11
	s_lshl_b32 s11, s10, 1
	s_delay_alu instid0(SALU_CYCLE_1) | instskip(SKIP_4) | instid1(SALU_CYCLE_1)
	s_add_i32 s11, s11, s14
	s_waitcnt lgkmcnt(0)
	s_cmp_lt_i32 s11, s8
	s_cselect_b32 s11, -1, 0
	s_add_i32 s12, s7, s15
	s_cmp_lt_i32 s12, s5
	s_cselect_b32 s12, -1, 0
	s_delay_alu instid0(SALU_CYCLE_1) | instskip(NEXT) | instid1(SALU_CYCLE_1)
	s_and_b32 s11, s11, s12
	s_and_not1_b32 vcc_lo, exec_lo, s11
	s_cbranch_vccnz .LBB56_6
; %bb.1:
	s_mul_i32 s2, s2, s8
	s_mul_i32 s5, s3, s5
	s_add_i32 s2, s2, s14
	s_delay_alu instid0(SALU_CYCLE_1) | instskip(NEXT) | instid1(SALU_CYCLE_1)
	s_mul_i32 s2, s2, s9
	s_add_i32 s8, s2, s15
	s_load_b128 s[0:3], s[0:1], 0x0
	s_add_i32 s5, s8, s5
	s_mul_i32 s8, s9, s10
	s_add_i32 s5, s5, s7
	s_lshl_b32 s7, s8, 9
	s_lshl_b32 s5, s5, 8
	s_add_i32 s10, s14, s15
	s_add_i32 s7, s7, s5
	s_mul_i32 s5, s13, s6
	v_or_b32_e32 v1, s7, v0
	s_add_i32 s9, s5, s6
	s_delay_alu instid0(VALU_DEP_1) | instskip(NEXT) | instid1(VALU_DEP_1)
	v_ashrrev_i32_e32 v2, 31, v1
	v_lshlrev_b64 v[1:2], 2, v[1:2]
	s_waitcnt lgkmcnt(0)
	s_delay_alu instid0(VALU_DEP_1) | instskip(NEXT) | instid1(VALU_DEP_2)
	v_add_co_u32 v1, vcc_lo, s0, v1
	v_add_co_ci_u32_e32 v2, vcc_lo, s1, v2, vcc_lo
	s_lshl_b32 s0, s9, 1
	s_delay_alu instid0(SALU_CYCLE_1) | instskip(SKIP_2) | instid1(SALU_CYCLE_1)
	s_add_i32 s0, s10, s0
	global_load_b32 v5, v[1:2], off
	s_add_i32 s0, s0, -2
	s_ashr_i32 s1, s0, 31
	s_delay_alu instid0(SALU_CYCLE_1) | instskip(NEXT) | instid1(SALU_CYCLE_1)
	s_lshl_b64 s[0:1], s[0:1], 3
	s_add_u32 s0, s2, s0
	s_addc_u32 s1, s3, s1
	s_add_i32 s7, s9, -2
	s_load_b32 s11, s[0:1], 0x4
	s_cmp_lt_i32 s7, s5
	s_cbranch_scc1 .LBB56_4
; %bb.2:
	s_lshl_b32 s14, s4, 3
	s_load_b32 s12, s[0:1], 0x0
	s_ashr_i32 s15, s14, 31
	s_delay_alu instid0(SALU_CYCLE_1) | instskip(NEXT) | instid1(SALU_CYCLE_1)
	s_lshl_b64 s[0:1], s[14:15], 2
	s_add_u32 s7, s2, s0
	s_addc_u32 s8, s3, s1
	s_add_i32 s13, s13, 1
	s_lshl_b32 s1, s10, 8
	s_mul_i32 s0, s6, s13
	s_delay_alu instid0(SALU_CYCLE_1)
	s_lshl_b32 s6, s0, 9
	s_lshl_b32 s0, s0, 1
	s_add_i32 s1, s1, s6
	s_add_i32 s0, s10, s0
	v_or_b32_e32 v0, s1, v0
	s_lshl_b32 s1, s4, 1
	s_waitcnt lgkmcnt(0)
	v_mov_b32_e32 v6, s11
	s_add_i32 s0, s0, s1
	s_add_i32 s4, s9, -1
	v_dual_mov_b32 v0, s12 :: v_dual_add_nc_u32 v3, 0xfffffc00, v0
	s_add_i32 s0, s0, -4
.LBB56_3:                               ; =>This Inner Loop Header: Depth=1
	s_delay_alu instid0(VALU_DEP_1) | instskip(SKIP_1) | instid1(SALU_CYCLE_1)
	v_ashrrev_i32_e32 v4, 31, v3
	s_ashr_i32 s1, s0, 31
	s_lshl_b64 s[10:11], s[0:1], 3
	s_delay_alu instid0(SALU_CYCLE_1) | instskip(NEXT) | instid1(VALU_DEP_1)
	s_add_u32 s10, s2, s10
	v_lshlrev_b64 v[7:8], 2, v[3:4]
	s_addc_u32 s11, s3, s11
	s_add_i32 s4, s4, -1
	s_add_i32 s0, s0, -2
	s_cmp_le_i32 s4, s5
	s_load_b64 s[10:11], s[10:11], 0x0
	v_add_co_u32 v7, vcc_lo, s7, v7
	v_add_co_ci_u32_e32 v8, vcc_lo, s8, v8, vcc_lo
	global_load_b32 v4, v[7:8], off
	v_max_f32_e32 v7, v0, v0
	s_waitcnt lgkmcnt(0)
	v_max_f32_e64 v8, s10, s10
	s_delay_alu instid0(VALU_DEP_1) | instskip(NEXT) | instid1(VALU_DEP_1)
	v_max_f32_e32 v7, v7, v8
	v_sub_f32_e32 v8, s10, v7
	s_delay_alu instid0(VALU_DEP_1) | instskip(NEXT) | instid1(VALU_DEP_1)
	v_dual_sub_f32 v0, v0, v7 :: v_dual_mul_f32 v9, 0x3fb8aa3b, v8
	v_fma_f32 v10, 0x3fb8aa3b, v8, -v9
	v_rndne_f32_e32 v11, v9
	s_delay_alu instid0(VALU_DEP_3) | instskip(NEXT) | instid1(VALU_DEP_2)
	v_mul_f32_e32 v12, 0x3fb8aa3b, v0
	v_dual_fmac_f32 v10, 0x32a5705f, v8 :: v_dual_sub_f32 v9, v9, v11
	v_cvt_i32_f32_e32 v11, v11
	s_delay_alu instid0(VALU_DEP_3) | instskip(SKIP_1) | instid1(VALU_DEP_4)
	v_fma_f32 v13, 0x3fb8aa3b, v0, -v12
	v_rndne_f32_e32 v14, v12
	v_add_f32_e32 v9, v9, v10
	v_cmp_ngt_f32_e32 vcc_lo, 0xc2ce8ed0, v8
	s_delay_alu instid0(VALU_DEP_3) | instskip(NEXT) | instid1(VALU_DEP_3)
	v_sub_f32_e32 v10, v12, v14
	v_exp_f32_e32 v9, v9
	s_waitcnt_depctr 0xfff
	v_ldexp_f32 v9, v9, v11
	v_cvt_i32_f32_e32 v11, v14
	s_delay_alu instid0(VALU_DEP_2) | instskip(SKIP_1) | instid1(VALU_DEP_2)
	v_cndmask_b32_e32 v9, 0, v9, vcc_lo
	v_cmp_nlt_f32_e32 vcc_lo, 0x42b17218, v8
	v_cndmask_b32_e32 v9, 0x7f800000, v9, vcc_lo
	v_cmp_ngt_f32_e32 vcc_lo, 0xc2ce8ed0, v0
	v_fmac_f32_e32 v13, 0x32a5705f, v0
	s_delay_alu instid0(VALU_DEP_1) | instskip(NEXT) | instid1(VALU_DEP_1)
	v_add_f32_e32 v10, v10, v13
	v_exp_f32_e32 v10, v10
	s_waitcnt_depctr 0xfff
	v_ldexp_f32 v10, v10, v11
	s_delay_alu instid0(VALU_DEP_1)
	v_dual_mov_b32 v11, v6 :: v_dual_cndmask_b32 v10, 0, v10
	v_cmp_le_f32_e32 vcc_lo, 0xc1a00000, v8
	s_waitcnt vmcnt(1)
	v_dual_cndmask_b32 v8, 0, v9 :: v_dual_mov_b32 v9, v5
	v_cmp_nlt_f32_e32 vcc_lo, 0x42b17218, v0
	v_cndmask_b32_e32 v5, 0x7f800000, v10, vcc_lo
	s_delay_alu instid0(VALU_DEP_3) | instskip(SKIP_2) | instid1(VALU_DEP_3)
	v_mul_f32_e32 v10, s11, v8
	v_cmp_le_f32_e32 vcc_lo, 0xc1a00000, v0
	v_mov_b32_e32 v0, v7
	v_mov_b32_e32 v6, v10
	s_waitcnt vmcnt(0)
	v_dual_cndmask_b32 v12, 0, v5 :: v_dual_mul_f32 v5, v4, v8
	s_delay_alu instid0(VALU_DEP_1) | instskip(NEXT) | instid1(VALU_DEP_2)
	v_dual_fmac_f32 v6, v11, v12 :: v_dual_add_nc_u32 v3, 0xfffffe00, v3
	v_fmac_f32_e32 v5, v9, v12
	s_cbranch_scc0 .LBB56_3
	s_branch .LBB56_5
.LBB56_4:
	s_waitcnt lgkmcnt(0)
	v_mov_b32_e32 v6, s11
.LBB56_5:
	s_waitcnt vmcnt(0)
	s_delay_alu instid0(VALU_DEP_1) | instskip(NEXT) | instid1(VALU_DEP_1)
	v_div_scale_f32 v0, null, v6, v6, v5
	v_rcp_f32_e32 v3, v0
	s_waitcnt_depctr 0xfff
	v_fma_f32 v4, -v0, v3, 1.0
	s_delay_alu instid0(VALU_DEP_1) | instskip(SKIP_1) | instid1(VALU_DEP_1)
	v_fmac_f32_e32 v3, v4, v3
	v_div_scale_f32 v4, vcc_lo, v5, v6, v5
	v_mul_f32_e32 v7, v4, v3
	s_delay_alu instid0(VALU_DEP_1) | instskip(NEXT) | instid1(VALU_DEP_1)
	v_fma_f32 v8, -v0, v7, v4
	v_fmac_f32_e32 v7, v8, v3
	s_delay_alu instid0(VALU_DEP_1) | instskip(NEXT) | instid1(VALU_DEP_1)
	v_fma_f32 v0, -v0, v7, v4
	v_div_fmas_f32 v0, v0, v3, v7
	s_delay_alu instid0(VALU_DEP_1)
	v_div_fixup_f32 v0, v0, v6, v5
	global_store_b32 v[1:2], v0, off
.LBB56_6:
	s_nop 0
	s_sendmsg sendmsg(MSG_DEALLOC_VGPRS)
	s_endpgm
	.section	.rodata,"a",@progbits
	.p2align	6, 0x0
	.amdhsa_kernel _ZL33flash_attn_stream_k_fixup_uniformILi256ELi2ELi1EEvPfPK15HIP_vector_typeIfLj2EEiiiiiiS1_IjLj3EES5_S5_
		.amdhsa_group_segment_fixed_size 0
		.amdhsa_private_segment_fixed_size 0
		.amdhsa_kernarg_size 76
		.amdhsa_user_sgpr_count 13
		.amdhsa_user_sgpr_dispatch_ptr 0
		.amdhsa_user_sgpr_queue_ptr 0
		.amdhsa_user_sgpr_kernarg_segment_ptr 1
		.amdhsa_user_sgpr_dispatch_id 0
		.amdhsa_user_sgpr_private_segment_size 0
		.amdhsa_wavefront_size32 1
		.amdhsa_uses_dynamic_stack 0
		.amdhsa_enable_private_segment 0
		.amdhsa_system_sgpr_workgroup_id_x 1
		.amdhsa_system_sgpr_workgroup_id_y 1
		.amdhsa_system_sgpr_workgroup_id_z 1
		.amdhsa_system_sgpr_workgroup_info 0
		.amdhsa_system_vgpr_workitem_id 0
		.amdhsa_next_free_vgpr 15
		.amdhsa_next_free_sgpr 20
		.amdhsa_reserve_vcc 1
		.amdhsa_float_round_mode_32 0
		.amdhsa_float_round_mode_16_64 0
		.amdhsa_float_denorm_mode_32 3
		.amdhsa_float_denorm_mode_16_64 3
		.amdhsa_dx10_clamp 1
		.amdhsa_ieee_mode 1
		.amdhsa_fp16_overflow 0
		.amdhsa_workgroup_processor_mode 1
		.amdhsa_memory_ordered 1
		.amdhsa_forward_progress 0
		.amdhsa_shared_vgpr_count 0
		.amdhsa_exception_fp_ieee_invalid_op 0
		.amdhsa_exception_fp_denorm_src 0
		.amdhsa_exception_fp_ieee_div_zero 0
		.amdhsa_exception_fp_ieee_overflow 0
		.amdhsa_exception_fp_ieee_underflow 0
		.amdhsa_exception_fp_ieee_inexact 0
		.amdhsa_exception_int_div_zero 0
	.end_amdhsa_kernel
	.section	.text._ZL33flash_attn_stream_k_fixup_uniformILi256ELi2ELi1EEvPfPK15HIP_vector_typeIfLj2EEiiiiiiS1_IjLj3EES5_S5_,"axG",@progbits,_ZL33flash_attn_stream_k_fixup_uniformILi256ELi2ELi1EEvPfPK15HIP_vector_typeIfLj2EEiiiiiiS1_IjLj3EES5_S5_,comdat
.Lfunc_end56:
	.size	_ZL33flash_attn_stream_k_fixup_uniformILi256ELi2ELi1EEvPfPK15HIP_vector_typeIfLj2EEiiiiiiS1_IjLj3EES5_S5_, .Lfunc_end56-_ZL33flash_attn_stream_k_fixup_uniformILi256ELi2ELi1EEvPfPK15HIP_vector_typeIfLj2EEiiiiiiS1_IjLj3EES5_S5_
                                        ; -- End function
	.section	.AMDGPU.csdata,"",@progbits
; Kernel info:
; codeLenInByte = 976
; NumSgprs: 22
; NumVgprs: 15
; ScratchSize: 0
; MemoryBound: 0
; FloatMode: 240
; IeeeMode: 1
; LDSByteSize: 0 bytes/workgroup (compile time only)
; SGPRBlocks: 2
; VGPRBlocks: 1
; NumSGPRsForWavesPerEU: 22
; NumVGPRsForWavesPerEU: 15
; Occupancy: 16
; WaveLimiterHint : 0
; COMPUTE_PGM_RSRC2:SCRATCH_EN: 0
; COMPUTE_PGM_RSRC2:USER_SGPR: 13
; COMPUTE_PGM_RSRC2:TRAP_HANDLER: 0
; COMPUTE_PGM_RSRC2:TGID_X_EN: 1
; COMPUTE_PGM_RSRC2:TGID_Y_EN: 1
; COMPUTE_PGM_RSRC2:TGID_Z_EN: 1
; COMPUTE_PGM_RSRC2:TIDIG_COMP_CNT: 0
	.section	.text._ZL33flash_attn_stream_k_fixup_generalILi256ELi2ELi1EEvPfPK15HIP_vector_typeIfLj2EEiiiiS1_IjLj3EES5_S5_S5_,"axG",@progbits,_ZL33flash_attn_stream_k_fixup_generalILi256ELi2ELi1EEvPfPK15HIP_vector_typeIfLj2EEiiiiS1_IjLj3EES5_S5_S5_,comdat
	.globl	_ZL33flash_attn_stream_k_fixup_generalILi256ELi2ELi1EEvPfPK15HIP_vector_typeIfLj2EEiiiiS1_IjLj3EES5_S5_S5_ ; -- Begin function _ZL33flash_attn_stream_k_fixup_generalILi256ELi2ELi1EEvPfPK15HIP_vector_typeIfLj2EEiiiiS1_IjLj3EES5_S5_S5_
	.p2align	8
	.type	_ZL33flash_attn_stream_k_fixup_generalILi256ELi2ELi1EEvPfPK15HIP_vector_typeIfLj2EEiiiiS1_IjLj3EES5_S5_S5_,@function
_ZL33flash_attn_stream_k_fixup_generalILi256ELi2ELi1EEvPfPK15HIP_vector_typeIfLj2EEiiiiS1_IjLj3EES5_S5_S5_: ; @_ZL33flash_attn_stream_k_fixup_generalILi256ELi2ELi1EEvPfPK15HIP_vector_typeIfLj2EEiiiiS1_IjLj3EES5_S5_S5_
; %bb.0:
	s_clause 0x1
	s_load_b128 s[4:7], s[0:1], 0x10
	s_load_b32 s20, s[0:1], 0x50
	s_mov_b32 s2, 0
	s_waitcnt lgkmcnt(0)
	s_mul_hi_i32 s3, s7, s13
	s_mul_i32 s12, s7, s13
	s_cmp_lg_u64 s[2:3], 0
	s_cbranch_scc0 .LBB57_21
; %bb.1:
	v_cvt_f32_ubyte0_e32 v1, 0
	v_cvt_f32_u32_e32 v2, s20
	s_sub_u32 s10, 0, s20
	s_subb_u32 s11, 0, 0
	s_delay_alu instid0(VALU_DEP_1) | instskip(NEXT) | instid1(VALU_DEP_1)
	v_fmamk_f32 v1, v1, 0x4f800000, v2
	v_rcp_f32_e32 v1, v1
	s_waitcnt_depctr 0xfff
	v_mul_f32_e32 v1, 0x5f7ffffc, v1
	s_delay_alu instid0(VALU_DEP_1) | instskip(NEXT) | instid1(VALU_DEP_1)
	v_mul_f32_e32 v2, 0x2f800000, v1
	v_trunc_f32_e32 v2, v2
	s_delay_alu instid0(VALU_DEP_1) | instskip(SKIP_1) | instid1(VALU_DEP_2)
	v_fmamk_f32 v1, v2, 0xcf800000, v1
	v_cvt_u32_f32_e32 v2, v2
	v_cvt_u32_f32_e32 v1, v1
	s_delay_alu instid0(VALU_DEP_2) | instskip(NEXT) | instid1(VALU_DEP_2)
	v_readfirstlane_b32 s8, v2
	v_readfirstlane_b32 s9, v1
	s_delay_alu instid0(VALU_DEP_2) | instskip(NEXT) | instid1(VALU_DEP_1)
	s_mul_i32 s16, s10, s8
	s_mul_hi_u32 s18, s10, s9
	s_mul_i32 s17, s11, s9
	s_add_i32 s16, s18, s16
	s_mul_i32 s19, s10, s9
	s_add_i32 s16, s16, s17
	s_mul_hi_u32 s18, s9, s19
	s_mul_hi_u32 s21, s8, s19
	s_mul_i32 s17, s8, s19
	s_mul_hi_u32 s19, s9, s16
	s_mul_i32 s9, s9, s16
	s_mul_hi_u32 s22, s8, s16
	s_add_u32 s9, s18, s9
	s_addc_u32 s18, 0, s19
	s_add_u32 s9, s9, s17
	s_mul_i32 s16, s8, s16
	s_addc_u32 s9, s18, s21
	s_addc_u32 s17, s22, 0
	s_add_u32 s9, s9, s16
	s_addc_u32 s16, 0, s17
	v_add_co_u32 v1, s9, v1, s9
	s_delay_alu instid0(VALU_DEP_1) | instskip(SKIP_1) | instid1(VALU_DEP_1)
	s_cmp_lg_u32 s9, 0
	s_addc_u32 s8, s8, s16
	v_readfirstlane_b32 s9, v1
	s_mul_i32 s16, s10, s8
	s_delay_alu instid0(VALU_DEP_1)
	s_mul_hi_u32 s17, s10, s9
	s_mul_i32 s11, s11, s9
	s_add_i32 s16, s17, s16
	s_mul_i32 s10, s10, s9
	s_add_i32 s16, s16, s11
	s_mul_hi_u32 s17, s8, s10
	s_mul_i32 s18, s8, s10
	s_mul_hi_u32 s10, s9, s10
	s_mul_hi_u32 s19, s9, s16
	s_mul_i32 s9, s9, s16
	s_mul_hi_u32 s11, s8, s16
	s_add_u32 s9, s10, s9
	s_addc_u32 s10, 0, s19
	s_add_u32 s9, s9, s18
	s_mul_i32 s16, s8, s16
	s_addc_u32 s9, s10, s17
	s_addc_u32 s10, s11, 0
	s_add_u32 s9, s9, s16
	s_addc_u32 s10, 0, s10
	v_add_co_u32 v1, s9, v1, s9
	s_delay_alu instid0(VALU_DEP_1) | instskip(SKIP_2) | instid1(SALU_CYCLE_1)
	s_cmp_lg_u32 s9, 0
	s_addc_u32 s16, s8, s10
	s_ashr_i32 s8, s3, 31
	s_add_u32 s10, s12, s8
	s_addc_u32 s11, s3, s8
	v_readfirstlane_b32 s3, v1
	s_mov_b32 s9, s8
	s_delay_alu instid0(SALU_CYCLE_1) | instskip(NEXT) | instid1(SALU_CYCLE_1)
	s_xor_b64 s[10:11], s[10:11], s[8:9]
	s_mul_i32 s18, s10, s16
	s_delay_alu instid0(VALU_DEP_1)
	s_mul_hi_u32 s19, s10, s3
	s_mul_hi_u32 s17, s10, s16
	;; [unrolled: 1-line block ×3, first 2 shown]
	s_mul_i32 s3, s11, s3
	s_add_u32 s18, s19, s18
	s_addc_u32 s17, 0, s17
	s_mul_hi_u32 s21, s11, s16
	s_add_u32 s3, s18, s3
	s_mul_i32 s16, s11, s16
	s_addc_u32 s3, s17, s22
	s_addc_u32 s17, s21, 0
	s_add_u32 s3, s3, s16
	s_addc_u32 s16, 0, s17
	s_mul_i32 s18, s20, s3
	s_add_u32 s17, s3, 1
	v_sub_co_u32 v1, s10, s10, s18
	s_mul_hi_u32 s18, s20, s3
	s_addc_u32 s19, s16, 0
	s_mul_i32 s21, s20, s16
	s_delay_alu instid0(VALU_DEP_1)
	v_sub_co_u32 v2, s22, v1, s20
	s_add_u32 s23, s3, 2
	s_addc_u32 s24, s16, 0
	s_add_i32 s18, s18, s21
	s_cmp_lg_u32 s10, 0
	v_readfirstlane_b32 s10, v2
	s_subb_u32 s11, s11, s18
	s_cmp_lg_u32 s22, 0
	s_subb_u32 s18, s11, 0
	s_delay_alu instid0(VALU_DEP_1) | instskip(SKIP_4) | instid1(SALU_CYCLE_1)
	s_cmp_ge_u32 s10, s20
	s_cselect_b32 s10, -1, 0
	s_cmp_eq_u32 s18, 0
	v_readfirstlane_b32 s18, v1
	s_cselect_b32 s10, s10, -1
	s_cmp_lg_u32 s10, 0
	s_cselect_b32 s10, s23, s17
	s_cselect_b32 s17, s24, s19
	s_cmp_ge_u32 s18, s20
	s_cselect_b32 s18, -1, 0
	s_cmp_eq_u32 s11, 0
	s_cselect_b32 s11, s18, -1
	s_delay_alu instid0(SALU_CYCLE_1) | instskip(SKIP_2) | instid1(SALU_CYCLE_1)
	s_cmp_lg_u32 s11, 0
	s_cselect_b32 s11, s17, s16
	s_cselect_b32 s10, s10, s3
	s_xor_b64 s[10:11], s[10:11], s[8:9]
	s_delay_alu instid0(SALU_CYCLE_1)
	s_sub_u32 s16, s10, s8
	s_load_b128 s[8:11], s[0:1], 0x44
	s_and_not1_b32 vcc_lo, exec_lo, s2
	s_cbranch_vccnz .LBB57_3
.LBB57_2:
	v_cvt_f32_u32_e32 v1, s20
	s_sub_i32 s3, 0, s20
	s_delay_alu instid0(VALU_DEP_1) | instskip(SKIP_2) | instid1(VALU_DEP_1)
	v_rcp_iflag_f32_e32 v1, v1
	s_waitcnt_depctr 0xfff
	v_mul_f32_e32 v1, 0x4f7ffffe, v1
	v_cvt_u32_f32_e32 v1, v1
	s_delay_alu instid0(VALU_DEP_1) | instskip(NEXT) | instid1(VALU_DEP_1)
	v_readfirstlane_b32 s2, v1
	s_mul_i32 s3, s3, s2
	s_delay_alu instid0(SALU_CYCLE_1) | instskip(NEXT) | instid1(SALU_CYCLE_1)
	s_mul_hi_u32 s3, s2, s3
	s_add_i32 s2, s2, s3
	s_delay_alu instid0(SALU_CYCLE_1) | instskip(NEXT) | instid1(SALU_CYCLE_1)
	s_mul_hi_u32 s2, s12, s2
	s_mul_i32 s3, s2, s20
	s_waitcnt lgkmcnt(0)
	s_add_i32 s11, s2, 1
	s_sub_i32 s3, s12, s3
	s_delay_alu instid0(SALU_CYCLE_1)
	s_sub_i32 s12, s3, s20
	s_cmp_ge_u32 s3, s20
	s_cselect_b32 s2, s11, s2
	s_cselect_b32 s3, s12, s3
	s_add_i32 s11, s2, 1
	s_cmp_ge_u32 s3, s20
	s_cselect_b32 s16, s11, s2
.LBB57_3:
	s_waitcnt lgkmcnt(0)
	s_add_i32 s11, s13, 1
	s_mov_b32 s2, 0
	s_mul_hi_i32 s3, s7, s11
	s_mul_i32 s11, s7, s11
	s_cmp_lg_u64 s[2:3], 0
	s_cbranch_scc0 .LBB57_22
; %bb.4:
	v_cvt_f32_ubyte0_e32 v1, 0
	v_cvt_f32_u32_e32 v2, s20
	s_sub_u32 s18, 0, s20
	s_subb_u32 s19, 0, 0
	s_delay_alu instid0(VALU_DEP_1) | instskip(NEXT) | instid1(VALU_DEP_1)
	v_fmamk_f32 v1, v1, 0x4f800000, v2
	v_rcp_f32_e32 v1, v1
	s_waitcnt_depctr 0xfff
	v_mul_f32_e32 v1, 0x5f7ffffc, v1
	s_delay_alu instid0(VALU_DEP_1) | instskip(NEXT) | instid1(VALU_DEP_1)
	v_mul_f32_e32 v2, 0x2f800000, v1
	v_trunc_f32_e32 v2, v2
	s_delay_alu instid0(VALU_DEP_1) | instskip(SKIP_1) | instid1(VALU_DEP_2)
	v_fmamk_f32 v1, v2, 0xcf800000, v1
	v_cvt_u32_f32_e32 v2, v2
	v_cvt_u32_f32_e32 v1, v1
	s_delay_alu instid0(VALU_DEP_2) | instskip(NEXT) | instid1(VALU_DEP_2)
	v_readfirstlane_b32 s12, v2
	v_readfirstlane_b32 s17, v1
	s_delay_alu instid0(VALU_DEP_2) | instskip(NEXT) | instid1(VALU_DEP_1)
	s_mul_i32 s21, s18, s12
	s_mul_hi_u32 s23, s18, s17
	s_mul_i32 s22, s19, s17
	s_add_i32 s21, s23, s21
	s_mul_i32 s24, s18, s17
	s_add_i32 s21, s21, s22
	s_mul_hi_u32 s23, s17, s24
	s_mul_hi_u32 s25, s12, s24
	s_mul_i32 s22, s12, s24
	s_mul_hi_u32 s24, s17, s21
	s_mul_i32 s17, s17, s21
	s_mul_hi_u32 s26, s12, s21
	s_add_u32 s17, s23, s17
	s_addc_u32 s23, 0, s24
	s_add_u32 s17, s17, s22
	s_mul_i32 s21, s12, s21
	s_addc_u32 s17, s23, s25
	s_addc_u32 s22, s26, 0
	s_add_u32 s17, s17, s21
	s_addc_u32 s21, 0, s22
	v_add_co_u32 v1, s17, v1, s17
	s_delay_alu instid0(VALU_DEP_1) | instskip(SKIP_1) | instid1(VALU_DEP_1)
	s_cmp_lg_u32 s17, 0
	s_addc_u32 s12, s12, s21
	v_readfirstlane_b32 s17, v1
	s_mul_i32 s21, s18, s12
	s_delay_alu instid0(VALU_DEP_1)
	s_mul_hi_u32 s22, s18, s17
	s_mul_i32 s19, s19, s17
	s_add_i32 s21, s22, s21
	s_mul_i32 s18, s18, s17
	s_add_i32 s21, s21, s19
	s_mul_hi_u32 s22, s12, s18
	s_mul_i32 s23, s12, s18
	s_mul_hi_u32 s18, s17, s18
	s_mul_hi_u32 s24, s17, s21
	s_mul_i32 s17, s17, s21
	s_mul_hi_u32 s19, s12, s21
	s_add_u32 s17, s18, s17
	s_addc_u32 s18, 0, s24
	s_add_u32 s17, s17, s23
	s_mul_i32 s21, s12, s21
	s_addc_u32 s17, s18, s22
	s_addc_u32 s18, s19, 0
	s_add_u32 s17, s17, s21
	s_addc_u32 s18, 0, s18
	v_add_co_u32 v1, s17, v1, s17
	s_delay_alu instid0(VALU_DEP_1) | instskip(SKIP_2) | instid1(SALU_CYCLE_1)
	s_cmp_lg_u32 s17, 0
	s_addc_u32 s12, s12, s18
	s_ashr_i32 s18, s3, 31
	s_add_u32 s22, s11, s18
	s_addc_u32 s23, s3, s18
	v_readfirstlane_b32 s3, v1
	s_mov_b32 s19, s18
	s_delay_alu instid0(SALU_CYCLE_1) | instskip(NEXT) | instid1(SALU_CYCLE_1)
	s_xor_b64 s[22:23], s[22:23], s[18:19]
	s_mul_i32 s21, s22, s12
	s_delay_alu instid0(VALU_DEP_1)
	s_mul_hi_u32 s24, s22, s3
	s_mul_hi_u32 s17, s22, s12
	;; [unrolled: 1-line block ×3, first 2 shown]
	s_mul_i32 s3, s23, s3
	s_add_u32 s21, s24, s21
	s_addc_u32 s17, 0, s17
	s_mul_hi_u32 s25, s23, s12
	s_add_u32 s3, s21, s3
	s_mul_i32 s12, s23, s12
	s_addc_u32 s3, s17, s26
	s_addc_u32 s17, s25, 0
	s_add_u32 s3, s3, s12
	s_addc_u32 s12, 0, s17
	s_mul_i32 s21, s20, s3
	s_add_u32 s17, s3, 1
	v_sub_co_u32 v1, s21, s22, s21
	s_mul_hi_u32 s22, s20, s3
	s_addc_u32 s24, s12, 0
	s_mul_i32 s25, s20, s12
	s_delay_alu instid0(VALU_DEP_1)
	v_sub_co_u32 v2, s26, v1, s20
	s_add_u32 s27, s3, 2
	s_addc_u32 s28, s12, 0
	s_add_i32 s22, s22, s25
	s_cmp_lg_u32 s21, 0
	v_readfirstlane_b32 s21, v2
	s_subb_u32 s22, s23, s22
	s_cmp_lg_u32 s26, 0
	s_subb_u32 s23, s22, 0
	s_delay_alu instid0(VALU_DEP_1) | instskip(SKIP_4) | instid1(SALU_CYCLE_1)
	s_cmp_ge_u32 s21, s20
	s_cselect_b32 s21, -1, 0
	s_cmp_eq_u32 s23, 0
	v_readfirstlane_b32 s23, v1
	s_cselect_b32 s21, s21, -1
	s_cmp_lg_u32 s21, 0
	s_cselect_b32 s17, s27, s17
	s_cselect_b32 s21, s28, s24
	s_cmp_ge_u32 s23, s20
	s_cselect_b32 s23, -1, 0
	s_cmp_eq_u32 s22, 0
	s_cselect_b32 s22, s23, -1
	s_delay_alu instid0(SALU_CYCLE_1) | instskip(SKIP_2) | instid1(SALU_CYCLE_1)
	s_cmp_lg_u32 s22, 0
	s_cselect_b32 s23, s21, s12
	s_cselect_b32 s22, s17, s3
	s_xor_b64 s[22:23], s[22:23], s[18:19]
	s_delay_alu instid0(SALU_CYCLE_1)
	s_sub_u32 s18, s22, s18
	s_and_not1_b32 vcc_lo, exec_lo, s2
	s_cbranch_vccnz .LBB57_6
.LBB57_5:
	v_cvt_f32_u32_e32 v1, s20
	s_sub_i32 s3, 0, s20
	s_delay_alu instid0(VALU_DEP_1) | instskip(SKIP_2) | instid1(VALU_DEP_1)
	v_rcp_iflag_f32_e32 v1, v1
	s_waitcnt_depctr 0xfff
	v_mul_f32_e32 v1, 0x4f7ffffe, v1
	v_cvt_u32_f32_e32 v1, v1
	s_delay_alu instid0(VALU_DEP_1) | instskip(NEXT) | instid1(VALU_DEP_1)
	v_readfirstlane_b32 s2, v1
	s_mul_i32 s3, s3, s2
	s_delay_alu instid0(SALU_CYCLE_1) | instskip(NEXT) | instid1(SALU_CYCLE_1)
	s_mul_hi_u32 s3, s2, s3
	s_add_i32 s2, s2, s3
	s_delay_alu instid0(SALU_CYCLE_1) | instskip(NEXT) | instid1(SALU_CYCLE_1)
	s_mul_hi_u32 s2, s11, s2
	s_mul_i32 s3, s2, s20
	s_delay_alu instid0(SALU_CYCLE_1)
	s_sub_i32 s3, s11, s3
	s_add_i32 s11, s2, 1
	s_sub_i32 s12, s3, s20
	s_cmp_ge_u32 s3, s20
	s_cselect_b32 s2, s11, s2
	s_cselect_b32 s3, s12, s3
	s_add_i32 s11, s2, 1
	s_cmp_ge_u32 s3, s20
	s_cselect_b32 s18, s11, s2
.LBB57_6:
	s_delay_alu instid0(SALU_CYCLE_1) | instskip(SKIP_3) | instid1(SALU_CYCLE_1)
	s_cmp_eq_u32 s16, s18
	s_mul_hi_u32 s2, s16, s8
	s_cselect_b32 s3, -1, 0
	s_add_i32 s2, s2, s16
	s_lshr_b32 s11, s2, s9
	s_delay_alu instid0(SALU_CYCLE_1) | instskip(NEXT) | instid1(SALU_CYCLE_1)
	s_mul_i32 s2, s11, s10
	s_cmp_eq_u32 s2, s16
	s_mul_hi_u32 s2, s18, s8
	s_cselect_b32 s12, -1, 0
	s_add_i32 s2, s2, s18
	s_delay_alu instid0(SALU_CYCLE_1) | instskip(NEXT) | instid1(SALU_CYCLE_1)
	s_lshr_b32 s2, s2, s9
	s_cmp_eq_u32 s11, s2
	s_mul_i32 s2, s2, s10
	s_cselect_b32 s17, -1, 0
	s_cmp_lg_u32 s2, s18
	s_cselect_b32 s2, -1, 0
	s_or_b32 s3, s3, s12
	s_and_b32 s2, s17, s2
	s_delay_alu instid0(SALU_CYCLE_1) | instskip(NEXT) | instid1(SALU_CYCLE_1)
	s_or_b32 s2, s3, s2
	s_and_b32 vcc_lo, exec_lo, s2
	s_cbranch_vccnz .LBB57_24
; %bb.7:
	s_load_b256 s[24:31], s[0:1], 0x20
	s_waitcnt lgkmcnt(0)
	s_mul_hi_u32 s2, s16, s24
	s_delay_alu instid0(SALU_CYCLE_1) | instskip(NEXT) | instid1(SALU_CYCLE_1)
	s_add_i32 s2, s2, s16
	s_lshr_b32 s18, s2, s25
	s_load_b32 s2, s[0:1], 0x40
	s_mul_i32 s3, s18, s26
	s_delay_alu instid0(SALU_CYCLE_1) | instskip(NEXT) | instid1(SALU_CYCLE_1)
	s_sub_i32 s3, s16, s3
	s_mul_hi_u32 s12, s3, s27
	s_delay_alu instid0(SALU_CYCLE_1) | instskip(NEXT) | instid1(SALU_CYCLE_1)
	s_add_i32 s12, s3, s12
	s_lshr_b32 s21, s12, s28
	s_delay_alu instid0(SALU_CYCLE_1) | instskip(NEXT) | instid1(SALU_CYCLE_1)
	s_mul_i32 s12, s21, s29
	s_sub_i32 s3, s3, s12
	s_delay_alu instid0(SALU_CYCLE_1) | instskip(NEXT) | instid1(SALU_CYCLE_1)
	s_mul_hi_u32 s12, s3, s30
	s_add_i32 s12, s3, s12
	s_delay_alu instid0(SALU_CYCLE_1) | instskip(SKIP_3) | instid1(SALU_CYCLE_1)
	s_lshr_b32 s22, s12, s31
	s_mov_b32 s12, 0
	s_waitcnt lgkmcnt(0)
	s_mul_i32 s2, s22, s2
	s_sub_i32 s2, s3, s2
	s_delay_alu instid0(SALU_CYCLE_1) | instskip(NEXT) | instid1(SALU_CYCLE_1)
	s_mul_hi_u32 s3, s2, s8
	s_add_i32 s2, s2, s3
	s_delay_alu instid0(SALU_CYCLE_1) | instskip(NEXT) | instid1(SALU_CYCLE_1)
	s_lshr_b32 s23, s2, s9
	s_lshl_b32 s2, s23, 1
	s_delay_alu instid0(SALU_CYCLE_1) | instskip(NEXT) | instid1(SALU_CYCLE_1)
	s_add_i32 s2, s2, s14
	s_cmp_lt_i32 s2, s4
	s_cselect_b32 s2, -1, 0
	s_add_i32 s3, s22, s15
	s_delay_alu instid0(SALU_CYCLE_1) | instskip(SKIP_1) | instid1(SALU_CYCLE_1)
	s_cmp_lt_i32 s3, s6
	s_cselect_b32 s3, -1, 0
	s_and_b32 s2, s2, s3
	s_delay_alu instid0(SALU_CYCLE_1)
	s_and_not1_b32 vcc_lo, exec_lo, s2
	s_cbranch_vccnz .LBB57_24
; %bb.8:
	s_load_b128 s[0:3], s[0:1], 0x0
	s_lshl_b32 s24, s20, 3
	s_mov_b32 s25, s12
	s_add_i32 s17, s14, s15
	s_lshl_b64 s[24:25], s[24:25], 2
	s_mul_i32 s4, s18, s4
	s_mul_i32 s21, s21, s6
	v_cvt_f32_ubyte0_e32 v4, 0
	v_cvt_f32_u32_e32 v5, s20
	s_waitcnt lgkmcnt(0)
	s_add_u32 s18, s2, s24
	s_addc_u32 s19, s3, s25
	s_add_i32 s4, s4, s14
	s_delay_alu instid0(SALU_CYCLE_1) | instskip(SKIP_4) | instid1(SALU_CYCLE_1)
	s_mul_i32 s4, s4, s5
	s_mul_i32 s5, s5, s23
	s_add_i32 s4, s4, s15
	s_lshl_b32 s5, s5, 9
	s_add_i32 s4, s4, s21
	s_add_i32 s4, s4, s22
	s_delay_alu instid0(SALU_CYCLE_1) | instskip(NEXT) | instid1(SALU_CYCLE_1)
	s_lshl_b32 s4, s4, 8
	s_add_i32 s5, s5, s4
	s_delay_alu instid0(SALU_CYCLE_1) | instskip(SKIP_1) | instid1(VALU_DEP_2)
	v_or_b32_e32 v1, s5, v0
	v_lshl_or_b32 v0, s17, 8, v0
	v_ashrrev_i32_e32 v2, 31, v1
	s_delay_alu instid0(VALU_DEP_1) | instskip(NEXT) | instid1(VALU_DEP_1)
	v_lshlrev_b64 v[1:2], 2, v[1:2]
	v_add_co_u32 v1, vcc_lo, s0, v1
	s_delay_alu instid0(VALU_DEP_2) | instskip(SKIP_1) | instid1(SALU_CYCLE_1)
	v_add_co_ci_u32_e32 v2, vcc_lo, s1, v2, vcc_lo
	s_lshl_b32 s0, s13, 1
	s_add_i32 s0, s0, s17
	global_load_b32 v3, v[1:2], off
	s_ashr_i32 s1, s0, 31
	s_delay_alu instid0(SALU_CYCLE_1) | instskip(NEXT) | instid1(SALU_CYCLE_1)
	s_lshl_b64 s[0:1], s[0:1], 3
	s_add_u32 s0, s2, s0
	s_addc_u32 s1, s3, s1
	s_add_i32 s14, s13, -1
	s_load_b64 s[0:1], s[0:1], 0x0
	v_fmac_f32_e32 v5, 0x4f800000, v4
	s_sub_i32 s6, 0, s20
	s_waitcnt lgkmcnt(0)
	v_mov_b32_e32 v8, s0
	s_delay_alu instid0(VALU_DEP_2) | instskip(SKIP_2) | instid1(VALU_DEP_2)
	v_rcp_f32_e32 v4, v5
	v_cvt_f32_u32_e32 v5, s20
	v_mov_b32_e32 v7, s1
	v_rcp_iflag_f32_e32 v5, v5
	s_waitcnt_depctr 0xfff
	v_mul_f32_e32 v4, 0x5f7ffffc, v4
	s_delay_alu instid0(VALU_DEP_1) | instskip(SKIP_1) | instid1(VALU_DEP_2)
	v_mul_f32_e32 v6, 0x2f800000, v4
	v_mul_f32_e32 v9, 0x4f7ffffe, v5
	v_trunc_f32_e32 v6, v6
	s_delay_alu instid0(VALU_DEP_1) | instskip(SKIP_1) | instid1(VALU_DEP_4)
	v_fmac_f32_e32 v4, 0xcf800000, v6
	v_cvt_u32_f32_e32 v5, v6
	v_cvt_u32_f32_e32 v6, v9
	s_delay_alu instid0(VALU_DEP_3)
	v_cvt_u32_f32_e32 v4, v4
.LBB57_9:                               ; =>This Inner Loop Header: Depth=1
	s_mul_hi_i32 s13, s14, s7
	s_mul_i32 s4, s14, s7
	s_cmp_lg_u64 s[12:13], 0
	s_mov_b32 s5, -1
                                        ; implicit-def: $sgpr0_sgpr1
	s_cbranch_scc0 .LBB57_11
; %bb.10:                               ;   in Loop: Header=BB57_9 Depth=1
	v_readfirstlane_b32 s0, v4
	v_readfirstlane_b32 s1, v5
	s_sub_u32 s5, 0, s20
	s_subb_u32 s15, 0, 0
	s_delay_alu instid0(VALU_DEP_2) | instskip(NEXT) | instid1(VALU_DEP_1)
	s_mul_hi_u32 s21, s5, s0
	s_mul_i32 s22, s5, s1
	s_mul_i32 s23, s15, s0
	s_add_i32 s21, s21, s22
	s_mul_i32 s22, s5, s0
	s_add_i32 s21, s21, s23
	s_mul_hi_u32 s23, s0, s22
	s_mul_i32 s24, s0, s21
	s_mul_hi_u32 s0, s0, s21
	s_add_u32 s23, s23, s24
	s_mul_i32 s25, s1, s22
	s_addc_u32 s0, 0, s0
	s_mul_hi_u32 s22, s1, s22
	s_mul_hi_u32 s24, s1, s21
	s_add_u32 s23, s23, s25
	s_addc_u32 s0, s0, s22
	s_mul_i32 s21, s1, s21
	s_addc_u32 s22, s24, 0
	s_add_u32 s0, s0, s21
	s_addc_u32 s21, 0, s22
	v_add_co_u32 v9, s0, v4, s0
	s_delay_alu instid0(VALU_DEP_1) | instskip(SKIP_1) | instid1(VALU_DEP_1)
	s_cmp_lg_u32 s0, 0
	s_addc_u32 s1, s1, s21
	v_readfirstlane_b32 s0, v9
	s_mul_i32 s21, s5, s1
	s_delay_alu instid0(VALU_DEP_1)
	s_mul_hi_u32 s22, s5, s0
	s_mul_i32 s15, s15, s0
	s_add_i32 s21, s22, s21
	s_mul_i32 s5, s5, s0
	s_add_i32 s21, s21, s15
	s_mul_hi_u32 s15, s1, s5
	s_mul_i32 s23, s1, s5
	s_mul_i32 s24, s0, s21
	s_mul_hi_u32 s5, s0, s5
	s_mul_hi_u32 s0, s0, s21
	s_add_u32 s5, s5, s24
	s_addc_u32 s0, 0, s0
	s_mul_hi_u32 s22, s1, s21
	s_add_u32 s5, s5, s23
	s_addc_u32 s0, s0, s15
	s_mul_i32 s5, s1, s21
	s_addc_u32 s15, s22, 0
	s_add_u32 s0, s0, s5
	s_addc_u32 s5, 0, s15
	v_add_co_u32 v9, s0, v9, s0
	s_delay_alu instid0(VALU_DEP_1) | instskip(SKIP_2) | instid1(SALU_CYCLE_1)
	s_cmp_lg_u32 s0, 0
	s_addc_u32 s5, s1, s5
	s_ashr_i32 s0, s13, 31
	s_add_u32 s22, s4, s0
	s_addc_u32 s23, s13, s0
	v_readfirstlane_b32 s13, v9
	s_mov_b32 s1, s0
	s_delay_alu instid0(SALU_CYCLE_1) | instskip(NEXT) | instid1(SALU_CYCLE_1)
	s_xor_b64 s[22:23], s[22:23], s[0:1]
	s_mul_i32 s15, s22, s5
	s_delay_alu instid0(VALU_DEP_1)
	s_mul_hi_u32 s21, s22, s13
	s_mul_hi_u32 s24, s22, s5
	s_add_u32 s15, s21, s15
	s_mul_i32 s25, s23, s13
	s_addc_u32 s21, 0, s24
	s_mul_hi_u32 s13, s23, s13
	s_mul_hi_u32 s24, s23, s5
	s_add_u32 s15, s15, s25
	s_addc_u32 s13, s21, s13
	s_mul_i32 s5, s23, s5
	s_addc_u32 s15, s24, 0
	s_add_u32 s5, s13, s5
	s_addc_u32 s13, 0, s15
	s_mul_i32 s21, s20, s5
	s_add_u32 s15, s5, 1
	v_sub_co_u32 v9, s21, s22, s21
	s_addc_u32 s22, s13, 0
	s_mul_i32 s25, s20, s13
	s_mul_hi_u32 s27, s20, s5
	s_delay_alu instid0(VALU_DEP_1)
	v_sub_co_u32 v10, s26, v9, s20
	s_add_u32 s24, s5, 2
	s_addc_u32 s28, s13, 0
	s_add_i32 s27, s27, s25
	s_cmp_lg_u32 s21, 0
	v_readfirstlane_b32 s21, v10
	s_subb_u32 s23, s23, s27
	s_cmp_lg_u32 s26, 0
	s_subb_u32 s25, s23, 0
	s_delay_alu instid0(VALU_DEP_1) | instskip(SKIP_4) | instid1(SALU_CYCLE_1)
	s_cmp_ge_u32 s21, s20
	s_cselect_b32 s21, -1, 0
	s_cmp_eq_u32 s25, 0
	v_readfirstlane_b32 s25, v9
	s_cselect_b32 s21, s21, -1
	s_cmp_lg_u32 s21, 0
	s_cselect_b32 s15, s24, s15
	s_cselect_b32 s21, s28, s22
	s_cmp_ge_u32 s25, s20
	s_cselect_b32 s22, -1, 0
	s_cmp_eq_u32 s23, 0
	s_cselect_b32 s22, s22, -1
	s_delay_alu instid0(SALU_CYCLE_1) | instskip(SKIP_4) | instid1(SALU_CYCLE_1)
	s_cmp_lg_u32 s22, 0
	s_cselect_b32 s23, s21, s13
	s_cselect_b32 s22, s15, s5
	s_mov_b32 s5, 0
	s_xor_b64 s[22:23], s[22:23], s[0:1]
	s_sub_u32 s0, s22, s0
.LBB57_11:                              ;   in Loop: Header=BB57_9 Depth=1
	s_and_not1_b32 vcc_lo, exec_lo, s5
	s_cbranch_vccnz .LBB57_13
; %bb.12:                               ;   in Loop: Header=BB57_9 Depth=1
	v_readfirstlane_b32 s0, v6
	s_delay_alu instid0(VALU_DEP_1) | instskip(NEXT) | instid1(SALU_CYCLE_1)
	s_mul_i32 s1, s6, s0
	s_mul_hi_u32 s1, s0, s1
	s_delay_alu instid0(SALU_CYCLE_1) | instskip(NEXT) | instid1(SALU_CYCLE_1)
	s_add_i32 s0, s0, s1
	s_mul_hi_u32 s0, s4, s0
	s_delay_alu instid0(SALU_CYCLE_1) | instskip(NEXT) | instid1(SALU_CYCLE_1)
	s_mul_i32 s1, s0, s20
	s_sub_i32 s1, s4, s1
	s_add_i32 s4, s0, 1
	s_sub_i32 s5, s1, s20
	s_cmp_ge_u32 s1, s20
	s_cselect_b32 s0, s4, s0
	s_cselect_b32 s1, s5, s1
	s_add_i32 s4, s0, 1
	s_cmp_ge_u32 s1, s20
	s_cselect_b32 s0, s4, s0
.LBB57_13:                              ;   in Loop: Header=BB57_9 Depth=1
	s_delay_alu instid0(SALU_CYCLE_1)
	s_cmp_lg_u32 s16, s0
	s_cbranch_scc0 .LBB57_17
; %bb.14:                               ;   in Loop: Header=BB57_9 Depth=1
	s_add_i32 s1, s14, s20
	s_mov_b32 s5, s12
	s_lshl_b32 s1, s1, 1
	s_mov_b32 s15, s16
	s_add_i32 s4, s1, s17
	s_mul_hi_u32 s1, s0, s8
	s_lshl_b64 s[4:5], s[4:5], 3
	s_delay_alu instid0(SALU_CYCLE_1) | instskip(SKIP_2) | instid1(SALU_CYCLE_1)
	s_add_u32 s4, s2, s4
	s_addc_u32 s5, s3, s5
	s_add_i32 s1, s1, s0
	s_lshr_b32 s1, s1, s9
	s_delay_alu instid0(SALU_CYCLE_1) | instskip(NEXT) | instid1(SALU_CYCLE_1)
	s_mul_i32 s13, s1, s10
	s_cmp_eq_u32 s13, s0
	s_cselect_b32 s13, -1, 0
	s_cmp_lt_u32 s1, s11
	s_cselect_b32 s1, -1, 0
	s_delay_alu instid0(SALU_CYCLE_1)
	s_or_b32 s1, s1, s13
	s_mov_b32 s13, -1
	s_and_b32 vcc_lo, exec_lo, s1
	s_mov_b32 s1, s14
	s_cbranch_vccnz .LBB57_16
; %bb.15:                               ;   in Loop: Header=BB57_9 Depth=1
	s_add_i32 s1, s14, -1
	s_mov_b32 s13, 0
	s_mov_b32 s15, s0
.LBB57_16:                              ;   in Loop: Header=BB57_9 Depth=1
	v_lshl_add_u32 v9, s14, 9, v0
	s_load_b64 s[4:5], s[4:5], 0x0
	s_delay_alu instid0(VALU_DEP_1) | instskip(NEXT) | instid1(VALU_DEP_1)
	v_ashrrev_i32_e32 v10, 31, v9
	v_lshlrev_b64 v[9:10], 2, v[9:10]
	s_delay_alu instid0(VALU_DEP_1) | instskip(NEXT) | instid1(VALU_DEP_2)
	v_add_co_u32 v9, vcc_lo, s18, v9
	v_add_co_ci_u32_e32 v10, vcc_lo, s19, v10, vcc_lo
	s_waitcnt lgkmcnt(0)
	v_max_f32_e64 v11, s4, s4
	global_load_b32 v10, v[9:10], off
	v_max_f32_e32 v9, v8, v8
	s_delay_alu instid0(VALU_DEP_1) | instskip(NEXT) | instid1(VALU_DEP_1)
	v_max_f32_e32 v9, v9, v11
	v_sub_f32_e32 v12, v8, v9
	s_delay_alu instid0(VALU_DEP_1) | instskip(NEXT) | instid1(VALU_DEP_1)
	v_dual_mul_f32 v14, 0x3fb8aa3b, v12 :: v_dual_sub_f32 v11, s4, v9
	v_rndne_f32_e32 v18, v14
	s_delay_alu instid0(VALU_DEP_2) | instskip(SKIP_2) | instid1(VALU_DEP_4)
	v_mul_f32_e32 v13, 0x3fb8aa3b, v11
	v_fma_f32 v17, 0x3fb8aa3b, v12, -v14
	v_cmp_ngt_f32_e32 vcc_lo, 0xc2ce8ed0, v11
	v_sub_f32_e32 v14, v14, v18
	s_delay_alu instid0(VALU_DEP_4) | instskip(SKIP_2) | instid1(VALU_DEP_3)
	v_fma_f32 v15, 0x3fb8aa3b, v11, -v13
	v_rndne_f32_e32 v16, v13
	v_fmac_f32_e32 v17, 0x32a5705f, v12
	v_fmac_f32_e32 v15, 0x32a5705f, v11
	s_delay_alu instid0(VALU_DEP_2) | instskip(NEXT) | instid1(VALU_DEP_1)
	v_dual_sub_f32 v13, v13, v16 :: v_dual_add_f32 v14, v14, v17
	v_add_f32_e32 v13, v13, v15
	s_delay_alu instid0(VALU_DEP_2) | instskip(SKIP_2) | instid1(VALU_DEP_3)
	v_exp_f32_e32 v14, v14
	v_cvt_i32_f32_e32 v15, v16
	v_cvt_i32_f32_e32 v16, v18
	v_exp_f32_e32 v13, v13
	s_waitcnt_depctr 0xfff
	v_ldexp_f32 v14, v14, v16
	v_ldexp_f32 v13, v13, v15
	s_delay_alu instid0(VALU_DEP_1) | instskip(SKIP_1) | instid1(VALU_DEP_4)
	v_cndmask_b32_e32 v13, 0, v13, vcc_lo
	v_cmp_ngt_f32_e32 vcc_lo, 0xc2ce8ed0, v12
	v_cndmask_b32_e32 v14, 0, v14, vcc_lo
	v_cmp_nlt_f32_e32 vcc_lo, 0x42b17218, v11
	s_delay_alu instid0(VALU_DEP_4) | instskip(SKIP_1) | instid1(VALU_DEP_4)
	v_cndmask_b32_e32 v13, 0x7f800000, v13, vcc_lo
	v_cmp_nlt_f32_e32 vcc_lo, 0x42b17218, v12
	v_cndmask_b32_e32 v14, 0x7f800000, v14, vcc_lo
	v_cmp_le_f32_e32 vcc_lo, 0xc1a00000, v11
	s_delay_alu instid0(VALU_DEP_4) | instskip(SKIP_1) | instid1(VALU_DEP_4)
	v_cndmask_b32_e32 v11, 0, v13, vcc_lo
	v_cmp_le_f32_e32 vcc_lo, 0xc1a00000, v12
	v_cndmask_b32_e32 v12, 0, v14, vcc_lo
	s_waitcnt vmcnt(0)
	s_delay_alu instid0(VALU_DEP_3) | instskip(NEXT) | instid1(VALU_DEP_1)
	v_mul_f32_e32 v10, v10, v11
	v_dual_mul_f32 v11, s5, v11 :: v_dual_fmac_f32 v10, v3, v12
	s_delay_alu instid0(VALU_DEP_1)
	v_fmac_f32_e32 v11, v7, v12
	s_cbranch_execz .LBB57_18
	s_branch .LBB57_19
.LBB57_17:                              ;   in Loop: Header=BB57_9 Depth=1
                                        ; implicit-def: $sgpr13
                                        ; implicit-def: $vgpr10
                                        ; implicit-def: $vgpr9
                                        ; implicit-def: $vgpr11
                                        ; implicit-def: $sgpr1
                                        ; implicit-def: $sgpr15
.LBB57_18:                              ;   in Loop: Header=BB57_9 Depth=1
	v_mov_b32_e32 v11, v7
	s_waitcnt vmcnt(0)
	v_dual_mov_b32 v9, v8 :: v_dual_mov_b32 v10, v3
	s_add_i32 s1, s14, -1
	s_mov_b32 s13, 0
	s_mov_b32 s15, s16
.LBB57_19:                              ;   in Loop: Header=BB57_9 Depth=1
	s_and_not1_b32 vcc_lo, exec_lo, s13
	s_cbranch_vccz .LBB57_23
; %bb.20:                               ;   in Loop: Header=BB57_9 Depth=1
	v_dual_mov_b32 v7, v11 :: v_dual_mov_b32 v8, v9
	s_waitcnt vmcnt(0)
	v_mov_b32_e32 v3, v10
	s_mov_b32 s16, s15
	s_mov_b32 s14, s1
	s_branch .LBB57_9
.LBB57_21:
                                        ; implicit-def: $sgpr16_sgpr17
	s_load_b128 s[8:11], s[0:1], 0x44
	s_branch .LBB57_2
.LBB57_22:
                                        ; implicit-def: $sgpr18_sgpr19
	s_branch .LBB57_5
.LBB57_23:
	v_div_scale_f32 v0, null, v11, v11, v10
	s_waitcnt vmcnt(0)
	s_delay_alu instid0(VALU_DEP_1) | instskip(SKIP_2) | instid1(VALU_DEP_1)
	v_rcp_f32_e32 v3, v0
	s_waitcnt_depctr 0xfff
	v_fma_f32 v4, -v0, v3, 1.0
	v_fmac_f32_e32 v3, v4, v3
	v_div_scale_f32 v4, vcc_lo, v10, v11, v10
	s_delay_alu instid0(VALU_DEP_1) | instskip(NEXT) | instid1(VALU_DEP_1)
	v_mul_f32_e32 v5, v4, v3
	v_fma_f32 v6, -v0, v5, v4
	s_delay_alu instid0(VALU_DEP_1) | instskip(NEXT) | instid1(VALU_DEP_1)
	v_fmac_f32_e32 v5, v6, v3
	v_fma_f32 v0, -v0, v5, v4
	s_delay_alu instid0(VALU_DEP_1) | instskip(NEXT) | instid1(VALU_DEP_1)
	v_div_fmas_f32 v0, v0, v3, v5
	v_div_fixup_f32 v0, v0, v11, v10
	global_store_b32 v[1:2], v0, off
.LBB57_24:
	s_nop 0
	s_sendmsg sendmsg(MSG_DEALLOC_VGPRS)
	s_endpgm
	.section	.rodata,"a",@progbits
	.p2align	6, 0x0
	.amdhsa_kernel _ZL33flash_attn_stream_k_fixup_generalILi256ELi2ELi1EEvPfPK15HIP_vector_typeIfLj2EEiiiiS1_IjLj3EES5_S5_S5_
		.amdhsa_group_segment_fixed_size 0
		.amdhsa_private_segment_fixed_size 0
		.amdhsa_kernarg_size 336
		.amdhsa_user_sgpr_count 13
		.amdhsa_user_sgpr_dispatch_ptr 0
		.amdhsa_user_sgpr_queue_ptr 0
		.amdhsa_user_sgpr_kernarg_segment_ptr 1
		.amdhsa_user_sgpr_dispatch_id 0
		.amdhsa_user_sgpr_private_segment_size 0
		.amdhsa_wavefront_size32 1
		.amdhsa_uses_dynamic_stack 0
		.amdhsa_enable_private_segment 0
		.amdhsa_system_sgpr_workgroup_id_x 1
		.amdhsa_system_sgpr_workgroup_id_y 1
		.amdhsa_system_sgpr_workgroup_id_z 1
		.amdhsa_system_sgpr_workgroup_info 0
		.amdhsa_system_vgpr_workitem_id 0
		.amdhsa_next_free_vgpr 19
		.amdhsa_next_free_sgpr 32
		.amdhsa_reserve_vcc 1
		.amdhsa_float_round_mode_32 0
		.amdhsa_float_round_mode_16_64 0
		.amdhsa_float_denorm_mode_32 3
		.amdhsa_float_denorm_mode_16_64 3
		.amdhsa_dx10_clamp 1
		.amdhsa_ieee_mode 1
		.amdhsa_fp16_overflow 0
		.amdhsa_workgroup_processor_mode 1
		.amdhsa_memory_ordered 1
		.amdhsa_forward_progress 0
		.amdhsa_shared_vgpr_count 0
		.amdhsa_exception_fp_ieee_invalid_op 0
		.amdhsa_exception_fp_denorm_src 0
		.amdhsa_exception_fp_ieee_div_zero 0
		.amdhsa_exception_fp_ieee_overflow 0
		.amdhsa_exception_fp_ieee_underflow 0
		.amdhsa_exception_fp_ieee_inexact 0
		.amdhsa_exception_int_div_zero 0
	.end_amdhsa_kernel
	.section	.text._ZL33flash_attn_stream_k_fixup_generalILi256ELi2ELi1EEvPfPK15HIP_vector_typeIfLj2EEiiiiS1_IjLj3EES5_S5_S5_,"axG",@progbits,_ZL33flash_attn_stream_k_fixup_generalILi256ELi2ELi1EEvPfPK15HIP_vector_typeIfLj2EEiiiiS1_IjLj3EES5_S5_S5_,comdat
.Lfunc_end57:
	.size	_ZL33flash_attn_stream_k_fixup_generalILi256ELi2ELi1EEvPfPK15HIP_vector_typeIfLj2EEiiiiS1_IjLj3EES5_S5_S5_, .Lfunc_end57-_ZL33flash_attn_stream_k_fixup_generalILi256ELi2ELi1EEvPfPK15HIP_vector_typeIfLj2EEiiiiS1_IjLj3EES5_S5_S5_
                                        ; -- End function
	.section	.AMDGPU.csdata,"",@progbits
; Kernel info:
; codeLenInByte = 3220
; NumSgprs: 34
; NumVgprs: 19
; ScratchSize: 0
; MemoryBound: 0
; FloatMode: 240
; IeeeMode: 1
; LDSByteSize: 0 bytes/workgroup (compile time only)
; SGPRBlocks: 4
; VGPRBlocks: 2
; NumSGPRsForWavesPerEU: 34
; NumVGPRsForWavesPerEU: 19
; Occupancy: 16
; WaveLimiterHint : 0
; COMPUTE_PGM_RSRC2:SCRATCH_EN: 0
; COMPUTE_PGM_RSRC2:USER_SGPR: 13
; COMPUTE_PGM_RSRC2:TRAP_HANDLER: 0
; COMPUTE_PGM_RSRC2:TGID_X_EN: 1
; COMPUTE_PGM_RSRC2:TGID_Y_EN: 1
; COMPUTE_PGM_RSRC2:TGID_Z_EN: 1
; COMPUTE_PGM_RSRC2:TIDIG_COMP_CNT: 0
	.section	.text._ZL15flash_attn_tileILi256ELi256ELi4ELi8ELb1EEvPKcS1_S1_S1_S1_PKiPfP15HIP_vector_typeIfLj2EEffffjfiS5_IjLj3EEiiiiiiiiiiiliiliiiiil,"axG",@progbits,_ZL15flash_attn_tileILi256ELi256ELi4ELi8ELb1EEvPKcS1_S1_S1_S1_PKiPfP15HIP_vector_typeIfLj2EEffffjfiS5_IjLj3EEiiiiiiiiiiiliiliiiiil,comdat
	.globl	_ZL15flash_attn_tileILi256ELi256ELi4ELi8ELb1EEvPKcS1_S1_S1_S1_PKiPfP15HIP_vector_typeIfLj2EEffffjfiS5_IjLj3EEiiiiiiiiiiiliiliiiiil ; -- Begin function _ZL15flash_attn_tileILi256ELi256ELi4ELi8ELb1EEvPKcS1_S1_S1_S1_PKiPfP15HIP_vector_typeIfLj2EEffffjfiS5_IjLj3EEiiiiiiiiiiiliiliiiiil
	.p2align	8
	.type	_ZL15flash_attn_tileILi256ELi256ELi4ELi8ELb1EEvPKcS1_S1_S1_S1_PKiPfP15HIP_vector_typeIfLj2EEffffjfiS5_IjLj3EEiiiiiiiiiiiliiliiiiil,@function
_ZL15flash_attn_tileILi256ELi256ELi4ELi8ELb1EEvPKcS1_S1_S1_S1_PKiPfP15HIP_vector_typeIfLj2EEffffjfiS5_IjLj3EEiiiiiiiiiiiliiliiiiil: ; @_ZL15flash_attn_tileILi256ELi256ELi4ELi8ELb1EEvPKcS1_S1_S1_S1_PKiPfP15HIP_vector_typeIfLj2EEffffjfiS5_IjLj3EEiiiiiiiiiiiliiliiiiil
; %bb.0:
	s_clause 0x1
	s_load_b128 s[4:7], s[0:1], 0x5c
	s_load_b64 s[2:3], s[0:1], 0x80
	s_mov_b64 s[34:35], 0
	s_waitcnt lgkmcnt(0)
	s_ashr_i32 s8, s7, 31
	s_delay_alu instid0(SALU_CYCLE_1) | instskip(NEXT) | instid1(SALU_CYCLE_1)
	s_lshr_b32 s8, s8, 29
	s_add_i32 s8, s7, s8
	s_delay_alu instid0(SALU_CYCLE_1) | instskip(NEXT) | instid1(SALU_CYCLE_1)
	s_ashr_i32 s8, s8, 3
	v_cvt_f32_u32_e32 v1, s8
	s_sub_i32 s10, 0, s8
	s_delay_alu instid0(VALU_DEP_1) | instskip(SKIP_2) | instid1(VALU_DEP_1)
	v_rcp_iflag_f32_e32 v1, v1
	s_waitcnt_depctr 0xfff
	v_mul_f32_e32 v1, 0x4f7ffffe, v1
	v_cvt_u32_f32_e32 v1, v1
	s_delay_alu instid0(VALU_DEP_1) | instskip(NEXT) | instid1(VALU_DEP_1)
	v_readfirstlane_b32 s9, v1
	s_mul_i32 s10, s10, s9
	s_delay_alu instid0(SALU_CYCLE_1) | instskip(NEXT) | instid1(SALU_CYCLE_1)
	s_mul_hi_u32 s10, s9, s10
	s_add_i32 s9, s9, s10
	s_delay_alu instid0(SALU_CYCLE_1) | instskip(NEXT) | instid1(SALU_CYCLE_1)
	s_mul_hi_u32 s9, s15, s9
	s_mul_i32 s10, s9, s8
	s_add_i32 s11, s9, 1
	s_sub_i32 s10, s15, s10
	s_delay_alu instid0(SALU_CYCLE_1)
	s_sub_i32 s12, s10, s8
	s_cmp_ge_u32 s10, s8
	s_cselect_b32 s9, s11, s9
	s_cselect_b32 s10, s12, s10
	s_add_i32 s11, s9, 1
	s_cmp_ge_u32 s10, s8
	s_cselect_b32 s12, s11, s9
	s_abs_i32 s8, s3
	s_abs_i32 s16, s7
	v_cvt_f32_u32_e32 v1, s8
	s_sub_i32 s10, 0, s8
	s_lshl_b32 s11, s15, 3
	s_mul_i32 s15, s12, s7
	s_xor_b32 s3, s7, s3
	v_rcp_iflag_f32_e32 v1, v1
	s_sub_i32 s15, s11, s15
	s_ashr_i32 s3, s3, 31
	s_waitcnt_depctr 0xfff
	v_mul_f32_e32 v1, 0x4f7ffffe, v1
	s_delay_alu instid0(VALU_DEP_1) | instskip(NEXT) | instid1(VALU_DEP_1)
	v_cvt_u32_f32_e32 v1, v1
	v_readfirstlane_b32 s9, v1
	s_delay_alu instid0(VALU_DEP_1) | instskip(NEXT) | instid1(SALU_CYCLE_1)
	s_mul_i32 s10, s10, s9
	s_mul_hi_u32 s10, s9, s10
	s_delay_alu instid0(SALU_CYCLE_1) | instskip(NEXT) | instid1(SALU_CYCLE_1)
	s_add_i32 s9, s9, s10
	s_mul_hi_u32 s9, s16, s9
	s_delay_alu instid0(SALU_CYCLE_1) | instskip(SKIP_2) | instid1(SALU_CYCLE_1)
	s_mul_i32 s10, s9, s8
	s_add_i32 s11, s9, 1
	s_sub_i32 s10, s16, s10
	s_sub_i32 s16, s10, s8
	s_cmp_ge_u32 s10, s8
	s_cselect_b32 s9, s11, s9
	s_cselect_b32 s10, s16, s10
	s_add_i32 s11, s9, 1
	s_cmp_ge_u32 s10, s8
	s_clause 0x1
	s_load_b512 s[16:31], s[0:1], 0x0
	s_load_b64 s[36:37], s[0:1], 0xb8
	s_cselect_b32 s8, s11, s9
	s_delay_alu instid0(SALU_CYCLE_1) | instskip(NEXT) | instid1(SALU_CYCLE_1)
	s_xor_b32 s8, s8, s3
	s_sub_i32 s38, s8, s3
	s_delay_alu instid0(SALU_CYCLE_1) | instskip(NEXT) | instid1(SALU_CYCLE_1)
	s_abs_i32 s33, s38
	v_cvt_f32_u32_e32 v1, s33
	s_delay_alu instid0(VALU_DEP_1) | instskip(SKIP_4) | instid1(VALU_DEP_1)
	v_rcp_iflag_f32_e32 v1, v1
	s_waitcnt lgkmcnt(0)
	s_cmp_eq_u64 s[22:23], 0
	s_waitcnt_depctr 0xfff
	v_mul_f32_e32 v1, 0x4f7ffffe, v1
	v_cvt_u32_f32_e32 v1, v1
	s_delay_alu instid0(VALU_DEP_1)
	v_readfirstlane_b32 s39, v1
	s_cbranch_scc1 .LBB58_2
; %bb.1:
	s_abs_i32 s3, s36
	s_abs_i32 s10, s12
	v_cvt_f32_u32_e32 v1, s3
	s_sub_i32 s9, 0, s3
	s_delay_alu instid0(VALU_DEP_1) | instskip(SKIP_2) | instid1(VALU_DEP_1)
	v_rcp_iflag_f32_e32 v1, v1
	s_waitcnt_depctr 0xfff
	v_mul_f32_e32 v1, 0x4f7ffffe, v1
	v_cvt_u32_f32_e32 v1, v1
	s_delay_alu instid0(VALU_DEP_1) | instskip(NEXT) | instid1(VALU_DEP_1)
	v_readfirstlane_b32 s8, v1
	s_mul_i32 s9, s9, s8
	s_delay_alu instid0(SALU_CYCLE_1) | instskip(NEXT) | instid1(SALU_CYCLE_1)
	s_mul_hi_u32 s9, s8, s9
	s_add_i32 s11, s8, s9
	s_load_b64 s[8:9], s[0:1], 0xc8
	s_mul_hi_u32 s11, s10, s11
	s_delay_alu instid0(SALU_CYCLE_1) | instskip(NEXT) | instid1(SALU_CYCLE_1)
	s_mul_i32 s11, s11, s3
	s_sub_i32 s10, s10, s11
	s_ashr_i32 s11, s12, 31
	s_sub_i32 s34, s10, s3
	s_cmp_ge_u32 s10, s3
	s_cselect_b32 s10, s34, s10
	s_delay_alu instid0(SALU_CYCLE_1) | instskip(SKIP_2) | instid1(SALU_CYCLE_1)
	s_sub_i32 s34, s10, s3
	s_cmp_ge_u32 s10, s3
	s_cselect_b32 s3, s34, s10
	s_xor_b32 s3, s3, s11
	s_delay_alu instid0(SALU_CYCLE_1)
	s_sub_i32 s3, s3, s11
	s_waitcnt lgkmcnt(0)
	s_mul_i32 s9, s3, s9
	s_mul_hi_u32 s10, s3, s8
	s_ashr_i32 s11, s3, 31
	s_add_i32 s9, s10, s9
	s_mul_i32 s11, s11, s8
	s_mul_i32 s3, s3, s8
	s_add_i32 s9, s9, s11
	s_add_u32 s34, s22, s3
	s_addc_u32 s35, s23, s9
.LBB58_2:
	v_bfe_u32 v4, v0, 10, 10
	s_load_b128 s[8:11], s[0:1], 0x70
	v_and_b32_e32 v13, 0x3ff, v0
	s_delay_alu instid0(VALU_DEP_2) | instskip(NEXT) | instid1(VALU_DEP_1)
	v_lshrrev_b32_e32 v1, 1, v4
	v_lshl_add_u32 v12, s13, 2, v1
	v_lshlrev_b32_e32 v1, 2, v4
	s_delay_alu instid0(VALU_DEP_2) | instskip(NEXT) | instid1(VALU_DEP_2)
	v_mul_hi_u32 v2, s4, v12
	v_or_b32_e32 v41, 1, v1
	v_or_b32_e32 v43, 3, v1
	;; [unrolled: 1-line block ×3, first 2 shown]
	v_and_b32_e32 v32, 4, v1
	s_waitcnt lgkmcnt(0)
	s_mul_i32 s3, s12, s10
	s_mul_i32 s4, s15, s9
	v_add_nc_u32_e32 v0, v12, v2
	v_and_b32_e32 v17, 5, v41
	v_and_b32_e32 v19, 7, v43
	;; [unrolled: 1-line block ×3, first 2 shown]
	s_delay_alu instid0(VALU_DEP_4)
	v_lshrrev_b32_e32 v0, s5, v0
	s_ashr_i32 s5, s3, 31
	s_add_u32 s3, s16, s3
	s_addc_u32 s5, s17, s5
	s_ashr_i32 s10, s4, 31
	v_mul_lo_u32 v0, v0, s6
	s_add_u32 s3, s3, s4
	s_addc_u32 s4, s5, s10
	s_ashr_i32 s5, s8, 31
	s_ashr_i32 s10, s9, 31
	v_alignbit_b32 v2, s5, s8, 2
	v_alignbit_b32 v14, s10, s9, 2
	s_lshr_b32 s5, s5, 2
	v_sub_nc_u32_e32 v5, v12, v0
	s_lshr_b32 s8, s10, 2
	s_cmp_eq_u64 s[26:27], 0
	v_mad_u64_u32 v[8:9], null, v14, v19, 0
	s_delay_alu instid0(VALU_DEP_2) | instskip(SKIP_3) | instid1(VALU_DEP_3)
	v_mad_u64_u32 v[0:1], null, v2, v5, 0
	v_mad_u64_u32 v[2:3], null, v14, v17, 0
	v_mad_u64_u32 v[6:7], null, v14, v18, 0
	v_mad_u64_u32 v[10:11], null, v14, v32, 0
	v_mad_u64_u32 v[14:15], null, s5, v5, v[1:2]
	s_delay_alu instid0(VALU_DEP_4) | instskip(SKIP_1) | instid1(VALU_DEP_2)
	v_mad_u64_u32 v[15:16], null, s8, v17, v[3:4]
	v_mov_b32_e32 v1, v9
	v_mov_b32_e32 v3, v15
	v_mad_u64_u32 v[16:17], null, s8, v18, v[7:8]
	s_delay_alu instid0(VALU_DEP_3)
	v_mad_u64_u32 v[17:18], null, s8, v19, v[1:2]
	v_mov_b32_e32 v1, v14
	v_mul_lo_u32 v20, s8, v32
	v_lshlrev_b32_e32 v14, 4, v13
	v_lshlrev_b64 v[2:3], 2, v[2:3]
	v_mov_b32_e32 v7, v16
	v_lshlrev_b64 v[0:1], 2, v[0:1]
	v_mov_b32_e32 v9, v17
	v_or_b32_e32 v11, v11, v20
	s_delay_alu instid0(VALU_DEP_3) | instskip(NEXT) | instid1(VALU_DEP_4)
	v_add_co_u32 v15, vcc_lo, s3, v0
	v_add_co_ci_u32_e32 v16, vcc_lo, s4, v1, vcc_lo
	s_delay_alu instid0(VALU_DEP_3) | instskip(NEXT) | instid1(VALU_DEP_3)
	v_lshlrev_b64 v[10:11], 2, v[10:11]
	v_add_co_u32 v24, vcc_lo, v15, v14
	s_delay_alu instid0(VALU_DEP_3) | instskip(SKIP_1) | instid1(VALU_DEP_3)
	v_add_co_ci_u32_e32 v25, vcc_lo, 0, v16, vcc_lo
	v_lshlrev_b64 v[0:1], 2, v[6:7]
	v_add_co_u32 v6, vcc_lo, v24, v10
	s_delay_alu instid0(VALU_DEP_3)
	v_add_co_ci_u32_e32 v7, vcc_lo, v25, v11, vcc_lo
	v_lshlrev_b64 v[22:23], 2, v[8:9]
	v_add_co_u32 v18, vcc_lo, v24, v2
	v_add_co_ci_u32_e32 v19, vcc_lo, v25, v3, vcc_lo
	v_add_co_u32 v26, vcc_lo, v24, v0
	v_add_co_ci_u32_e32 v27, vcc_lo, v25, v1, vcc_lo
	;; [unrolled: 2-line block ×3, first 2 shown]
	s_clause 0x3
	global_load_b128 v[0:3], v[6:7], off
	global_load_b128 v[7:10], v[6:7], off offset:512
	global_load_b128 v[14:17], v[18:19], off
	global_load_b128 v[18:21], v[18:19], off offset:512
	v_lshlrev_b32_e32 v6, 9, v4
	s_clause 0x3
	global_load_b128 v[22:25], v[26:27], off
	global_load_b128 v[26:29], v[26:27], off offset:512
	global_load_b128 v[33:36], v[30:31], off
	global_load_b128 v[37:40], v[30:31], off offset:512
	s_load_b32 s4, s[0:1], 0x40
	v_lshlrev_b32_e32 v11, 1, v13
	v_lshlrev_b32_e32 v31, 7, v41
	;; [unrolled: 1-line block ×4, first 2 shown]
	s_mov_b32 s3, 0
	v_or_b32_e32 v30, v6, v11
	v_add_lshl_u32 v31, v31, v11, 2
	v_add_lshl_u32 v41, v41, v11, 2
	;; [unrolled: 1-line block ×3, first 2 shown]
	s_delay_alu instid0(VALU_DEP_4) | instskip(NEXT) | instid1(VALU_DEP_4)
	v_lshlrev_b32_e32 v30, 2, v30
	v_add_nc_u32_e32 v56, 0x4000, v31
	s_delay_alu instid0(VALU_DEP_4) | instskip(NEXT) | instid1(VALU_DEP_4)
	v_add_nc_u32_e32 v57, 0x4000, v41
	v_add_nc_u32_e32 v11, 0x4000, v11
	s_delay_alu instid0(VALU_DEP_4)
	v_add_nc_u32_e32 v55, 0x4000, v30
	s_waitcnt vmcnt(7) lgkmcnt(0)
	v_fma_mixlo_f16 v30, v0, s4, 0
	v_fma_mixlo_f16 v31, v2, s4, 0
	s_waitcnt vmcnt(6)
	v_fma_mixlo_f16 v41, v7, s4, 0
	v_fma_mixlo_f16 v42, v9, s4, 0
	s_waitcnt vmcnt(5)
	;; [unrolled: 3-line block ×7, first 2 shown]
	v_fma_mixlo_f16 v53, v37, s4, 0
	v_fma_mixlo_f16 v54, v39, s4, 0
	v_fma_mixhi_f16 v31, v3, s4, 0
	v_fma_mixhi_f16 v30, v1, s4, 0
	v_fma_mixhi_f16 v42, v10, s4, 0
	v_fma_mixhi_f16 v41, v8, s4, 0
	v_fma_mixhi_f16 v44, v17, s4, 0
	v_fma_mixhi_f16 v43, v15, s4, 0
	v_fma_mixhi_f16 v46, v21, s4, 0
	v_fma_mixhi_f16 v45, v19, s4, 0
	v_fma_mixhi_f16 v48, v25, s4, 0
	v_fma_mixhi_f16 v47, v23, s4, 0
	v_fma_mixhi_f16 v50, v29, s4, 0
	v_fma_mixhi_f16 v49, v27, s4, 0
	v_fma_mixhi_f16 v52, v36, s4, 0
	v_fma_mixhi_f16 v51, v34, s4, 0
	v_fma_mixhi_f16 v54, v40, s4, 0
	v_fma_mixhi_f16 v53, v38, s4, 0
	ds_store_2addr_b64 v55, v[30:31], v[41:42] offset0:128 offset1:160
	ds_store_2addr_b64 v56, v[43:44], v[45:46] offset0:128 offset1:160
	;; [unrolled: 1-line block ×4, first 2 shown]
	s_waitcnt lgkmcnt(0)
	s_barrier
	buffer_gl0_inv
	s_cbranch_scc1 .LBB58_4
; %bb.3:
	s_load_b32 s2, s[0:1], 0xd0
	s_waitcnt lgkmcnt(0)
	s_mul_i32 s2, s2, s12
	s_delay_alu instid0(SALU_CYCLE_1) | instskip(NEXT) | instid1(SALU_CYCLE_1)
	s_add_i32 s2, s2, s13
	s_lshl_b64 s[2:3], s[2:3], 2
	s_delay_alu instid0(SALU_CYCLE_1)
	s_add_u32 s2, s26, s2
	s_addc_u32 s3, s27, s3
	s_load_b32 s2, s[2:3], 0x0
.LBB58_4:
	v_lshlrev_b32_e32 v31, 2, v13
	v_mbcnt_lo_u32_b32 v33, -1, 0
	s_lshl_b32 s3, s14, 6
	s_waitcnt lgkmcnt(0)
	s_cmp_lt_i32 s3, s2
	s_cbranch_scc1 .LBB58_6
; %bb.5:
	v_mbcnt_lo_u32_b32 v7, -1, 0
	v_mov_b32_e32 v34, 32
	s_mov_b32 s4, 0
	s_mov_b32 s5, 0xfeffffff
	s_delay_alu instid0(VALU_DEP_2)
	v_xor_b32_e32 v79, 16, v7
	v_xor_b32_e32 v78, 8, v7
	;; [unrolled: 1-line block ×5, first 2 shown]
	s_branch .LBB58_7
.LBB58_6:
	s_mov_b32 s4, -1
                                        ; implicit-def: $sgpr5
                                        ; implicit-def: $vgpr7
                                        ; implicit-def: $vgpr34
                                        ; implicit-def: $vgpr79
                                        ; implicit-def: $vgpr78
                                        ; implicit-def: $vgpr77
                                        ; implicit-def: $vgpr76
                                        ; implicit-def: $vgpr75
.LBB58_7:
	s_delay_alu instid0(SALU_CYCLE_1) | instskip(SKIP_2) | instid1(VALU_DEP_3)
	v_cndmask_b32_e64 v0, 0, 1, s4
	v_dual_mov_b32 v3, s5 :: v_dual_mov_b32 v72, s4
	v_dual_mov_b32 v60, s4 :: v_dual_mov_b32 v1, s5
	v_cmp_ne_u32_e32 vcc_lo, 1, v0
	v_dual_mov_b32 v2, s5 :: v_dual_mov_b32 v71, s4
	v_dual_mov_b32 v0, s5 :: v_dual_mov_b32 v69, s4
	;; [unrolled: 1-line block ×10, first 2 shown]
	s_cbranch_vccnz .LBB58_44
; %bb.8:
	s_clause 0x1
	s_load_b128 s[8:11], s[0:1], 0x98
	s_load_b64 s[4:5], s[0:1], 0x8c
	s_sub_i32 s13, 0, s33
	s_abs_i32 s22, s15
	s_mul_i32 s13, s13, s39
	s_ashr_i32 s27, s37, 1
	s_mul_hi_u32 s13, s39, s13
	s_ashr_i32 s37, s12, 31
	s_add_i32 s39, s39, s13
	s_ashr_i32 s23, s15, 31
	s_mul_hi_u32 s36, s22, s39
	s_ashr_i32 s26, s38, 31
	s_load_b64 s[16:17], s[0:1], 0xa8
	s_mul_i32 s38, s36, s33
	v_lshrrev_b32_e32 v0, 4, v13
	v_dual_mov_b32 v56, 0 :: v_dual_lshlrev_b32 v41, 2, v31
	v_mad_u64_u32 v[14:15], null, v5, s27, v[13:14]
	s_delay_alu instid0(VALU_DEP_3)
	v_lshl_add_u32 v1, v4, 1, v0
	s_waitcnt lgkmcnt(0)
	s_mul_i32 s39, s37, s8
	s_ashr_i32 s13, s4, 2
	s_mul_i32 s4, s12, s9
	s_mul_hi_u32 s9, s12, s8
	s_mul_i32 s8, s12, s8
	s_add_i32 s4, s9, s4
	s_ashr_i32 s10, s10, 2
	s_add_i32 s4, s4, s39
	s_add_u32 s8, s18, s8
	s_addc_u32 s4, s19, s4
	s_sub_i32 s18, s22, s38
	s_xor_b32 s9, s23, s26
	s_add_i32 s19, s36, 1
	s_sub_i32 s22, s18, s33
	s_cmp_ge_u32 s18, s33
	s_mul_i32 s17, s12, s17
	s_cselect_b32 s19, s19, s36
	s_cselect_b32 s18, s22, s18
	s_add_i32 s22, s19, 1
	s_cmp_ge_u32 s18, s33
	s_mul_i32 s37, s37, s16
	s_cselect_b32 s18, s22, s19
	s_mul_hi_u32 s19, s12, s16
	s_xor_b32 s18, s18, s9
	v_mul_lo_u32 v0, s13, v1
	s_sub_i32 s18, s18, s9
	s_mul_i32 s16, s12, s16
	s_mul_i32 s5, s18, s5
	;; [unrolled: 1-line block ×3, first 2 shown]
	s_ashr_i32 s9, s5, 31
	s_add_u32 s8, s8, s5
	s_addc_u32 s9, s4, s9
	s_add_i32 s4, s19, s17
	v_mul_lo_u32 v23, s10, v4
	s_add_i32 s4, s4, s37
	s_add_u32 s5, s20, s16
	s_addc_u32 s4, s21, s4
	s_ashr_i32 s16, s18, 31
	s_add_u32 s11, s5, s18
	s_addc_u32 s16, s4, s16
	s_lshl_b32 s4, s13, 4
	s_delay_alu instid0(SALU_CYCLE_1) | instskip(SKIP_3) | instid1(VALU_DEP_4)
	v_dual_mov_b32 v49, 0 :: v_dual_add_nc_u32 v2, s4, v0
	v_dual_mov_b32 v50, 0 :: v_dual_and_b32 v11, 60, v31
	v_mov_b32_e32 v66, 0xfeffffff
	v_lshl_add_u32 v40, v4, 11, 0x4400
	v_add_nc_u32_e32 v7, s4, v2
	v_lshl_add_u32 v15, v4, 9, v41
	v_mov_b32_e32 v58, 0
	s_load_b32 s17, s[0:1], 0x54
	v_dual_mov_b32 v34, 32 :: v_dual_lshlrev_b32 v3, 2, v11
	v_dual_mov_b32 v52, 0 :: v_dual_add_nc_u32 v9, s4, v7
	s_lshl_b32 s4, s10, 3
	v_mov_b32_e32 v59, 0
	v_add_nc_u32_e32 v25, s4, v23
	v_mad_u32_u24 v35, 0x110, v1, v3
	v_ashrrev_i32_e32 v1, 31, v0
	v_ashrrev_i32_e32 v3, 31, v2
	;; [unrolled: 1-line block ×3, first 2 shown]
	v_add_nc_u32_e32 v4, s4, v25
	v_ashrrev_i32_e32 v10, 31, v9
	v_ashrrev_i32_e32 v24, 31, v23
	;; [unrolled: 1-line block ×3, first 2 shown]
	s_delay_alu instid0(VALU_DEP_4) | instskip(SKIP_3) | instid1(VALU_DEP_4)
	v_dual_mov_b32 v60, 0 :: v_dual_add_nc_u32 v29, s4, v4
	v_ashrrev_i32_e32 v5, 31, v4
	v_dual_mov_b32 v64, 0 :: v_dual_add_nc_u32 v45, 0x1000, v15
	v_dual_mov_b32 v57, 0 :: v_dual_add_nc_u32 v46, 0x2000, v15
	v_ashrrev_i32_e32 v30, 31, v29
	v_add_nc_u32_e32 v47, 0x3000, v15
	v_lshlrev_b64 v[15:16], 2, v[0:1]
	v_lshlrev_b64 v[17:18], 2, v[2:3]
	;; [unrolled: 1-line block ×4, first 2 shown]
	v_mov_b32_e32 v10, 0
	v_lshlrev_b64 v[23:24], 2, v[23:24]
	v_lshlrev_b64 v[25:26], 2, v[25:26]
	;; [unrolled: 1-line block ×4, first 2 shown]
	v_dual_mov_b32 v51, 0 :: v_dual_add_nc_u32 v36, 0x1100, v35
	v_dual_mov_b32 v54, 0 :: v_dual_add_nc_u32 v37, 0x2200, v35
	;; [unrolled: 1-line block ×3, first 2 shown]
	v_mul_u32_u24_e32 v39, 0x110, v13
	v_dual_mov_b32 v53, 0 :: v_dual_add_nc_u32 v42, 0x8400, v6
	v_dual_mov_b32 v62, 0 :: v_dual_lshlrev_b32 v43, 3, v13
	v_dual_mov_b32 v61, 0 :: v_dual_add_nc_u32 v44, v6, v41
	v_dual_mov_b32 v63, 0 :: v_dual_lshlrev_b32 v48, 2, v11
	v_dual_mov_b32 v67, 0xfeffffff :: v_dual_mov_b32 v68, 0xfeffffff
	v_dual_mov_b32 v65, 0xfeffffff :: v_dual_mov_b32 v8, 0
	v_mov_b32_e32 v11, 0
	v_mov_b32_e32 v9, 0
	s_add_u32 s4, s0, 0xd0
	s_addc_u32 s5, s1, 0
	s_mov_b32 s18, 0xbbbac73d
.LBB58_9:                               ; =>This Inner Loop Header: Depth=1
	s_mul_hi_i32 s21, s3, s13
	s_mul_i32 s20, s3, s13
	s_delay_alu instid0(SALU_CYCLE_1) | instskip(NEXT) | instid1(SALU_CYCLE_1)
	s_lshl_b64 s[20:21], s[20:21], 2
	s_add_u32 s19, s8, s20
	s_addc_u32 s20, s9, s21
	v_add_co_u32 v0, vcc_lo, s19, v15
	v_add_co_ci_u32_e32 v1, vcc_lo, s20, v16, vcc_lo
	v_add_co_u32 v2, vcc_lo, s19, v17
	v_add_co_ci_u32_e32 v3, vcc_lo, s20, v18, vcc_lo
	s_delay_alu instid0(VALU_DEP_4) | instskip(NEXT) | instid1(VALU_DEP_4)
	v_add_co_u32 v0, vcc_lo, v0, v48
	v_add_co_ci_u32_e32 v1, vcc_lo, 0, v1, vcc_lo
	s_delay_alu instid0(VALU_DEP_4) | instskip(NEXT) | instid1(VALU_DEP_4)
	v_add_co_u32 v2, vcc_lo, v2, v48
	v_add_co_ci_u32_e32 v3, vcc_lo, 0, v3, vcc_lo
	v_add_co_u32 v4, vcc_lo, s19, v19
	v_add_co_ci_u32_e32 v5, vcc_lo, s20, v20, vcc_lo
	;; [unrolled: 2-line block ×3, first 2 shown]
	s_delay_alu instid0(VALU_DEP_4) | instskip(NEXT) | instid1(VALU_DEP_4)
	v_add_co_u32 v4, vcc_lo, v4, v48
	v_add_co_ci_u32_e32 v5, vcc_lo, 0, v5, vcc_lo
	s_delay_alu instid0(VALU_DEP_4) | instskip(NEXT) | instid1(VALU_DEP_4)
	v_add_co_u32 v6, vcc_lo, v6, v48
	v_add_co_ci_u32_e32 v7, vcc_lo, 0, v7, vcc_lo
	s_clause 0x3
	global_load_b128 v[69:72], v[0:1], off
	global_load_b128 v[73:76], v[2:3], off
	;; [unrolled: 1-line block ×4, first 2 shown]
	s_waitcnt vmcnt(3)
	ds_store_b128 v35, v[69:72]
	s_waitcnt vmcnt(2)
	ds_store_b128 v36, v[73:76]
	;; [unrolled: 2-line block ×4, first 2 shown]
	s_waitcnt lgkmcnt(0)
	s_barrier
	buffer_gl0_inv
	ds_load_b128 v[77:80], v39
	ds_load_b128 v[81:84], v40
	ds_load_b128 v[85:88], v40 offset:512
	ds_load_b128 v[89:92], v40 offset:1024
	v_dual_mov_b32 v75, 0 :: v_dual_mov_b32 v76, 0
	ds_load_b128 v[93:96], v40 offset:1536
	ds_load_b128 v[97:100], v39 offset:8704
	v_dual_mov_b32 v73, 0 :: v_dual_mov_b32 v74, 0
	s_waitcnt lgkmcnt(4)
	;;#ASMSTART
	v_dot2_f32_f16 v75, v77, v81, v75
	;;#ASMEND
	;;#ASMSTART
	v_dot2_f32_f16 v75, v78, v82, v75
	;;#ASMEND
	;;#ASMSTART
	v_dot2_f32_f16 v75, v79, v83, v75
	;;#ASMEND
	;;#ASMSTART
	v_dot2_f32_f16 v75, v80, v84, v75
	;;#ASMEND
	s_waitcnt lgkmcnt(3)
	;;#ASMSTART
	v_dot2_f32_f16 v73, v77, v85, v73
	;;#ASMEND
	;;#ASMSTART
	v_dot2_f32_f16 v73, v78, v86, v73
	;;#ASMEND
	v_dual_mov_b32 v71, 0 :: v_dual_mov_b32 v72, 0
	;;#ASMSTART
	v_dot2_f32_f16 v73, v79, v87, v73
	;;#ASMEND
	;;#ASMSTART
	v_dot2_f32_f16 v73, v80, v88, v73
	;;#ASMEND
	s_waitcnt lgkmcnt(2)
	;;#ASMSTART
	v_dot2_f32_f16 v71, v77, v89, v71
	;;#ASMEND
	;;#ASMSTART
	v_dot2_f32_f16 v71, v78, v90, v71
	;;#ASMEND
	v_dual_mov_b32 v69, 0 :: v_dual_mov_b32 v70, 0
	;;#ASMSTART
	v_dot2_f32_f16 v71, v79, v91, v71
	;;#ASMEND
	;;#ASMSTART
	v_dot2_f32_f16 v71, v80, v92, v71
	;;#ASMEND
	s_waitcnt lgkmcnt(1)
	;;#ASMSTART
	v_dot2_f32_f16 v69, v77, v93, v69
	;;#ASMEND
	;;#ASMSTART
	v_dot2_f32_f16 v69, v78, v94, v69
	;;#ASMEND
	;; [unrolled: 3-line block ×4, first 2 shown]
	s_waitcnt lgkmcnt(0)
	;;#ASMSTART
	v_dot2_f32_f16 v76, v97, v81, v76
	;;#ASMEND
	;;#ASMSTART
	v_dot2_f32_f16 v76, v98, v82, v76
	;;#ASMEND
	;; [unrolled: 3-line block ×16, first 2 shown]
	ds_load_b128 v[77:80], v39 offset:16
	ds_load_b128 v[81:84], v40 offset:16
	ds_load_b128 v[85:88], v40 offset:528
	ds_load_b128 v[89:92], v40 offset:1040
	ds_load_b128 v[93:96], v40 offset:1552
	ds_load_b128 v[97:100], v39 offset:8720
	s_waitcnt lgkmcnt(4)
	;;#ASMSTART
	v_dot2_f32_f16 v75, v77, v81, v75
	;;#ASMEND
	;;#ASMSTART
	v_dot2_f32_f16 v75, v78, v82, v75
	;;#ASMEND
	;;#ASMSTART
	v_dot2_f32_f16 v75, v79, v83, v75
	;;#ASMEND
	;;#ASMSTART
	v_dot2_f32_f16 v75, v80, v84, v75
	;;#ASMEND
	s_waitcnt lgkmcnt(3)
	;;#ASMSTART
	v_dot2_f32_f16 v73, v77, v85, v73
	;;#ASMEND
	;;#ASMSTART
	v_dot2_f32_f16 v73, v78, v86, v73
	;;#ASMEND
	;;#ASMSTART
	v_dot2_f32_f16 v73, v79, v87, v73
	;;#ASMEND
	;;#ASMSTART
	v_dot2_f32_f16 v73, v80, v88, v73
	;;#ASMEND
	;; [unrolled: 13-line block ×5, first 2 shown]
	;;#ASMSTART
	v_dot2_f32_f16 v74, v97, v85, v74
	;;#ASMEND
	;;#ASMSTART
	v_dot2_f32_f16 v74, v98, v86, v74
	;;#ASMEND
	;; [unrolled: 3-line block ×12, first 2 shown]
	ds_load_b128 v[77:80], v39 offset:32
	ds_load_b128 v[81:84], v40 offset:32
	;; [unrolled: 1-line block ×6, first 2 shown]
	s_waitcnt lgkmcnt(4)
	;;#ASMSTART
	v_dot2_f32_f16 v75, v77, v81, v75
	;;#ASMEND
	;;#ASMSTART
	v_dot2_f32_f16 v75, v78, v82, v75
	;;#ASMEND
	;;#ASMSTART
	v_dot2_f32_f16 v75, v79, v83, v75
	;;#ASMEND
	;;#ASMSTART
	v_dot2_f32_f16 v75, v80, v84, v75
	;;#ASMEND
	s_waitcnt lgkmcnt(3)
	;;#ASMSTART
	v_dot2_f32_f16 v73, v77, v85, v73
	;;#ASMEND
	;;#ASMSTART
	v_dot2_f32_f16 v73, v78, v86, v73
	;;#ASMEND
	;;#ASMSTART
	v_dot2_f32_f16 v73, v79, v87, v73
	;;#ASMEND
	;;#ASMSTART
	v_dot2_f32_f16 v73, v80, v88, v73
	;;#ASMEND
	s_waitcnt lgkmcnt(2)
	;;#ASMSTART
	v_dot2_f32_f16 v71, v77, v89, v71
	;;#ASMEND
	;;#ASMSTART
	v_dot2_f32_f16 v71, v78, v90, v71
	;;#ASMEND
	;;#ASMSTART
	v_dot2_f32_f16 v71, v79, v91, v71
	;;#ASMEND
	;;#ASMSTART
	v_dot2_f32_f16 v71, v80, v92, v71
	;;#ASMEND
	s_waitcnt lgkmcnt(1)
	;;#ASMSTART
	v_dot2_f32_f16 v69, v77, v93, v69
	;;#ASMEND
	;;#ASMSTART
	v_dot2_f32_f16 v69, v78, v94, v69
	;;#ASMEND
	;;#ASMSTART
	v_dot2_f32_f16 v69, v79, v95, v69
	;;#ASMEND
	;;#ASMSTART
	v_dot2_f32_f16 v69, v80, v96, v69
	;;#ASMEND
	s_waitcnt lgkmcnt(0)
	;;#ASMSTART
	v_dot2_f32_f16 v76, v97, v81, v76
	;;#ASMEND
	;;#ASMSTART
	v_dot2_f32_f16 v76, v98, v82, v76
	;;#ASMEND
	;;#ASMSTART
	v_dot2_f32_f16 v76, v99, v83, v76
	;;#ASMEND
	;;#ASMSTART
	v_dot2_f32_f16 v76, v100, v84, v76
	;;#ASMEND
	;;#ASMSTART
	v_dot2_f32_f16 v74, v97, v85, v74
	;;#ASMEND
	;;#ASMSTART
	v_dot2_f32_f16 v74, v98, v86, v74
	;;#ASMEND
	;; [unrolled: 3-line block ×12, first 2 shown]
	ds_load_b128 v[77:80], v39 offset:48
	ds_load_b128 v[81:84], v40 offset:48
	;; [unrolled: 1-line block ×6, first 2 shown]
	s_waitcnt lgkmcnt(4)
	;;#ASMSTART
	v_dot2_f32_f16 v75, v77, v81, v75
	;;#ASMEND
	;;#ASMSTART
	v_dot2_f32_f16 v75, v78, v82, v75
	;;#ASMEND
	;;#ASMSTART
	v_dot2_f32_f16 v75, v79, v83, v75
	;;#ASMEND
	;;#ASMSTART
	v_dot2_f32_f16 v75, v80, v84, v75
	;;#ASMEND
	s_waitcnt lgkmcnt(3)
	;;#ASMSTART
	v_dot2_f32_f16 v73, v77, v85, v73
	;;#ASMEND
	;;#ASMSTART
	v_dot2_f32_f16 v73, v78, v86, v73
	;;#ASMEND
	;;#ASMSTART
	v_dot2_f32_f16 v73, v79, v87, v73
	;;#ASMEND
	;;#ASMSTART
	v_dot2_f32_f16 v73, v80, v88, v73
	;;#ASMEND
	;; [unrolled: 13-line block ×5, first 2 shown]
	;;#ASMSTART
	v_dot2_f32_f16 v74, v97, v85, v74
	;;#ASMEND
	;;#ASMSTART
	v_dot2_f32_f16 v74, v98, v86, v74
	;;#ASMEND
	;; [unrolled: 3-line block ×12, first 2 shown]
	ds_load_b128 v[77:80], v39 offset:64
	ds_load_b128 v[81:84], v40 offset:64
	;; [unrolled: 1-line block ×6, first 2 shown]
	s_waitcnt lgkmcnt(4)
	;;#ASMSTART
	v_dot2_f32_f16 v75, v77, v81, v75
	;;#ASMEND
	;;#ASMSTART
	v_dot2_f32_f16 v75, v78, v82, v75
	;;#ASMEND
	;;#ASMSTART
	v_dot2_f32_f16 v75, v79, v83, v75
	;;#ASMEND
	;;#ASMSTART
	v_dot2_f32_f16 v75, v80, v84, v75
	;;#ASMEND
	s_waitcnt lgkmcnt(3)
	;;#ASMSTART
	v_dot2_f32_f16 v73, v77, v85, v73
	;;#ASMEND
	;;#ASMSTART
	v_dot2_f32_f16 v73, v78, v86, v73
	;;#ASMEND
	;;#ASMSTART
	v_dot2_f32_f16 v73, v79, v87, v73
	;;#ASMEND
	;;#ASMSTART
	v_dot2_f32_f16 v73, v80, v88, v73
	;;#ASMEND
	;; [unrolled: 13-line block ×5, first 2 shown]
	;;#ASMSTART
	v_dot2_f32_f16 v74, v97, v85, v74
	;;#ASMEND
	;;#ASMSTART
	v_dot2_f32_f16 v74, v98, v86, v74
	;;#ASMEND
	;; [unrolled: 3-line block ×12, first 2 shown]
	ds_load_b128 v[77:80], v39 offset:80
	ds_load_b128 v[81:84], v40 offset:80
	;; [unrolled: 1-line block ×6, first 2 shown]
	s_waitcnt lgkmcnt(4)
	;;#ASMSTART
	v_dot2_f32_f16 v75, v77, v81, v75
	;;#ASMEND
	;;#ASMSTART
	v_dot2_f32_f16 v75, v78, v82, v75
	;;#ASMEND
	;;#ASMSTART
	v_dot2_f32_f16 v75, v79, v83, v75
	;;#ASMEND
	;;#ASMSTART
	v_dot2_f32_f16 v75, v80, v84, v75
	;;#ASMEND
	s_waitcnt lgkmcnt(3)
	;;#ASMSTART
	v_dot2_f32_f16 v73, v77, v85, v73
	;;#ASMEND
	;;#ASMSTART
	v_dot2_f32_f16 v73, v78, v86, v73
	;;#ASMEND
	;;#ASMSTART
	v_dot2_f32_f16 v73, v79, v87, v73
	;;#ASMEND
	;;#ASMSTART
	v_dot2_f32_f16 v73, v80, v88, v73
	;;#ASMEND
	;; [unrolled: 13-line block ×5, first 2 shown]
	;;#ASMSTART
	v_dot2_f32_f16 v74, v97, v85, v74
	;;#ASMEND
	;;#ASMSTART
	v_dot2_f32_f16 v74, v98, v86, v74
	;;#ASMEND
	;; [unrolled: 3-line block ×12, first 2 shown]
	ds_load_b128 v[77:80], v39 offset:96
	ds_load_b128 v[81:84], v40 offset:96
	;; [unrolled: 1-line block ×6, first 2 shown]
	s_waitcnt lgkmcnt(4)
	;;#ASMSTART
	v_dot2_f32_f16 v75, v77, v81, v75
	;;#ASMEND
	;;#ASMSTART
	v_dot2_f32_f16 v75, v78, v82, v75
	;;#ASMEND
	;;#ASMSTART
	v_dot2_f32_f16 v75, v79, v83, v75
	;;#ASMEND
	;;#ASMSTART
	v_dot2_f32_f16 v75, v80, v84, v75
	;;#ASMEND
	s_waitcnt lgkmcnt(3)
	;;#ASMSTART
	v_dot2_f32_f16 v73, v77, v85, v73
	;;#ASMEND
	;;#ASMSTART
	v_dot2_f32_f16 v73, v78, v86, v73
	;;#ASMEND
	;;#ASMSTART
	v_dot2_f32_f16 v73, v79, v87, v73
	;;#ASMEND
	;;#ASMSTART
	v_dot2_f32_f16 v73, v80, v88, v73
	;;#ASMEND
	;; [unrolled: 13-line block ×5, first 2 shown]
	;;#ASMSTART
	v_dot2_f32_f16 v74, v97, v85, v74
	;;#ASMEND
	;;#ASMSTART
	v_dot2_f32_f16 v74, v98, v86, v74
	;;#ASMEND
	;; [unrolled: 3-line block ×12, first 2 shown]
	ds_load_b128 v[77:80], v39 offset:112
	ds_load_b128 v[81:84], v40 offset:112
	;; [unrolled: 1-line block ×6, first 2 shown]
	s_waitcnt lgkmcnt(4)
	;;#ASMSTART
	v_dot2_f32_f16 v75, v77, v81, v75
	;;#ASMEND
	;;#ASMSTART
	v_dot2_f32_f16 v75, v78, v82, v75
	;;#ASMEND
	;;#ASMSTART
	v_dot2_f32_f16 v75, v79, v83, v75
	;;#ASMEND
	;;#ASMSTART
	v_dot2_f32_f16 v75, v80, v84, v75
	;;#ASMEND
	s_waitcnt lgkmcnt(3)
	;;#ASMSTART
	v_dot2_f32_f16 v73, v77, v85, v73
	;;#ASMEND
	;;#ASMSTART
	v_dot2_f32_f16 v73, v78, v86, v73
	;;#ASMEND
	;;#ASMSTART
	v_dot2_f32_f16 v73, v79, v87, v73
	;;#ASMEND
	;;#ASMSTART
	v_dot2_f32_f16 v73, v80, v88, v73
	;;#ASMEND
	s_waitcnt lgkmcnt(2)
	;;#ASMSTART
	v_dot2_f32_f16 v71, v77, v89, v71
	;;#ASMEND
	;;#ASMSTART
	v_dot2_f32_f16 v71, v78, v90, v71
	;;#ASMEND
	;;#ASMSTART
	v_dot2_f32_f16 v71, v79, v91, v71
	;;#ASMEND
	;;#ASMSTART
	v_dot2_f32_f16 v71, v80, v92, v71
	;;#ASMEND
	s_waitcnt lgkmcnt(1)
	;;#ASMSTART
	v_dot2_f32_f16 v69, v77, v93, v69
	;;#ASMEND
	;;#ASMSTART
	v_dot2_f32_f16 v69, v78, v94, v69
	;;#ASMEND
	;;#ASMSTART
	v_dot2_f32_f16 v69, v79, v95, v69
	;;#ASMEND
	;;#ASMSTART
	v_dot2_f32_f16 v69, v80, v96, v69
	;;#ASMEND
	s_waitcnt lgkmcnt(0)
	;;#ASMSTART
	v_dot2_f32_f16 v76, v97, v81, v76
	;;#ASMEND
	;;#ASMSTART
	v_dot2_f32_f16 v76, v98, v82, v76
	;;#ASMEND
	;;#ASMSTART
	v_dot2_f32_f16 v76, v99, v83, v76
	;;#ASMEND
	;;#ASMSTART
	v_dot2_f32_f16 v76, v100, v84, v76
	;;#ASMEND
	;;#ASMSTART
	v_dot2_f32_f16 v74, v97, v85, v74
	;;#ASMEND
	;;#ASMSTART
	v_dot2_f32_f16 v74, v98, v86, v74
	;;#ASMEND
	;; [unrolled: 3-line block ×12, first 2 shown]
	ds_load_b128 v[77:80], v39 offset:128
	ds_load_b128 v[81:84], v40 offset:128
	;; [unrolled: 1-line block ×6, first 2 shown]
	s_waitcnt lgkmcnt(4)
	;;#ASMSTART
	v_dot2_f32_f16 v75, v77, v81, v75
	;;#ASMEND
	;;#ASMSTART
	v_dot2_f32_f16 v75, v78, v82, v75
	;;#ASMEND
	;;#ASMSTART
	v_dot2_f32_f16 v75, v79, v83, v75
	;;#ASMEND
	;;#ASMSTART
	v_dot2_f32_f16 v75, v80, v84, v75
	;;#ASMEND
	s_waitcnt lgkmcnt(3)
	;;#ASMSTART
	v_dot2_f32_f16 v73, v77, v85, v73
	;;#ASMEND
	;;#ASMSTART
	v_dot2_f32_f16 v73, v78, v86, v73
	;;#ASMEND
	;;#ASMSTART
	v_dot2_f32_f16 v73, v79, v87, v73
	;;#ASMEND
	;;#ASMSTART
	v_dot2_f32_f16 v73, v80, v88, v73
	;;#ASMEND
	s_waitcnt lgkmcnt(2)
	;;#ASMSTART
	v_dot2_f32_f16 v71, v77, v89, v71
	;;#ASMEND
	;;#ASMSTART
	v_dot2_f32_f16 v71, v78, v90, v71
	;;#ASMEND
	;;#ASMSTART
	v_dot2_f32_f16 v71, v79, v91, v71
	;;#ASMEND
	;;#ASMSTART
	v_dot2_f32_f16 v71, v80, v92, v71
	;;#ASMEND
	s_waitcnt lgkmcnt(1)
	;;#ASMSTART
	v_dot2_f32_f16 v69, v77, v93, v69
	;;#ASMEND
	;;#ASMSTART
	v_dot2_f32_f16 v69, v78, v94, v69
	;;#ASMEND
	;;#ASMSTART
	v_dot2_f32_f16 v69, v79, v95, v69
	;;#ASMEND
	;;#ASMSTART
	v_dot2_f32_f16 v69, v80, v96, v69
	;;#ASMEND
	s_waitcnt lgkmcnt(0)
	;;#ASMSTART
	v_dot2_f32_f16 v76, v97, v81, v76
	;;#ASMEND
	;;#ASMSTART
	v_dot2_f32_f16 v76, v98, v82, v76
	;;#ASMEND
	;;#ASMSTART
	v_dot2_f32_f16 v76, v99, v83, v76
	;;#ASMEND
	;;#ASMSTART
	v_dot2_f32_f16 v76, v100, v84, v76
	;;#ASMEND
	;;#ASMSTART
	v_dot2_f32_f16 v74, v97, v85, v74
	;;#ASMEND
	;;#ASMSTART
	v_dot2_f32_f16 v74, v98, v86, v74
	;;#ASMEND
	;; [unrolled: 3-line block ×12, first 2 shown]
	ds_load_b128 v[77:80], v39 offset:144
	ds_load_b128 v[81:84], v40 offset:144
	;; [unrolled: 1-line block ×6, first 2 shown]
	s_waitcnt lgkmcnt(4)
	;;#ASMSTART
	v_dot2_f32_f16 v75, v77, v81, v75
	;;#ASMEND
	;;#ASMSTART
	v_dot2_f32_f16 v75, v78, v82, v75
	;;#ASMEND
	;;#ASMSTART
	v_dot2_f32_f16 v75, v79, v83, v75
	;;#ASMEND
	;;#ASMSTART
	v_dot2_f32_f16 v75, v80, v84, v75
	;;#ASMEND
	s_waitcnt lgkmcnt(3)
	;;#ASMSTART
	v_dot2_f32_f16 v73, v77, v85, v73
	;;#ASMEND
	;;#ASMSTART
	v_dot2_f32_f16 v73, v78, v86, v73
	;;#ASMEND
	;;#ASMSTART
	v_dot2_f32_f16 v73, v79, v87, v73
	;;#ASMEND
	;;#ASMSTART
	v_dot2_f32_f16 v73, v80, v88, v73
	;;#ASMEND
	;; [unrolled: 13-line block ×5, first 2 shown]
	;;#ASMSTART
	v_dot2_f32_f16 v74, v97, v85, v74
	;;#ASMEND
	;;#ASMSTART
	v_dot2_f32_f16 v74, v98, v86, v74
	;;#ASMEND
	;; [unrolled: 3-line block ×12, first 2 shown]
	ds_load_b128 v[77:80], v39 offset:160
	ds_load_b128 v[81:84], v40 offset:160
	ds_load_b128 v[85:88], v40 offset:672
	ds_load_b128 v[89:92], v40 offset:1184
	ds_load_b128 v[93:96], v40 offset:1696
	ds_load_b128 v[97:100], v39 offset:8864
	s_waitcnt lgkmcnt(4)
	;;#ASMSTART
	v_dot2_f32_f16 v75, v77, v81, v75
	;;#ASMEND
	;;#ASMSTART
	v_dot2_f32_f16 v75, v78, v82, v75
	;;#ASMEND
	;;#ASMSTART
	v_dot2_f32_f16 v75, v79, v83, v75
	;;#ASMEND
	;;#ASMSTART
	v_dot2_f32_f16 v75, v80, v84, v75
	;;#ASMEND
	s_waitcnt lgkmcnt(3)
	;;#ASMSTART
	v_dot2_f32_f16 v73, v77, v85, v73
	;;#ASMEND
	;;#ASMSTART
	v_dot2_f32_f16 v73, v78, v86, v73
	;;#ASMEND
	;;#ASMSTART
	v_dot2_f32_f16 v73, v79, v87, v73
	;;#ASMEND
	;;#ASMSTART
	v_dot2_f32_f16 v73, v80, v88, v73
	;;#ASMEND
	;; [unrolled: 13-line block ×5, first 2 shown]
	;;#ASMSTART
	v_dot2_f32_f16 v74, v97, v85, v74
	;;#ASMEND
	;;#ASMSTART
	v_dot2_f32_f16 v74, v98, v86, v74
	;;#ASMEND
	;; [unrolled: 3-line block ×12, first 2 shown]
	ds_load_b128 v[77:80], v39 offset:176
	ds_load_b128 v[81:84], v40 offset:176
	;; [unrolled: 1-line block ×6, first 2 shown]
	s_waitcnt lgkmcnt(4)
	;;#ASMSTART
	v_dot2_f32_f16 v75, v77, v81, v75
	;;#ASMEND
	;;#ASMSTART
	v_dot2_f32_f16 v75, v78, v82, v75
	;;#ASMEND
	;;#ASMSTART
	v_dot2_f32_f16 v75, v79, v83, v75
	;;#ASMEND
	;;#ASMSTART
	v_dot2_f32_f16 v75, v80, v84, v75
	;;#ASMEND
	s_waitcnt lgkmcnt(3)
	;;#ASMSTART
	v_dot2_f32_f16 v73, v77, v85, v73
	;;#ASMEND
	;;#ASMSTART
	v_dot2_f32_f16 v73, v78, v86, v73
	;;#ASMEND
	;;#ASMSTART
	v_dot2_f32_f16 v73, v79, v87, v73
	;;#ASMEND
	;;#ASMSTART
	v_dot2_f32_f16 v73, v80, v88, v73
	;;#ASMEND
	;; [unrolled: 13-line block ×5, first 2 shown]
	;;#ASMSTART
	v_dot2_f32_f16 v74, v97, v85, v74
	;;#ASMEND
	;;#ASMSTART
	v_dot2_f32_f16 v74, v98, v86, v74
	;;#ASMEND
	;; [unrolled: 3-line block ×12, first 2 shown]
	ds_load_b128 v[77:80], v39 offset:192
	ds_load_b128 v[81:84], v40 offset:192
	;; [unrolled: 1-line block ×6, first 2 shown]
	s_waitcnt lgkmcnt(4)
	;;#ASMSTART
	v_dot2_f32_f16 v75, v77, v81, v75
	;;#ASMEND
	;;#ASMSTART
	v_dot2_f32_f16 v75, v78, v82, v75
	;;#ASMEND
	;;#ASMSTART
	v_dot2_f32_f16 v75, v79, v83, v75
	;;#ASMEND
	;;#ASMSTART
	v_dot2_f32_f16 v75, v80, v84, v75
	;;#ASMEND
	s_waitcnt lgkmcnt(3)
	;;#ASMSTART
	v_dot2_f32_f16 v73, v77, v85, v73
	;;#ASMEND
	;;#ASMSTART
	v_dot2_f32_f16 v73, v78, v86, v73
	;;#ASMEND
	;;#ASMSTART
	v_dot2_f32_f16 v73, v79, v87, v73
	;;#ASMEND
	;;#ASMSTART
	v_dot2_f32_f16 v73, v80, v88, v73
	;;#ASMEND
	;; [unrolled: 13-line block ×5, first 2 shown]
	;;#ASMSTART
	v_dot2_f32_f16 v74, v97, v85, v74
	;;#ASMEND
	;;#ASMSTART
	v_dot2_f32_f16 v74, v98, v86, v74
	;;#ASMEND
	;; [unrolled: 3-line block ×12, first 2 shown]
	ds_load_b128 v[77:80], v39 offset:208
	ds_load_b128 v[81:84], v40 offset:208
	;; [unrolled: 1-line block ×6, first 2 shown]
	s_waitcnt lgkmcnt(4)
	;;#ASMSTART
	v_dot2_f32_f16 v75, v77, v81, v75
	;;#ASMEND
	;;#ASMSTART
	v_dot2_f32_f16 v75, v78, v82, v75
	;;#ASMEND
	;;#ASMSTART
	v_dot2_f32_f16 v75, v79, v83, v75
	;;#ASMEND
	;;#ASMSTART
	v_dot2_f32_f16 v75, v80, v84, v75
	;;#ASMEND
	s_waitcnt lgkmcnt(3)
	;;#ASMSTART
	v_dot2_f32_f16 v73, v77, v85, v73
	;;#ASMEND
	;;#ASMSTART
	v_dot2_f32_f16 v73, v78, v86, v73
	;;#ASMEND
	;;#ASMSTART
	v_dot2_f32_f16 v73, v79, v87, v73
	;;#ASMEND
	;;#ASMSTART
	v_dot2_f32_f16 v73, v80, v88, v73
	;;#ASMEND
	;; [unrolled: 13-line block ×5, first 2 shown]
	;;#ASMSTART
	v_dot2_f32_f16 v74, v97, v85, v74
	;;#ASMEND
	;;#ASMSTART
	v_dot2_f32_f16 v74, v98, v86, v74
	;;#ASMEND
	;; [unrolled: 3-line block ×12, first 2 shown]
	ds_load_b128 v[77:80], v39 offset:224
	ds_load_b128 v[81:84], v40 offset:224
	;; [unrolled: 1-line block ×6, first 2 shown]
	s_waitcnt lgkmcnt(4)
	;;#ASMSTART
	v_dot2_f32_f16 v75, v77, v81, v75
	;;#ASMEND
	;;#ASMSTART
	v_dot2_f32_f16 v75, v78, v82, v75
	;;#ASMEND
	;;#ASMSTART
	v_dot2_f32_f16 v75, v79, v83, v75
	;;#ASMEND
	;;#ASMSTART
	v_dot2_f32_f16 v75, v80, v84, v75
	;;#ASMEND
	s_waitcnt lgkmcnt(3)
	;;#ASMSTART
	v_dot2_f32_f16 v73, v77, v85, v73
	;;#ASMEND
	;;#ASMSTART
	v_dot2_f32_f16 v73, v78, v86, v73
	;;#ASMEND
	;;#ASMSTART
	v_dot2_f32_f16 v73, v79, v87, v73
	;;#ASMEND
	;;#ASMSTART
	v_dot2_f32_f16 v73, v80, v88, v73
	;;#ASMEND
	;; [unrolled: 13-line block ×5, first 2 shown]
	;;#ASMSTART
	v_dot2_f32_f16 v74, v97, v85, v74
	;;#ASMEND
	;;#ASMSTART
	v_dot2_f32_f16 v74, v98, v86, v74
	;;#ASMEND
	;; [unrolled: 3-line block ×12, first 2 shown]
	ds_load_b128 v[77:80], v39 offset:240
	ds_load_b128 v[81:84], v40 offset:240
	;; [unrolled: 1-line block ×6, first 2 shown]
	s_waitcnt lgkmcnt(4)
	;;#ASMSTART
	v_dot2_f32_f16 v75, v77, v81, v75
	;;#ASMEND
	;;#ASMSTART
	v_dot2_f32_f16 v75, v78, v82, v75
	;;#ASMEND
	;;#ASMSTART
	v_dot2_f32_f16 v75, v79, v83, v75
	;;#ASMEND
	;;#ASMSTART
	v_dot2_f32_f16 v75, v80, v84, v75
	;;#ASMEND
	s_waitcnt lgkmcnt(3)
	;;#ASMSTART
	v_dot2_f32_f16 v73, v77, v85, v73
	;;#ASMEND
	;;#ASMSTART
	v_dot2_f32_f16 v73, v78, v86, v73
	;;#ASMEND
	;;#ASMSTART
	v_dot2_f32_f16 v73, v79, v87, v73
	;;#ASMEND
	;;#ASMSTART
	v_dot2_f32_f16 v73, v80, v88, v73
	;;#ASMEND
	;; [unrolled: 13-line block ×5, first 2 shown]
	;;#ASMSTART
	v_dot2_f32_f16 v74, v97, v85, v74
	;;#ASMEND
	;;#ASMSTART
	v_dot2_f32_f16 v74, v98, v86, v74
	;;#ASMEND
	;; [unrolled: 3-line block ×12, first 2 shown]
	s_barrier
	buffer_gl0_inv
	s_clause 0x3
	global_load_b128 v[77:80], v[0:1], off offset:256
	global_load_b128 v[0:3], v[2:3], off offset:256
	;; [unrolled: 1-line block ×4, first 2 shown]
	s_waitcnt vmcnt(3)
	ds_store_b128 v35, v[77:80]
	s_waitcnt vmcnt(2)
	ds_store_b128 v36, v[0:3]
	;; [unrolled: 2-line block ×4, first 2 shown]
	s_waitcnt lgkmcnt(0)
	s_barrier
	buffer_gl0_inv
	ds_load_b128 v[0:3], v39
	ds_load_b128 v[4:7], v40 offset:256
	ds_load_b128 v[77:80], v40 offset:768
	;; [unrolled: 1-line block ×5, first 2 shown]
	s_waitcnt lgkmcnt(4)
	;;#ASMSTART
	v_dot2_f32_f16 v75, v0, v4, v75
	;;#ASMEND
	;;#ASMSTART
	v_dot2_f32_f16 v75, v1, v5, v75
	;;#ASMEND
	;;#ASMSTART
	v_dot2_f32_f16 v75, v2, v6, v75
	;;#ASMEND
	;;#ASMSTART
	v_dot2_f32_f16 v75, v3, v7, v75
	;;#ASMEND
	s_waitcnt lgkmcnt(3)
	;;#ASMSTART
	v_dot2_f32_f16 v73, v0, v77, v73
	;;#ASMEND
	;;#ASMSTART
	v_dot2_f32_f16 v73, v1, v78, v73
	;;#ASMEND
	;;#ASMSTART
	v_dot2_f32_f16 v73, v2, v79, v73
	;;#ASMEND
	;;#ASMSTART
	v_dot2_f32_f16 v73, v3, v80, v73
	;;#ASMEND
	;; [unrolled: 13-line block ×5, first 2 shown]
	;;#ASMSTART
	v_dot2_f32_f16 v74, v89, v77, v74
	;;#ASMEND
	;;#ASMSTART
	v_dot2_f32_f16 v74, v90, v78, v74
	;;#ASMEND
	;; [unrolled: 3-line block ×12, first 2 shown]
	ds_load_b128 v[0:3], v39 offset:16
	ds_load_b128 v[4:7], v40 offset:272
	ds_load_b128 v[77:80], v40 offset:784
	ds_load_b128 v[81:84], v40 offset:1296
	ds_load_b128 v[85:88], v40 offset:1808
	ds_load_b128 v[89:92], v39 offset:8720
	s_waitcnt lgkmcnt(4)
	;;#ASMSTART
	v_dot2_f32_f16 v75, v0, v4, v75
	;;#ASMEND
	;;#ASMSTART
	v_dot2_f32_f16 v75, v1, v5, v75
	;;#ASMEND
	;;#ASMSTART
	v_dot2_f32_f16 v75, v2, v6, v75
	;;#ASMEND
	;;#ASMSTART
	v_dot2_f32_f16 v75, v3, v7, v75
	;;#ASMEND
	s_waitcnt lgkmcnt(3)
	;;#ASMSTART
	v_dot2_f32_f16 v73, v0, v77, v73
	;;#ASMEND
	;;#ASMSTART
	v_dot2_f32_f16 v73, v1, v78, v73
	;;#ASMEND
	;;#ASMSTART
	v_dot2_f32_f16 v73, v2, v79, v73
	;;#ASMEND
	;;#ASMSTART
	v_dot2_f32_f16 v73, v3, v80, v73
	;;#ASMEND
	;; [unrolled: 13-line block ×5, first 2 shown]
	;;#ASMSTART
	v_dot2_f32_f16 v74, v89, v77, v74
	;;#ASMEND
	;;#ASMSTART
	v_dot2_f32_f16 v74, v90, v78, v74
	;;#ASMEND
	;; [unrolled: 3-line block ×12, first 2 shown]
	ds_load_b128 v[0:3], v39 offset:32
	ds_load_b128 v[4:7], v40 offset:288
	;; [unrolled: 1-line block ×6, first 2 shown]
	s_waitcnt lgkmcnt(4)
	;;#ASMSTART
	v_dot2_f32_f16 v75, v0, v4, v75
	;;#ASMEND
	;;#ASMSTART
	v_dot2_f32_f16 v75, v1, v5, v75
	;;#ASMEND
	;;#ASMSTART
	v_dot2_f32_f16 v75, v2, v6, v75
	;;#ASMEND
	;;#ASMSTART
	v_dot2_f32_f16 v75, v3, v7, v75
	;;#ASMEND
	s_waitcnt lgkmcnt(3)
	;;#ASMSTART
	v_dot2_f32_f16 v73, v0, v77, v73
	;;#ASMEND
	;;#ASMSTART
	v_dot2_f32_f16 v73, v1, v78, v73
	;;#ASMEND
	;;#ASMSTART
	v_dot2_f32_f16 v73, v2, v79, v73
	;;#ASMEND
	;;#ASMSTART
	v_dot2_f32_f16 v73, v3, v80, v73
	;;#ASMEND
	;; [unrolled: 13-line block ×5, first 2 shown]
	;;#ASMSTART
	v_dot2_f32_f16 v74, v89, v77, v74
	;;#ASMEND
	;;#ASMSTART
	v_dot2_f32_f16 v74, v90, v78, v74
	;;#ASMEND
	;; [unrolled: 3-line block ×12, first 2 shown]
	ds_load_b128 v[0:3], v39 offset:48
	ds_load_b128 v[4:7], v40 offset:304
	;; [unrolled: 1-line block ×6, first 2 shown]
	s_waitcnt lgkmcnt(4)
	;;#ASMSTART
	v_dot2_f32_f16 v75, v0, v4, v75
	;;#ASMEND
	;;#ASMSTART
	v_dot2_f32_f16 v75, v1, v5, v75
	;;#ASMEND
	;;#ASMSTART
	v_dot2_f32_f16 v75, v2, v6, v75
	;;#ASMEND
	;;#ASMSTART
	v_dot2_f32_f16 v75, v3, v7, v75
	;;#ASMEND
	s_waitcnt lgkmcnt(3)
	;;#ASMSTART
	v_dot2_f32_f16 v73, v0, v77, v73
	;;#ASMEND
	;;#ASMSTART
	v_dot2_f32_f16 v73, v1, v78, v73
	;;#ASMEND
	;;#ASMSTART
	v_dot2_f32_f16 v73, v2, v79, v73
	;;#ASMEND
	;;#ASMSTART
	v_dot2_f32_f16 v73, v3, v80, v73
	;;#ASMEND
	;; [unrolled: 13-line block ×5, first 2 shown]
	;;#ASMSTART
	v_dot2_f32_f16 v74, v89, v77, v74
	;;#ASMEND
	;;#ASMSTART
	v_dot2_f32_f16 v74, v90, v78, v74
	;;#ASMEND
	;; [unrolled: 3-line block ×12, first 2 shown]
	ds_load_b128 v[0:3], v39 offset:64
	ds_load_b128 v[4:7], v40 offset:320
	;; [unrolled: 1-line block ×6, first 2 shown]
	s_waitcnt lgkmcnt(4)
	;;#ASMSTART
	v_dot2_f32_f16 v75, v0, v4, v75
	;;#ASMEND
	;;#ASMSTART
	v_dot2_f32_f16 v75, v1, v5, v75
	;;#ASMEND
	;;#ASMSTART
	v_dot2_f32_f16 v75, v2, v6, v75
	;;#ASMEND
	;;#ASMSTART
	v_dot2_f32_f16 v75, v3, v7, v75
	;;#ASMEND
	s_waitcnt lgkmcnt(3)
	;;#ASMSTART
	v_dot2_f32_f16 v73, v0, v77, v73
	;;#ASMEND
	;;#ASMSTART
	v_dot2_f32_f16 v73, v1, v78, v73
	;;#ASMEND
	;;#ASMSTART
	v_dot2_f32_f16 v73, v2, v79, v73
	;;#ASMEND
	;;#ASMSTART
	v_dot2_f32_f16 v73, v3, v80, v73
	;;#ASMEND
	;; [unrolled: 13-line block ×5, first 2 shown]
	;;#ASMSTART
	v_dot2_f32_f16 v74, v89, v77, v74
	;;#ASMEND
	;;#ASMSTART
	v_dot2_f32_f16 v74, v90, v78, v74
	;;#ASMEND
	;; [unrolled: 3-line block ×12, first 2 shown]
	ds_load_b128 v[0:3], v39 offset:80
	ds_load_b128 v[4:7], v40 offset:336
	;; [unrolled: 1-line block ×6, first 2 shown]
	s_waitcnt lgkmcnt(4)
	;;#ASMSTART
	v_dot2_f32_f16 v75, v0, v4, v75
	;;#ASMEND
	;;#ASMSTART
	v_dot2_f32_f16 v75, v1, v5, v75
	;;#ASMEND
	;;#ASMSTART
	v_dot2_f32_f16 v75, v2, v6, v75
	;;#ASMEND
	;;#ASMSTART
	v_dot2_f32_f16 v75, v3, v7, v75
	;;#ASMEND
	s_waitcnt lgkmcnt(3)
	;;#ASMSTART
	v_dot2_f32_f16 v73, v0, v77, v73
	;;#ASMEND
	;;#ASMSTART
	v_dot2_f32_f16 v73, v1, v78, v73
	;;#ASMEND
	;;#ASMSTART
	v_dot2_f32_f16 v73, v2, v79, v73
	;;#ASMEND
	;;#ASMSTART
	v_dot2_f32_f16 v73, v3, v80, v73
	;;#ASMEND
	;; [unrolled: 13-line block ×5, first 2 shown]
	;;#ASMSTART
	v_dot2_f32_f16 v74, v89, v77, v74
	;;#ASMEND
	;;#ASMSTART
	v_dot2_f32_f16 v74, v90, v78, v74
	;;#ASMEND
	;; [unrolled: 3-line block ×12, first 2 shown]
	ds_load_b128 v[0:3], v39 offset:96
	ds_load_b128 v[4:7], v40 offset:352
	;; [unrolled: 1-line block ×6, first 2 shown]
	s_waitcnt lgkmcnt(4)
	;;#ASMSTART
	v_dot2_f32_f16 v75, v0, v4, v75
	;;#ASMEND
	;;#ASMSTART
	v_dot2_f32_f16 v75, v1, v5, v75
	;;#ASMEND
	;;#ASMSTART
	v_dot2_f32_f16 v75, v2, v6, v75
	;;#ASMEND
	;;#ASMSTART
	v_dot2_f32_f16 v75, v3, v7, v75
	;;#ASMEND
	s_waitcnt lgkmcnt(3)
	;;#ASMSTART
	v_dot2_f32_f16 v73, v0, v77, v73
	;;#ASMEND
	;;#ASMSTART
	v_dot2_f32_f16 v73, v1, v78, v73
	;;#ASMEND
	;;#ASMSTART
	v_dot2_f32_f16 v73, v2, v79, v73
	;;#ASMEND
	;;#ASMSTART
	v_dot2_f32_f16 v73, v3, v80, v73
	;;#ASMEND
	;; [unrolled: 13-line block ×5, first 2 shown]
	;;#ASMSTART
	v_dot2_f32_f16 v74, v89, v77, v74
	;;#ASMEND
	;;#ASMSTART
	v_dot2_f32_f16 v74, v90, v78, v74
	;;#ASMEND
	;; [unrolled: 3-line block ×12, first 2 shown]
	ds_load_b128 v[0:3], v39 offset:112
	ds_load_b128 v[4:7], v40 offset:368
	;; [unrolled: 1-line block ×6, first 2 shown]
	s_waitcnt lgkmcnt(4)
	;;#ASMSTART
	v_dot2_f32_f16 v75, v0, v4, v75
	;;#ASMEND
	;;#ASMSTART
	v_dot2_f32_f16 v75, v1, v5, v75
	;;#ASMEND
	;;#ASMSTART
	v_dot2_f32_f16 v75, v2, v6, v75
	;;#ASMEND
	;;#ASMSTART
	v_dot2_f32_f16 v75, v3, v7, v75
	;;#ASMEND
	s_waitcnt lgkmcnt(3)
	;;#ASMSTART
	v_dot2_f32_f16 v73, v0, v77, v73
	;;#ASMEND
	;;#ASMSTART
	v_dot2_f32_f16 v73, v1, v78, v73
	;;#ASMEND
	;;#ASMSTART
	v_dot2_f32_f16 v73, v2, v79, v73
	;;#ASMEND
	;;#ASMSTART
	v_dot2_f32_f16 v73, v3, v80, v73
	;;#ASMEND
	;; [unrolled: 13-line block ×5, first 2 shown]
	;;#ASMSTART
	v_dot2_f32_f16 v74, v89, v77, v74
	;;#ASMEND
	;;#ASMSTART
	v_dot2_f32_f16 v74, v90, v78, v74
	;;#ASMEND
	;;#ASMSTART
	v_dot2_f32_f16 v74, v91, v79, v74
	;;#ASMEND
	;;#ASMSTART
	v_dot2_f32_f16 v74, v92, v80, v74
	;;#ASMEND
	;;#ASMSTART
	v_dot2_f32_f16 v72, v89, v81, v72
	;;#ASMEND
	;;#ASMSTART
	v_dot2_f32_f16 v72, v90, v82, v72
	;;#ASMEND
	;;#ASMSTART
	v_dot2_f32_f16 v72, v91, v83, v72
	;;#ASMEND
	;;#ASMSTART
	v_dot2_f32_f16 v72, v92, v84, v72
	;;#ASMEND
	;;#ASMSTART
	v_dot2_f32_f16 v70, v89, v85, v70
	;;#ASMEND
	;;#ASMSTART
	v_dot2_f32_f16 v70, v90, v86, v70
	;;#ASMEND
	;;#ASMSTART
	v_dot2_f32_f16 v70, v91, v87, v70
	;;#ASMEND
	;;#ASMSTART
	v_dot2_f32_f16 v70, v92, v88, v70
	;;#ASMEND
	ds_load_b128 v[0:3], v39 offset:128
	ds_load_b128 v[4:7], v40 offset:384
	;; [unrolled: 1-line block ×6, first 2 shown]
	s_waitcnt lgkmcnt(4)
	;;#ASMSTART
	v_dot2_f32_f16 v75, v0, v4, v75
	;;#ASMEND
	;;#ASMSTART
	v_dot2_f32_f16 v75, v1, v5, v75
	;;#ASMEND
	;;#ASMSTART
	v_dot2_f32_f16 v75, v2, v6, v75
	;;#ASMEND
	;;#ASMSTART
	v_dot2_f32_f16 v75, v3, v7, v75
	;;#ASMEND
	s_waitcnt lgkmcnt(3)
	;;#ASMSTART
	v_dot2_f32_f16 v73, v0, v77, v73
	;;#ASMEND
	;;#ASMSTART
	v_dot2_f32_f16 v73, v1, v78, v73
	;;#ASMEND
	;;#ASMSTART
	v_dot2_f32_f16 v73, v2, v79, v73
	;;#ASMEND
	;;#ASMSTART
	v_dot2_f32_f16 v73, v3, v80, v73
	;;#ASMEND
	;; [unrolled: 13-line block ×5, first 2 shown]
	;;#ASMSTART
	v_dot2_f32_f16 v74, v89, v77, v74
	;;#ASMEND
	;;#ASMSTART
	v_dot2_f32_f16 v74, v90, v78, v74
	;;#ASMEND
	;;#ASMSTART
	v_dot2_f32_f16 v74, v91, v79, v74
	;;#ASMEND
	;;#ASMSTART
	v_dot2_f32_f16 v74, v92, v80, v74
	;;#ASMEND
	;;#ASMSTART
	v_dot2_f32_f16 v72, v89, v81, v72
	;;#ASMEND
	;;#ASMSTART
	v_dot2_f32_f16 v72, v90, v82, v72
	;;#ASMEND
	;;#ASMSTART
	v_dot2_f32_f16 v72, v91, v83, v72
	;;#ASMEND
	;;#ASMSTART
	v_dot2_f32_f16 v72, v92, v84, v72
	;;#ASMEND
	;;#ASMSTART
	v_dot2_f32_f16 v70, v89, v85, v70
	;;#ASMEND
	;;#ASMSTART
	v_dot2_f32_f16 v70, v90, v86, v70
	;;#ASMEND
	;;#ASMSTART
	v_dot2_f32_f16 v70, v91, v87, v70
	;;#ASMEND
	;;#ASMSTART
	v_dot2_f32_f16 v70, v92, v88, v70
	;;#ASMEND
	ds_load_b128 v[0:3], v39 offset:144
	ds_load_b128 v[4:7], v40 offset:400
	;; [unrolled: 1-line block ×6, first 2 shown]
	s_waitcnt lgkmcnt(4)
	;;#ASMSTART
	v_dot2_f32_f16 v75, v0, v4, v75
	;;#ASMEND
	;;#ASMSTART
	v_dot2_f32_f16 v75, v1, v5, v75
	;;#ASMEND
	;;#ASMSTART
	v_dot2_f32_f16 v75, v2, v6, v75
	;;#ASMEND
	;;#ASMSTART
	v_dot2_f32_f16 v75, v3, v7, v75
	;;#ASMEND
	s_waitcnt lgkmcnt(3)
	;;#ASMSTART
	v_dot2_f32_f16 v73, v0, v77, v73
	;;#ASMEND
	;;#ASMSTART
	v_dot2_f32_f16 v73, v1, v78, v73
	;;#ASMEND
	;;#ASMSTART
	v_dot2_f32_f16 v73, v2, v79, v73
	;;#ASMEND
	;;#ASMSTART
	v_dot2_f32_f16 v73, v3, v80, v73
	;;#ASMEND
	s_waitcnt lgkmcnt(2)
	;;#ASMSTART
	v_dot2_f32_f16 v71, v0, v81, v71
	;;#ASMEND
	;;#ASMSTART
	v_dot2_f32_f16 v71, v1, v82, v71
	;;#ASMEND
	;;#ASMSTART
	v_dot2_f32_f16 v71, v2, v83, v71
	;;#ASMEND
	;;#ASMSTART
	v_dot2_f32_f16 v71, v3, v84, v71
	;;#ASMEND
	s_waitcnt lgkmcnt(1)
	;;#ASMSTART
	v_dot2_f32_f16 v69, v0, v85, v69
	;;#ASMEND
	;;#ASMSTART
	v_dot2_f32_f16 v69, v1, v86, v69
	;;#ASMEND
	;;#ASMSTART
	v_dot2_f32_f16 v69, v2, v87, v69
	;;#ASMEND
	;;#ASMSTART
	v_dot2_f32_f16 v69, v3, v88, v69
	;;#ASMEND
	s_waitcnt lgkmcnt(0)
	;;#ASMSTART
	v_dot2_f32_f16 v76, v89, v4, v76
	;;#ASMEND
	;;#ASMSTART
	v_dot2_f32_f16 v76, v90, v5, v76
	;;#ASMEND
	;;#ASMSTART
	v_dot2_f32_f16 v76, v91, v6, v76
	;;#ASMEND
	;;#ASMSTART
	v_dot2_f32_f16 v76, v92, v7, v76
	;;#ASMEND
	;;#ASMSTART
	v_dot2_f32_f16 v74, v89, v77, v74
	;;#ASMEND
	;;#ASMSTART
	v_dot2_f32_f16 v74, v90, v78, v74
	;;#ASMEND
	;; [unrolled: 3-line block ×12, first 2 shown]
	ds_load_b128 v[0:3], v39 offset:160
	ds_load_b128 v[4:7], v40 offset:416
	ds_load_b128 v[77:80], v40 offset:928
	ds_load_b128 v[81:84], v40 offset:1440
	ds_load_b128 v[85:88], v40 offset:1952
	ds_load_b128 v[89:92], v39 offset:8864
	s_waitcnt lgkmcnt(4)
	;;#ASMSTART
	v_dot2_f32_f16 v75, v0, v4, v75
	;;#ASMEND
	;;#ASMSTART
	v_dot2_f32_f16 v75, v1, v5, v75
	;;#ASMEND
	;;#ASMSTART
	v_dot2_f32_f16 v75, v2, v6, v75
	;;#ASMEND
	;;#ASMSTART
	v_dot2_f32_f16 v75, v3, v7, v75
	;;#ASMEND
	s_waitcnt lgkmcnt(3)
	;;#ASMSTART
	v_dot2_f32_f16 v73, v0, v77, v73
	;;#ASMEND
	;;#ASMSTART
	v_dot2_f32_f16 v73, v1, v78, v73
	;;#ASMEND
	;;#ASMSTART
	v_dot2_f32_f16 v73, v2, v79, v73
	;;#ASMEND
	;;#ASMSTART
	v_dot2_f32_f16 v73, v3, v80, v73
	;;#ASMEND
	;; [unrolled: 13-line block ×5, first 2 shown]
	;;#ASMSTART
	v_dot2_f32_f16 v74, v89, v77, v74
	;;#ASMEND
	;;#ASMSTART
	v_dot2_f32_f16 v74, v90, v78, v74
	;;#ASMEND
	;;#ASMSTART
	v_dot2_f32_f16 v74, v91, v79, v74
	;;#ASMEND
	;;#ASMSTART
	v_dot2_f32_f16 v74, v92, v80, v74
	;;#ASMEND
	;;#ASMSTART
	v_dot2_f32_f16 v72, v89, v81, v72
	;;#ASMEND
	;;#ASMSTART
	v_dot2_f32_f16 v72, v90, v82, v72
	;;#ASMEND
	;;#ASMSTART
	v_dot2_f32_f16 v72, v91, v83, v72
	;;#ASMEND
	;;#ASMSTART
	v_dot2_f32_f16 v72, v92, v84, v72
	;;#ASMEND
	;;#ASMSTART
	v_dot2_f32_f16 v70, v89, v85, v70
	;;#ASMEND
	;;#ASMSTART
	v_dot2_f32_f16 v70, v90, v86, v70
	;;#ASMEND
	;;#ASMSTART
	v_dot2_f32_f16 v70, v91, v87, v70
	;;#ASMEND
	;;#ASMSTART
	v_dot2_f32_f16 v70, v92, v88, v70
	;;#ASMEND
	ds_load_b128 v[0:3], v39 offset:176
	ds_load_b128 v[4:7], v40 offset:432
	;; [unrolled: 1-line block ×6, first 2 shown]
	s_waitcnt lgkmcnt(4)
	;;#ASMSTART
	v_dot2_f32_f16 v75, v0, v4, v75
	;;#ASMEND
	;;#ASMSTART
	v_dot2_f32_f16 v75, v1, v5, v75
	;;#ASMEND
	;;#ASMSTART
	v_dot2_f32_f16 v75, v2, v6, v75
	;;#ASMEND
	;;#ASMSTART
	v_dot2_f32_f16 v75, v3, v7, v75
	;;#ASMEND
	s_waitcnt lgkmcnt(3)
	;;#ASMSTART
	v_dot2_f32_f16 v73, v0, v77, v73
	;;#ASMEND
	;;#ASMSTART
	v_dot2_f32_f16 v73, v1, v78, v73
	;;#ASMEND
	;;#ASMSTART
	v_dot2_f32_f16 v73, v2, v79, v73
	;;#ASMEND
	;;#ASMSTART
	v_dot2_f32_f16 v73, v3, v80, v73
	;;#ASMEND
	;; [unrolled: 13-line block ×5, first 2 shown]
	;;#ASMSTART
	v_dot2_f32_f16 v74, v89, v77, v74
	;;#ASMEND
	;;#ASMSTART
	v_dot2_f32_f16 v74, v90, v78, v74
	;;#ASMEND
	;; [unrolled: 3-line block ×12, first 2 shown]
	ds_load_b128 v[0:3], v39 offset:192
	ds_load_b128 v[4:7], v40 offset:448
	;; [unrolled: 1-line block ×6, first 2 shown]
	s_waitcnt lgkmcnt(4)
	;;#ASMSTART
	v_dot2_f32_f16 v75, v0, v4, v75
	;;#ASMEND
	;;#ASMSTART
	v_dot2_f32_f16 v75, v1, v5, v75
	;;#ASMEND
	;;#ASMSTART
	v_dot2_f32_f16 v75, v2, v6, v75
	;;#ASMEND
	;;#ASMSTART
	v_dot2_f32_f16 v75, v3, v7, v75
	;;#ASMEND
	s_waitcnt lgkmcnt(3)
	;;#ASMSTART
	v_dot2_f32_f16 v73, v0, v77, v73
	;;#ASMEND
	;;#ASMSTART
	v_dot2_f32_f16 v73, v1, v78, v73
	;;#ASMEND
	;;#ASMSTART
	v_dot2_f32_f16 v73, v2, v79, v73
	;;#ASMEND
	;;#ASMSTART
	v_dot2_f32_f16 v73, v3, v80, v73
	;;#ASMEND
	;; [unrolled: 13-line block ×5, first 2 shown]
	;;#ASMSTART
	v_dot2_f32_f16 v74, v89, v77, v74
	;;#ASMEND
	;;#ASMSTART
	v_dot2_f32_f16 v74, v90, v78, v74
	;;#ASMEND
	;;#ASMSTART
	v_dot2_f32_f16 v74, v91, v79, v74
	;;#ASMEND
	;;#ASMSTART
	v_dot2_f32_f16 v74, v92, v80, v74
	;;#ASMEND
	;;#ASMSTART
	v_dot2_f32_f16 v72, v89, v81, v72
	;;#ASMEND
	;;#ASMSTART
	v_dot2_f32_f16 v72, v90, v82, v72
	;;#ASMEND
	;;#ASMSTART
	v_dot2_f32_f16 v72, v91, v83, v72
	;;#ASMEND
	;;#ASMSTART
	v_dot2_f32_f16 v72, v92, v84, v72
	;;#ASMEND
	;;#ASMSTART
	v_dot2_f32_f16 v70, v89, v85, v70
	;;#ASMEND
	;;#ASMSTART
	v_dot2_f32_f16 v70, v90, v86, v70
	;;#ASMEND
	;;#ASMSTART
	v_dot2_f32_f16 v70, v91, v87, v70
	;;#ASMEND
	;;#ASMSTART
	v_dot2_f32_f16 v70, v92, v88, v70
	;;#ASMEND
	ds_load_b128 v[0:3], v39 offset:208
	ds_load_b128 v[4:7], v40 offset:464
	;; [unrolled: 1-line block ×6, first 2 shown]
	s_waitcnt lgkmcnt(4)
	;;#ASMSTART
	v_dot2_f32_f16 v75, v0, v4, v75
	;;#ASMEND
	;;#ASMSTART
	v_dot2_f32_f16 v75, v1, v5, v75
	;;#ASMEND
	;;#ASMSTART
	v_dot2_f32_f16 v75, v2, v6, v75
	;;#ASMEND
	;;#ASMSTART
	v_dot2_f32_f16 v75, v3, v7, v75
	;;#ASMEND
	s_waitcnt lgkmcnt(3)
	;;#ASMSTART
	v_dot2_f32_f16 v73, v0, v77, v73
	;;#ASMEND
	;;#ASMSTART
	v_dot2_f32_f16 v73, v1, v78, v73
	;;#ASMEND
	;;#ASMSTART
	v_dot2_f32_f16 v73, v2, v79, v73
	;;#ASMEND
	;;#ASMSTART
	v_dot2_f32_f16 v73, v3, v80, v73
	;;#ASMEND
	;; [unrolled: 13-line block ×5, first 2 shown]
	;;#ASMSTART
	v_dot2_f32_f16 v74, v89, v77, v74
	;;#ASMEND
	;;#ASMSTART
	v_dot2_f32_f16 v74, v90, v78, v74
	;;#ASMEND
	;; [unrolled: 3-line block ×12, first 2 shown]
	ds_load_b128 v[0:3], v39 offset:224
	ds_load_b128 v[4:7], v40 offset:480
	;; [unrolled: 1-line block ×6, first 2 shown]
	s_waitcnt lgkmcnt(4)
	;;#ASMSTART
	v_dot2_f32_f16 v75, v0, v4, v75
	;;#ASMEND
	;;#ASMSTART
	v_dot2_f32_f16 v75, v1, v5, v75
	;;#ASMEND
	;;#ASMSTART
	v_dot2_f32_f16 v75, v2, v6, v75
	;;#ASMEND
	;;#ASMSTART
	v_dot2_f32_f16 v75, v3, v7, v75
	;;#ASMEND
	s_waitcnt lgkmcnt(3)
	;;#ASMSTART
	v_dot2_f32_f16 v73, v0, v77, v73
	;;#ASMEND
	;;#ASMSTART
	v_dot2_f32_f16 v73, v1, v78, v73
	;;#ASMEND
	;;#ASMSTART
	v_dot2_f32_f16 v73, v2, v79, v73
	;;#ASMEND
	;;#ASMSTART
	v_dot2_f32_f16 v73, v3, v80, v73
	;;#ASMEND
	;; [unrolled: 13-line block ×5, first 2 shown]
	;;#ASMSTART
	v_dot2_f32_f16 v74, v89, v77, v74
	;;#ASMEND
	;;#ASMSTART
	v_dot2_f32_f16 v74, v90, v78, v74
	;;#ASMEND
	;; [unrolled: 3-line block ×12, first 2 shown]
	ds_load_b128 v[0:3], v39 offset:240
	ds_load_b128 v[4:7], v40 offset:496
	;; [unrolled: 1-line block ×6, first 2 shown]
	s_waitcnt lgkmcnt(4)
	;;#ASMSTART
	v_dot2_f32_f16 v75, v0, v4, v75
	;;#ASMEND
	;;#ASMSTART
	v_dot2_f32_f16 v75, v1, v5, v75
	;;#ASMEND
	;;#ASMSTART
	v_dot2_f32_f16 v75, v2, v6, v75
	;;#ASMEND
	;;#ASMSTART
	v_dot2_f32_f16 v75, v3, v7, v75
	;;#ASMEND
	s_waitcnt lgkmcnt(3)
	;;#ASMSTART
	v_dot2_f32_f16 v73, v0, v77, v73
	;;#ASMEND
	;;#ASMSTART
	v_dot2_f32_f16 v73, v1, v78, v73
	;;#ASMEND
	;;#ASMSTART
	v_dot2_f32_f16 v73, v2, v79, v73
	;;#ASMEND
	;;#ASMSTART
	v_dot2_f32_f16 v73, v3, v80, v73
	;;#ASMEND
	;; [unrolled: 13-line block ×5, first 2 shown]
	;;#ASMSTART
	v_dot2_f32_f16 v74, v89, v77, v74
	;;#ASMEND
	;;#ASMSTART
	v_dot2_f32_f16 v74, v90, v78, v74
	;;#ASMEND
	;; [unrolled: 3-line block ×5, first 2 shown]
	v_cmp_ngt_f32_e64 s19, 0x3f200000, |v75|
	;;#ASMSTART
	v_dot2_f32_f16 v72, v90, v82, v72
	;;#ASMEND
	;;#ASMSTART
	v_dot2_f32_f16 v72, v91, v83, v72
	;;#ASMEND
	;; [unrolled: 3-line block ×7, first 2 shown]
                                        ; implicit-def: $vgpr2
	s_and_saveexec_b32 s20, s19
	s_delay_alu instid0(SALU_CYCLE_1)
	s_xor_b32 s19, exec_lo, s20
	s_cbranch_execz .LBB58_11
; %bb.10:                               ;   in Loop: Header=BB58_9 Depth=1
	v_add_f32_e64 v0, |v75|, |v75|
	s_delay_alu instid0(VALU_DEP_1) | instskip(SKIP_1) | instid1(VALU_DEP_2)
	v_mul_f32_e32 v1, 0x3fb8aa3b, v0
	v_cmp_ngt_f32_e32 vcc_lo, 0xc2ce8ed0, v0
	v_rndne_f32_e32 v2, v1
	v_fma_f32 v3, 0x3fb8aa3b, v0, -v1
	s_delay_alu instid0(VALU_DEP_2) | instskip(NEXT) | instid1(VALU_DEP_2)
	v_sub_f32_e32 v1, v1, v2
	v_fmac_f32_e32 v3, 0x32a5705f, v0
	v_cvt_i32_f32_e32 v2, v2
	s_delay_alu instid0(VALU_DEP_2) | instskip(NEXT) | instid1(VALU_DEP_1)
	v_add_f32_e32 v1, v1, v3
	v_exp_f32_e32 v1, v1
	s_waitcnt_depctr 0xfff
	v_ldexp_f32 v1, v1, v2
	s_delay_alu instid0(VALU_DEP_1) | instskip(SKIP_1) | instid1(VALU_DEP_2)
	v_cndmask_b32_e32 v1, 0, v1, vcc_lo
	v_cmp_nlt_f32_e32 vcc_lo, 0x42b17218, v0
	v_cndmask_b32_e32 v0, 0x7f800000, v1, vcc_lo
	s_delay_alu instid0(VALU_DEP_1) | instskip(NEXT) | instid1(VALU_DEP_1)
	v_add_f32_e32 v0, 1.0, v0
	v_rcp_f32_e32 v0, v0
	s_waitcnt_depctr 0xfff
	v_fma_f32 v2, v0, -2.0, 1.0
.LBB58_11:                              ;   in Loop: Header=BB58_9 Depth=1
	s_and_not1_saveexec_b32 s19, s19
; %bb.12:                               ;   in Loop: Header=BB58_9 Depth=1
	v_mul_f32_e32 v0, v75, v75
	s_delay_alu instid0(VALU_DEP_1) | instskip(NEXT) | instid1(VALU_DEP_1)
	v_fmaak_f32 v1, s18, v0, 0x3ca908c9
	v_fmaak_f32 v1, v0, v1, 0xbd5c1c4e
	s_delay_alu instid0(VALU_DEP_1) | instskip(NEXT) | instid1(VALU_DEP_1)
	v_fmaak_f32 v1, v0, v1, 0x3e088382
	v_fmaak_f32 v1, v0, v1, 0xbeaaaa99
	s_delay_alu instid0(VALU_DEP_1) | instskip(NEXT) | instid1(VALU_DEP_1)
	v_mul_f32_e64 v1, |v75|, v1
	v_fma_f32 v2, v0, v1, |v75|
; %bb.13:                               ;   in Loop: Header=BB58_9 Depth=1
	s_or_b32 exec_lo, exec_lo, s19
	v_add_nc_u32_e32 v0, s3, v14
	v_cmp_ngt_f32_e64 s19, 0x3f200000, |v76|
                                        ; implicit-def: $vgpr3
	s_delay_alu instid0(VALU_DEP_2) | instskip(NEXT) | instid1(VALU_DEP_1)
	v_ashrrev_i32_e32 v1, 31, v0
	v_lshlrev_b64 v[0:1], 1, v[0:1]
	s_delay_alu instid0(VALU_DEP_1) | instskip(NEXT) | instid1(VALU_DEP_2)
	v_add_co_u32 v0, vcc_lo, s34, v0
	v_add_co_ci_u32_e32 v1, vcc_lo, s35, v1, vcc_lo
	flat_load_u16 v7, v[0:1]
	s_and_saveexec_b32 s20, s19
	s_delay_alu instid0(SALU_CYCLE_1)
	s_xor_b32 s19, exec_lo, s20
	s_cbranch_execz .LBB58_15
; %bb.14:                               ;   in Loop: Header=BB58_9 Depth=1
	v_add_f32_e64 v3, |v76|, |v76|
	s_delay_alu instid0(VALU_DEP_1) | instskip(SKIP_1) | instid1(VALU_DEP_2)
	v_mul_f32_e32 v4, 0x3fb8aa3b, v3
	v_cmp_ngt_f32_e32 vcc_lo, 0xc2ce8ed0, v3
	v_rndne_f32_e32 v5, v4
	v_fma_f32 v6, 0x3fb8aa3b, v3, -v4
	s_delay_alu instid0(VALU_DEP_2) | instskip(NEXT) | instid1(VALU_DEP_2)
	v_sub_f32_e32 v4, v4, v5
	v_fmac_f32_e32 v6, 0x32a5705f, v3
	v_cvt_i32_f32_e32 v5, v5
	s_delay_alu instid0(VALU_DEP_2) | instskip(NEXT) | instid1(VALU_DEP_1)
	v_add_f32_e32 v4, v4, v6
	v_exp_f32_e32 v4, v4
	s_waitcnt_depctr 0xfff
	v_ldexp_f32 v4, v4, v5
	s_delay_alu instid0(VALU_DEP_1) | instskip(SKIP_1) | instid1(VALU_DEP_2)
	v_cndmask_b32_e32 v4, 0, v4, vcc_lo
	v_cmp_nlt_f32_e32 vcc_lo, 0x42b17218, v3
	v_cndmask_b32_e32 v3, 0x7f800000, v4, vcc_lo
	s_delay_alu instid0(VALU_DEP_1) | instskip(NEXT) | instid1(VALU_DEP_1)
	v_add_f32_e32 v3, 1.0, v3
	v_rcp_f32_e32 v3, v3
	s_waitcnt_depctr 0xfff
	v_fma_f32 v3, v3, -2.0, 1.0
.LBB58_15:                              ;   in Loop: Header=BB58_9 Depth=1
	s_and_not1_saveexec_b32 s19, s19
; %bb.16:                               ;   in Loop: Header=BB58_9 Depth=1
	v_mul_f32_e32 v3, v76, v76
	s_delay_alu instid0(VALU_DEP_1) | instskip(NEXT) | instid1(VALU_DEP_1)
	v_fmaak_f32 v4, s18, v3, 0x3ca908c9
	v_fmaak_f32 v4, v3, v4, 0xbd5c1c4e
	s_delay_alu instid0(VALU_DEP_1) | instskip(NEXT) | instid1(VALU_DEP_1)
	v_fmaak_f32 v4, v3, v4, 0x3e088382
	v_fmaak_f32 v4, v3, v4, 0xbeaaaa99
	s_delay_alu instid0(VALU_DEP_1) | instskip(NEXT) | instid1(VALU_DEP_1)
	v_mul_f32_e64 v4, |v76|, v4
	v_fma_f32 v3, v3, v4, |v76|
; %bb.17:                               ;   in Loop: Header=BB58_9 Depth=1
	s_or_b32 exec_lo, exec_lo, s19
	flat_load_u16 v83, v[0:1] offset:64
	v_bfi_b32 v0, 0x7fffffff, v2, v75
	v_bfi_b32 v1, 0x7fffffff, v3, v76
	v_xor_b32_e32 v79, 16, v33
	v_xor_b32_e32 v78, 8, v33
	;; [unrolled: 1-line block ×3, first 2 shown]
	s_waitcnt vmcnt(1) lgkmcnt(1)
	v_fma_mix_f32 v81, v0, s17, v7 op_sel_hi:[0,0,1]
	v_xor_b32_e32 v76, 2, v33
	v_cmp_gt_i32_e32 vcc_lo, 32, v79
	v_xor_b32_e32 v75, 1, v33
	v_cmp_ngt_f32_e64 s19, 0x3f200000, |v73|
	v_add_f32_e32 v0, 0x40051340, v81
                                        ; implicit-def: $vgpr84
	s_waitcnt vmcnt(0) lgkmcnt(0)
	v_fma_mix_f32 v82, v1, s17, v83 op_sel_hi:[0,0,1]
	v_cndmask_b32_e32 v1, v33, v79, vcc_lo
	v_cmp_gt_i32_e32 vcc_lo, 32, v78
	s_delay_alu instid0(VALU_DEP_2) | instskip(SKIP_2) | instid1(VALU_DEP_3)
	v_dual_add_f32 v2, 0x40051340, v82 :: v_dual_lshlrev_b32 v1, 2, v1
	v_cndmask_b32_e32 v3, v33, v78, vcc_lo
	v_cmp_gt_i32_e32 vcc_lo, 32, v77
	v_max3_f32 v0, v66, v0, v2
	s_delay_alu instid0(VALU_DEP_3)
	v_dual_cndmask_b32 v3, v33, v77 :: v_dual_lshlrev_b32 v6, 2, v3
	v_cmp_gt_i32_e32 vcc_lo, 32, v76
	ds_bpermute_b32 v2, v1, v0
	v_lshlrev_b32_e32 v5, 2, v3
	v_cndmask_b32_e32 v3, v33, v76, vcc_lo
	v_cmp_gt_i32_e32 vcc_lo, 32, v75
	s_delay_alu instid0(VALU_DEP_2) | instskip(SKIP_2) | instid1(VALU_DEP_1)
	v_lshlrev_b32_e32 v4, 2, v3
	v_cndmask_b32_e32 v3, v33, v75, vcc_lo
	s_waitcnt lgkmcnt(0)
	v_dual_max_f32 v2, v2, v2 :: v_dual_lshlrev_b32 v3, 2, v3
	s_delay_alu instid0(VALU_DEP_1) | instskip(SKIP_3) | instid1(VALU_DEP_1)
	v_max_f32_e32 v0, v0, v2
	ds_bpermute_b32 v2, v6, v0
	s_waitcnt lgkmcnt(0)
	v_max_f32_e32 v2, v2, v2
	v_max_f32_e32 v0, v0, v2
	ds_bpermute_b32 v2, v5, v0
	s_waitcnt lgkmcnt(0)
	v_max_f32_e32 v2, v2, v2
	s_delay_alu instid0(VALU_DEP_1) | instskip(SKIP_3) | instid1(VALU_DEP_1)
	v_max_f32_e32 v0, v0, v2
	ds_bpermute_b32 v2, v4, v0
	s_waitcnt lgkmcnt(0)
	v_max_f32_e32 v2, v2, v2
	v_max_f32_e32 v0, v0, v2
	ds_bpermute_b32 v2, v3, v0
	s_and_saveexec_b32 s20, s19
	s_delay_alu instid0(SALU_CYCLE_1)
	s_xor_b32 s19, exec_lo, s20
	s_cbranch_execz .LBB58_19
; %bb.18:                               ;   in Loop: Header=BB58_9 Depth=1
	v_add_f32_e64 v80, |v73|, |v73|
	s_delay_alu instid0(VALU_DEP_1) | instskip(SKIP_1) | instid1(VALU_DEP_2)
	v_mul_f32_e32 v84, 0x3fb8aa3b, v80
	v_cmp_ngt_f32_e32 vcc_lo, 0xc2ce8ed0, v80
	v_rndne_f32_e32 v85, v84
	v_fma_f32 v86, 0x3fb8aa3b, v80, -v84
	s_delay_alu instid0(VALU_DEP_2) | instskip(NEXT) | instid1(VALU_DEP_2)
	v_sub_f32_e32 v84, v84, v85
	v_fmac_f32_e32 v86, 0x32a5705f, v80
	v_cvt_i32_f32_e32 v85, v85
	s_delay_alu instid0(VALU_DEP_2) | instskip(NEXT) | instid1(VALU_DEP_1)
	v_add_f32_e32 v84, v84, v86
	v_exp_f32_e32 v84, v84
	s_waitcnt_depctr 0xfff
	v_ldexp_f32 v84, v84, v85
	s_delay_alu instid0(VALU_DEP_1) | instskip(SKIP_1) | instid1(VALU_DEP_2)
	v_cndmask_b32_e32 v84, 0, v84, vcc_lo
	v_cmp_nlt_f32_e32 vcc_lo, 0x42b17218, v80
	v_cndmask_b32_e32 v80, 0x7f800000, v84, vcc_lo
	s_delay_alu instid0(VALU_DEP_1) | instskip(NEXT) | instid1(VALU_DEP_1)
	v_add_f32_e32 v80, 1.0, v80
	v_rcp_f32_e32 v80, v80
	s_waitcnt_depctr 0xfff
	v_fma_f32 v84, v80, -2.0, 1.0
.LBB58_19:                              ;   in Loop: Header=BB58_9 Depth=1
	s_and_not1_saveexec_b32 s19, s19
; %bb.20:                               ;   in Loop: Header=BB58_9 Depth=1
	v_mul_f32_e32 v80, v73, v73
	s_delay_alu instid0(VALU_DEP_1) | instskip(NEXT) | instid1(VALU_DEP_1)
	v_fmaak_f32 v84, s18, v80, 0x3ca908c9
	v_fmaak_f32 v84, v80, v84, 0xbd5c1c4e
	s_delay_alu instid0(VALU_DEP_1) | instskip(NEXT) | instid1(VALU_DEP_1)
	v_fmaak_f32 v84, v80, v84, 0x3e088382
	v_fmaak_f32 v84, v80, v84, 0xbeaaaa99
	s_delay_alu instid0(VALU_DEP_1) | instskip(NEXT) | instid1(VALU_DEP_1)
	v_mul_f32_e64 v84, |v73|, v84
	v_fma_f32 v84, v80, v84, |v73|
; %bb.21:                               ;   in Loop: Header=BB58_9 Depth=1
	s_or_b32 exec_lo, exec_lo, s19
	v_cmp_ngt_f32_e64 s19, 0x3f200000, |v74|
                                        ; implicit-def: $vgpr85
	s_delay_alu instid0(VALU_DEP_1) | instskip(NEXT) | instid1(SALU_CYCLE_1)
	s_and_saveexec_b32 s20, s19
	s_xor_b32 s19, exec_lo, s20
	s_cbranch_execz .LBB58_23
; %bb.22:                               ;   in Loop: Header=BB58_9 Depth=1
	v_add_f32_e64 v80, |v74|, |v74|
	s_delay_alu instid0(VALU_DEP_1) | instskip(SKIP_1) | instid1(VALU_DEP_2)
	v_mul_f32_e32 v85, 0x3fb8aa3b, v80
	v_cmp_ngt_f32_e32 vcc_lo, 0xc2ce8ed0, v80
	v_rndne_f32_e32 v86, v85
	v_fma_f32 v87, 0x3fb8aa3b, v80, -v85
	s_delay_alu instid0(VALU_DEP_2) | instskip(NEXT) | instid1(VALU_DEP_2)
	v_sub_f32_e32 v85, v85, v86
	v_fmac_f32_e32 v87, 0x32a5705f, v80
	v_cvt_i32_f32_e32 v86, v86
	s_delay_alu instid0(VALU_DEP_2) | instskip(NEXT) | instid1(VALU_DEP_1)
	v_add_f32_e32 v85, v85, v87
	v_exp_f32_e32 v85, v85
	s_waitcnt_depctr 0xfff
	v_ldexp_f32 v85, v85, v86
	s_delay_alu instid0(VALU_DEP_1) | instskip(SKIP_1) | instid1(VALU_DEP_2)
	v_cndmask_b32_e32 v85, 0, v85, vcc_lo
	v_cmp_nlt_f32_e32 vcc_lo, 0x42b17218, v80
	v_cndmask_b32_e32 v80, 0x7f800000, v85, vcc_lo
	s_delay_alu instid0(VALU_DEP_1) | instskip(NEXT) | instid1(VALU_DEP_1)
	v_add_f32_e32 v80, 1.0, v80
	v_rcp_f32_e32 v80, v80
	s_waitcnt_depctr 0xfff
	v_fma_f32 v85, v80, -2.0, 1.0
.LBB58_23:                              ;   in Loop: Header=BB58_9 Depth=1
	s_and_not1_saveexec_b32 s19, s19
; %bb.24:                               ;   in Loop: Header=BB58_9 Depth=1
	v_mul_f32_e32 v80, v74, v74
	s_delay_alu instid0(VALU_DEP_1) | instskip(NEXT) | instid1(VALU_DEP_1)
	v_fmaak_f32 v85, s18, v80, 0x3ca908c9
	v_fmaak_f32 v85, v80, v85, 0xbd5c1c4e
	s_delay_alu instid0(VALU_DEP_1) | instskip(NEXT) | instid1(VALU_DEP_1)
	v_fmaak_f32 v85, v80, v85, 0x3e088382
	v_fmaak_f32 v85, v80, v85, 0xbeaaaa99
	s_delay_alu instid0(VALU_DEP_1) | instskip(NEXT) | instid1(VALU_DEP_1)
	v_mul_f32_e64 v85, |v74|, v85
	v_fma_f32 v85, v80, v85, |v74|
; %bb.25:                               ;   in Loop: Header=BB58_9 Depth=1
	s_or_b32 exec_lo, exec_lo, s19
	v_cvt_f32_f16_e32 v80, v7
	v_cvt_f32_f16_e32 v7, v83
	v_bfi_b32 v73, 0x7fffffff, v84, v73
	v_bfi_b32 v74, 0x7fffffff, v85, v74
	v_cmp_ngt_f32_e64 s19, 0x3f200000, |v71|
                                        ; implicit-def: $vgpr85
	s_delay_alu instid0(VALU_DEP_3) | instskip(NEXT) | instid1(VALU_DEP_3)
	v_fma_f32 v83, s17, v73, v80
	v_fma_f32 v74, s17, v74, v7
	s_delay_alu instid0(VALU_DEP_1) | instskip(NEXT) | instid1(VALU_DEP_1)
	v_dual_add_f32 v73, 0x40051340, v83 :: v_dual_add_f32 v84, 0x40051340, v74
	v_max3_f32 v73, v67, v73, v84
	ds_bpermute_b32 v84, v1, v73
	s_waitcnt lgkmcnt(0)
	v_max_f32_e32 v84, v84, v84
	s_delay_alu instid0(VALU_DEP_1) | instskip(SKIP_3) | instid1(VALU_DEP_1)
	v_max_f32_e32 v73, v73, v84
	ds_bpermute_b32 v84, v6, v73
	s_waitcnt lgkmcnt(0)
	v_max_f32_e32 v84, v84, v84
	v_max_f32_e32 v73, v73, v84
	ds_bpermute_b32 v84, v5, v73
	s_waitcnt lgkmcnt(0)
	v_max_f32_e32 v84, v84, v84
	s_delay_alu instid0(VALU_DEP_1) | instskip(SKIP_3) | instid1(VALU_DEP_1)
	v_max_f32_e32 v73, v73, v84
	ds_bpermute_b32 v84, v4, v73
	s_waitcnt lgkmcnt(0)
	v_max_f32_e32 v84, v84, v84
	v_max_f32_e32 v73, v73, v84
	ds_bpermute_b32 v84, v3, v73
	s_and_saveexec_b32 s20, s19
	s_delay_alu instid0(SALU_CYCLE_1)
	s_xor_b32 s19, exec_lo, s20
	s_cbranch_execz .LBB58_27
; %bb.26:                               ;   in Loop: Header=BB58_9 Depth=1
	v_add_f32_e64 v85, |v71|, |v71|
	s_delay_alu instid0(VALU_DEP_1) | instskip(SKIP_1) | instid1(VALU_DEP_2)
	v_mul_f32_e32 v86, 0x3fb8aa3b, v85
	v_cmp_ngt_f32_e32 vcc_lo, 0xc2ce8ed0, v85
	v_rndne_f32_e32 v87, v86
	v_fma_f32 v88, 0x3fb8aa3b, v85, -v86
	s_delay_alu instid0(VALU_DEP_2) | instskip(NEXT) | instid1(VALU_DEP_2)
	v_sub_f32_e32 v86, v86, v87
	v_fmac_f32_e32 v88, 0x32a5705f, v85
	v_cvt_i32_f32_e32 v87, v87
	s_delay_alu instid0(VALU_DEP_2) | instskip(NEXT) | instid1(VALU_DEP_1)
	v_add_f32_e32 v86, v86, v88
	v_exp_f32_e32 v86, v86
	s_waitcnt_depctr 0xfff
	v_ldexp_f32 v86, v86, v87
	s_delay_alu instid0(VALU_DEP_1) | instskip(SKIP_1) | instid1(VALU_DEP_2)
	v_cndmask_b32_e32 v86, 0, v86, vcc_lo
	v_cmp_nlt_f32_e32 vcc_lo, 0x42b17218, v85
	v_cndmask_b32_e32 v85, 0x7f800000, v86, vcc_lo
	s_delay_alu instid0(VALU_DEP_1) | instskip(NEXT) | instid1(VALU_DEP_1)
	v_add_f32_e32 v85, 1.0, v85
	v_rcp_f32_e32 v85, v85
	s_waitcnt_depctr 0xfff
	v_fma_f32 v85, v85, -2.0, 1.0
.LBB58_27:                              ;   in Loop: Header=BB58_9 Depth=1
	s_and_not1_saveexec_b32 s19, s19
; %bb.28:                               ;   in Loop: Header=BB58_9 Depth=1
	v_mul_f32_e32 v85, v71, v71
	s_delay_alu instid0(VALU_DEP_1) | instskip(NEXT) | instid1(VALU_DEP_1)
	v_fmaak_f32 v86, s18, v85, 0x3ca908c9
	v_fmaak_f32 v86, v85, v86, 0xbd5c1c4e
	s_delay_alu instid0(VALU_DEP_1) | instskip(NEXT) | instid1(VALU_DEP_1)
	v_fmaak_f32 v86, v85, v86, 0x3e088382
	v_fmaak_f32 v86, v85, v86, 0xbeaaaa99
	s_delay_alu instid0(VALU_DEP_1) | instskip(NEXT) | instid1(VALU_DEP_1)
	v_mul_f32_e64 v86, |v71|, v86
	v_fma_f32 v85, v85, v86, |v71|
; %bb.29:                               ;   in Loop: Header=BB58_9 Depth=1
	s_or_b32 exec_lo, exec_lo, s19
	v_cmp_ngt_f32_e64 s19, 0x3f200000, |v72|
                                        ; implicit-def: $vgpr86
	s_delay_alu instid0(VALU_DEP_1) | instskip(NEXT) | instid1(SALU_CYCLE_1)
	s_and_saveexec_b32 s20, s19
	s_xor_b32 s19, exec_lo, s20
	s_cbranch_execz .LBB58_31
; %bb.30:                               ;   in Loop: Header=BB58_9 Depth=1
	v_add_f32_e64 v86, |v72|, |v72|
	s_delay_alu instid0(VALU_DEP_1) | instskip(SKIP_1) | instid1(VALU_DEP_2)
	v_mul_f32_e32 v87, 0x3fb8aa3b, v86
	v_cmp_ngt_f32_e32 vcc_lo, 0xc2ce8ed0, v86
	v_rndne_f32_e32 v88, v87
	v_fma_f32 v89, 0x3fb8aa3b, v86, -v87
	s_delay_alu instid0(VALU_DEP_2) | instskip(NEXT) | instid1(VALU_DEP_2)
	v_sub_f32_e32 v87, v87, v88
	v_fmac_f32_e32 v89, 0x32a5705f, v86
	v_cvt_i32_f32_e32 v88, v88
	s_delay_alu instid0(VALU_DEP_2) | instskip(NEXT) | instid1(VALU_DEP_1)
	v_add_f32_e32 v87, v87, v89
	v_exp_f32_e32 v87, v87
	s_waitcnt_depctr 0xfff
	v_ldexp_f32 v87, v87, v88
	s_delay_alu instid0(VALU_DEP_1) | instskip(SKIP_1) | instid1(VALU_DEP_2)
	v_cndmask_b32_e32 v87, 0, v87, vcc_lo
	v_cmp_nlt_f32_e32 vcc_lo, 0x42b17218, v86
	v_cndmask_b32_e32 v86, 0x7f800000, v87, vcc_lo
	s_delay_alu instid0(VALU_DEP_1) | instskip(NEXT) | instid1(VALU_DEP_1)
	v_add_f32_e32 v86, 1.0, v86
	v_rcp_f32_e32 v86, v86
	s_waitcnt_depctr 0xfff
	v_fma_f32 v86, v86, -2.0, 1.0
.LBB58_31:                              ;   in Loop: Header=BB58_9 Depth=1
	s_and_not1_saveexec_b32 s19, s19
; %bb.32:                               ;   in Loop: Header=BB58_9 Depth=1
	v_mul_f32_e32 v86, v72, v72
	s_delay_alu instid0(VALU_DEP_1) | instskip(NEXT) | instid1(VALU_DEP_1)
	v_fmaak_f32 v87, s18, v86, 0x3ca908c9
	v_fmaak_f32 v87, v86, v87, 0xbd5c1c4e
	s_delay_alu instid0(VALU_DEP_1) | instskip(NEXT) | instid1(VALU_DEP_1)
	v_fmaak_f32 v87, v86, v87, 0x3e088382
	v_fmaak_f32 v87, v86, v87, 0xbeaaaa99
	s_delay_alu instid0(VALU_DEP_1) | instskip(NEXT) | instid1(VALU_DEP_1)
	v_mul_f32_e64 v87, |v72|, v87
	v_fma_f32 v86, v86, v87, |v72|
; %bb.33:                               ;   in Loop: Header=BB58_9 Depth=1
	s_or_b32 exec_lo, exec_lo, s19
	v_bfi_b32 v71, 0x7fffffff, v85, v71
	s_delay_alu instid0(VALU_DEP_2) | instskip(SKIP_1) | instid1(VALU_DEP_3)
	v_bfi_b32 v72, 0x7fffffff, v86, v72
	v_cmp_ngt_f32_e64 s19, 0x3f200000, |v69|
                                        ; implicit-def: $vgpr87
	v_fma_f32 v71, s17, v71, v80
	s_delay_alu instid0(VALU_DEP_3) | instskip(NEXT) | instid1(VALU_DEP_1)
	v_fma_f32 v72, s17, v72, v7
	v_dual_add_f32 v85, 0x40051340, v71 :: v_dual_add_f32 v86, 0x40051340, v72
	s_delay_alu instid0(VALU_DEP_1) | instskip(SKIP_3) | instid1(VALU_DEP_1)
	v_max3_f32 v85, v68, v85, v86
	ds_bpermute_b32 v86, v1, v85
	s_waitcnt lgkmcnt(0)
	v_max_f32_e32 v86, v86, v86
	v_max_f32_e32 v85, v85, v86
	ds_bpermute_b32 v86, v6, v85
	s_waitcnt lgkmcnt(0)
	v_max_f32_e32 v86, v86, v86
	s_delay_alu instid0(VALU_DEP_1) | instskip(SKIP_3) | instid1(VALU_DEP_1)
	v_max_f32_e32 v85, v85, v86
	ds_bpermute_b32 v86, v5, v85
	s_waitcnt lgkmcnt(0)
	v_max_f32_e32 v86, v86, v86
	v_max_f32_e32 v85, v85, v86
	ds_bpermute_b32 v86, v4, v85
	s_waitcnt lgkmcnt(0)
	v_max_f32_e32 v86, v86, v86
	s_delay_alu instid0(VALU_DEP_1) | instskip(SKIP_2) | instid1(SALU_CYCLE_1)
	v_max_f32_e32 v85, v85, v86
	ds_bpermute_b32 v86, v3, v85
	s_and_saveexec_b32 s20, s19
	s_xor_b32 s19, exec_lo, s20
	s_cbranch_execz .LBB58_35
; %bb.34:                               ;   in Loop: Header=BB58_9 Depth=1
	v_add_f32_e64 v87, |v69|, |v69|
	s_delay_alu instid0(VALU_DEP_1) | instskip(SKIP_1) | instid1(VALU_DEP_2)
	v_mul_f32_e32 v88, 0x3fb8aa3b, v87
	v_cmp_ngt_f32_e32 vcc_lo, 0xc2ce8ed0, v87
	v_rndne_f32_e32 v89, v88
	v_fma_f32 v90, 0x3fb8aa3b, v87, -v88
	s_delay_alu instid0(VALU_DEP_2) | instskip(NEXT) | instid1(VALU_DEP_2)
	v_sub_f32_e32 v88, v88, v89
	v_fmac_f32_e32 v90, 0x32a5705f, v87
	v_cvt_i32_f32_e32 v89, v89
	s_delay_alu instid0(VALU_DEP_2) | instskip(NEXT) | instid1(VALU_DEP_1)
	v_add_f32_e32 v88, v88, v90
	v_exp_f32_e32 v88, v88
	s_waitcnt_depctr 0xfff
	v_ldexp_f32 v88, v88, v89
	s_delay_alu instid0(VALU_DEP_1) | instskip(SKIP_1) | instid1(VALU_DEP_2)
	v_cndmask_b32_e32 v88, 0, v88, vcc_lo
	v_cmp_nlt_f32_e32 vcc_lo, 0x42b17218, v87
	v_cndmask_b32_e32 v87, 0x7f800000, v88, vcc_lo
	s_delay_alu instid0(VALU_DEP_1) | instskip(NEXT) | instid1(VALU_DEP_1)
	v_add_f32_e32 v87, 1.0, v87
	v_rcp_f32_e32 v87, v87
	s_waitcnt_depctr 0xfff
	v_fma_f32 v87, v87, -2.0, 1.0
.LBB58_35:                              ;   in Loop: Header=BB58_9 Depth=1
	s_and_not1_saveexec_b32 s19, s19
; %bb.36:                               ;   in Loop: Header=BB58_9 Depth=1
	v_mul_f32_e32 v87, v69, v69
	s_delay_alu instid0(VALU_DEP_1) | instskip(NEXT) | instid1(VALU_DEP_1)
	v_fmaak_f32 v88, s18, v87, 0x3ca908c9
	v_fmaak_f32 v88, v87, v88, 0xbd5c1c4e
	s_delay_alu instid0(VALU_DEP_1) | instskip(NEXT) | instid1(VALU_DEP_1)
	v_fmaak_f32 v88, v87, v88, 0x3e088382
	v_fmaak_f32 v88, v87, v88, 0xbeaaaa99
	s_delay_alu instid0(VALU_DEP_1) | instskip(NEXT) | instid1(VALU_DEP_1)
	v_mul_f32_e64 v88, |v69|, v88
	v_fma_f32 v87, v87, v88, |v69|
; %bb.37:                               ;   in Loop: Header=BB58_9 Depth=1
	s_or_b32 exec_lo, exec_lo, s19
	v_cmp_ngt_f32_e64 s19, 0x3f200000, |v70|
                                        ; implicit-def: $vgpr88
	s_delay_alu instid0(VALU_DEP_1) | instskip(NEXT) | instid1(SALU_CYCLE_1)
	s_and_saveexec_b32 s20, s19
	s_xor_b32 s19, exec_lo, s20
	s_cbranch_execz .LBB58_39
; %bb.38:                               ;   in Loop: Header=BB58_9 Depth=1
	v_add_f32_e64 v88, |v70|, |v70|
	s_delay_alu instid0(VALU_DEP_1) | instskip(SKIP_1) | instid1(VALU_DEP_2)
	v_mul_f32_e32 v89, 0x3fb8aa3b, v88
	v_cmp_ngt_f32_e32 vcc_lo, 0xc2ce8ed0, v88
	v_rndne_f32_e32 v90, v89
	v_fma_f32 v91, 0x3fb8aa3b, v88, -v89
	s_delay_alu instid0(VALU_DEP_2) | instskip(NEXT) | instid1(VALU_DEP_2)
	v_sub_f32_e32 v89, v89, v90
	v_fmac_f32_e32 v91, 0x32a5705f, v88
	v_cvt_i32_f32_e32 v90, v90
	s_delay_alu instid0(VALU_DEP_2) | instskip(NEXT) | instid1(VALU_DEP_1)
	v_add_f32_e32 v89, v89, v91
	v_exp_f32_e32 v89, v89
	s_waitcnt_depctr 0xfff
	v_ldexp_f32 v89, v89, v90
	s_delay_alu instid0(VALU_DEP_1) | instskip(SKIP_1) | instid1(VALU_DEP_2)
	v_cndmask_b32_e32 v89, 0, v89, vcc_lo
	v_cmp_nlt_f32_e32 vcc_lo, 0x42b17218, v88
	v_cndmask_b32_e32 v88, 0x7f800000, v89, vcc_lo
	s_delay_alu instid0(VALU_DEP_1) | instskip(NEXT) | instid1(VALU_DEP_1)
	v_add_f32_e32 v88, 1.0, v88
	v_rcp_f32_e32 v88, v88
	s_waitcnt_depctr 0xfff
	v_fma_f32 v88, v88, -2.0, 1.0
.LBB58_39:                              ;   in Loop: Header=BB58_9 Depth=1
	s_and_not1_saveexec_b32 s19, s19
; %bb.40:                               ;   in Loop: Header=BB58_9 Depth=1
	v_mul_f32_e32 v88, v70, v70
	s_delay_alu instid0(VALU_DEP_1) | instskip(NEXT) | instid1(VALU_DEP_1)
	v_fmaak_f32 v89, s18, v88, 0x3ca908c9
	v_fmaak_f32 v89, v88, v89, 0xbd5c1c4e
	s_delay_alu instid0(VALU_DEP_1) | instskip(NEXT) | instid1(VALU_DEP_1)
	v_fmaak_f32 v89, v88, v89, 0x3e088382
	v_fmaak_f32 v89, v88, v89, 0xbeaaaa99
	s_delay_alu instid0(VALU_DEP_1) | instskip(NEXT) | instid1(VALU_DEP_1)
	v_mul_f32_e64 v89, |v70|, v89
	v_fma_f32 v88, v88, v89, |v70|
; %bb.41:                               ;   in Loop: Header=BB58_9 Depth=1
	s_or_b32 exec_lo, exec_lo, s19
	s_mul_hi_i32 s21, s3, s10
	s_mul_i32 s20, s3, s10
	s_waitcnt lgkmcnt(0)
	s_lshl_b64 s[20:21], s[20:21], 2
	s_barrier
	s_add_u32 s19, s11, s20
	s_addc_u32 s20, s16, s21
	v_add_co_u32 v89, vcc_lo, s19, v23
	v_add_co_ci_u32_e32 v90, vcc_lo, s20, v24, vcc_lo
	v_add_co_u32 v91, vcc_lo, s19, v25
	v_add_co_ci_u32_e32 v92, vcc_lo, s20, v26, vcc_lo
	s_delay_alu instid0(VALU_DEP_4) | instskip(NEXT) | instid1(VALU_DEP_4)
	v_add_co_u32 v89, vcc_lo, v89, v41
	v_add_co_ci_u32_e32 v90, vcc_lo, 0, v90, vcc_lo
	s_delay_alu instid0(VALU_DEP_4) | instskip(NEXT) | instid1(VALU_DEP_4)
	v_add_co_u32 v93, vcc_lo, v91, v41
	v_add_co_ci_u32_e32 v94, vcc_lo, 0, v92, vcc_lo
	v_add_co_u32 v91, vcc_lo, s19, v27
	v_add_co_ci_u32_e32 v92, vcc_lo, s20, v28, vcc_lo
	;; [unrolled: 2-line block ×3, first 2 shown]
	s_delay_alu instid0(VALU_DEP_4) | instskip(NEXT) | instid1(VALU_DEP_4)
	v_add_co_u32 v97, vcc_lo, v91, v41
	v_add_co_ci_u32_e32 v98, vcc_lo, 0, v92, vcc_lo
	s_delay_alu instid0(VALU_DEP_4) | instskip(NEXT) | instid1(VALU_DEP_4)
	v_add_co_u32 v101, vcc_lo, v95, v41
	v_add_co_ci_u32_e32 v102, vcc_lo, 0, v96, vcc_lo
	buffer_gl0_inv
	s_clause 0x3
	global_load_b128 v[89:92], v[89:90], off
	global_load_b128 v[93:96], v[93:94], off
	;; [unrolled: 1-line block ×4, first 2 shown]
	v_bfi_b32 v69, 0x7fffffff, v87, v69
	v_bfi_b32 v70, 0x7fffffff, v88, v70
	v_dual_max_f32 v84, v84, v84 :: v_dual_max_f32 v85, v85, v85
	v_max_f32_e32 v2, v2, v2
	s_delay_alu instid0(VALU_DEP_3) | instskip(SKIP_1) | instid1(SALU_CYCLE_1)
	v_dual_fmac_f32 v80, s17, v69 :: v_dual_fmac_f32 v7, s17, v70
	s_or_b32 s19, s3, 32
	s_mul_hi_i32 s21, s19, s10
	s_delay_alu instid0(VALU_DEP_1) | instskip(SKIP_1) | instid1(SALU_CYCLE_1)
	v_dual_add_f32 v69, 0x40051340, v80 :: v_dual_add_f32 v70, 0x40051340, v7
	s_mul_i32 s20, s19, s10
	s_lshl_b64 s[20:21], s[20:21], 2
	s_delay_alu instid0(VALU_DEP_1)
	v_max3_f32 v69, v65, v69, v70
	v_dual_max_f32 v70, v73, v73 :: v_dual_add_nc_u32 v73, 0x800, v43
	s_add_u32 s19, s11, s20
	s_addc_u32 s20, s16, s21
	ds_bpermute_b32 v87, v1, v69
	v_max_f32_e32 v1, v70, v84
	s_delay_alu instid0(VALU_DEP_1) | instskip(NEXT) | instid1(VALU_DEP_1)
	v_dual_max_f32 v0, v0, v0 :: v_dual_sub_f32 v67, v67, v1
	v_max_f32_e32 v0, v0, v2
	s_delay_alu instid0(VALU_DEP_1) | instskip(NEXT) | instid1(VALU_DEP_1)
	v_dual_max_f32 v86, v86, v86 :: v_dual_sub_f32 v81, v81, v0
	v_dual_max_f32 v2, v85, v86 :: v_dual_mul_f32 v85, 0x3fb8aa3b, v81
	v_sub_f32_e32 v70, v82, v0
	s_waitcnt lgkmcnt(0)
	s_delay_alu instid0(VALU_DEP_2) | instskip(SKIP_3) | instid1(VALU_DEP_4)
	v_dual_sub_f32 v72, v72, v2 :: v_dual_max_f32 v87, v87, v87
	v_sub_f32_e32 v68, v68, v2
	v_add_nc_u32_e32 v88, v42, v43
	v_dual_sub_f32 v82, v83, v1 :: v_dual_mul_f32 v83, 0x3fb8aa3b, v70
	v_max_f32_e32 v69, v69, v87
	v_rndne_f32_e32 v114, v85
	v_mul_f32_e32 v106, 0x3fb8aa3b, v67
	v_fma_f32 v113, 0x3fb8aa3b, v81, -v85
	v_rndne_f32_e32 v87, v83
	ds_bpermute_b32 v6, v6, v69
	v_sub_f32_e32 v85, v85, v114
	v_fma_f32 v110, 0x3fb8aa3b, v70, -v83
	v_fma_f32 v119, 0x3fb8aa3b, v67, -v106
	v_sub_f32_e32 v83, v83, v87
	v_dual_mul_f32 v107, 0x3fb8aa3b, v72 :: v_dual_sub_f32 v74, v74, v1
	v_mul_f32_e32 v109, 0x3fb8aa3b, v68
	s_delay_alu instid0(VALU_DEP_4) | instskip(NEXT) | instid1(VALU_DEP_3)
	v_dual_fmac_f32 v119, 0x32a5705f, v67 :: v_dual_sub_f32 v66, v66, v0
	v_fma_f32 v121, 0x3fb8aa3b, v72, -v107
	s_delay_alu instid0(VALU_DEP_4) | instskip(SKIP_1) | instid1(VALU_DEP_4)
	v_mul_f32_e32 v105, 0x3fb8aa3b, v74
	v_dual_fmac_f32 v110, 0x32a5705f, v70 :: v_dual_fmac_f32 v113, 0x32a5705f, v81
	v_mul_f32_e32 v86, 0x3fb8aa3b, v66
	s_delay_alu instid0(VALU_DEP_4)
	v_fmac_f32_e32 v121, 0x32a5705f, v72
	v_rndne_f32_e32 v122, v107
	v_sub_f32_e32 v71, v71, v2
	v_add_f32_e32 v85, v85, v113
	v_rndne_f32_e32 v116, v86
	s_waitcnt lgkmcnt(0)
	v_max_f32_e32 v6, v6, v6
	v_mul_f32_e32 v84, 0x3fb8aa3b, v82
	v_cvt_i32_f32_e32 v87, v87
	v_fma_f32 v115, 0x3fb8aa3b, v66, -v86
	v_rndne_f32_e32 v118, v105
	v_dual_max_f32 v6, v69, v6 :: v_dual_sub_f32 v69, v86, v116
	v_fma_f32 v111, 0x3fb8aa3b, v82, -v84
	v_rndne_f32_e32 v112, v84
	v_mul_f32_e32 v108, 0x3fb8aa3b, v71
	ds_bpermute_b32 v5, v5, v6
	v_cmp_ngt_f32_e32 vcc_lo, 0xc2ce8ed0, v70
	v_dual_fmac_f32 v111, 0x32a5705f, v82 :: v_dual_sub_f32 v84, v84, v112
	v_sub_f32_e32 v107, v107, v122
	v_cvt_i32_f32_e32 v112, v112
	v_fma_f32 v117, 0x3fb8aa3b, v74, -v105
	v_rndne_f32_e32 v120, v106
	v_add_f32_e32 v84, v84, v111
	v_cvt_i32_f32_e32 v114, v114
	v_fmac_f32_e32 v115, 0x32a5705f, v66
	s_delay_alu instid0(VALU_DEP_4) | instskip(NEXT) | instid1(VALU_DEP_4)
	v_dual_sub_f32 v105, v105, v118 :: v_dual_sub_f32 v106, v106, v120
	v_exp_f32_e32 v84, v84
	v_fma_f32 v123, 0x3fb8aa3b, v71, -v108
	v_rndne_f32_e32 v124, v108
	v_fmac_f32_e32 v117, 0x32a5705f, v74
	v_fma_f32 v125, 0x3fb8aa3b, v68, -v109
	v_cvt_i32_f32_e32 v86, v116
	v_add_f32_e32 v106, v106, v119
	s_waitcnt lgkmcnt(0)
	v_dual_sub_f32 v108, v108, v124 :: v_dual_max_f32 v5, v5, v5
	v_add_f32_e32 v105, v105, v117
	v_ldexp_f32 v84, v84, v112
	v_fmac_f32_e32 v125, 0x32a5705f, v68
	v_rndne_f32_e32 v126, v109
	v_max_f32_e32 v5, v6, v5
	v_exp_f32_e32 v6, v85
	v_exp_f32_e32 v85, v105
	v_cvt_i32_f32_e32 v116, v118
	v_exp_f32_e32 v105, v106
	ds_bpermute_b32 v4, v4, v5
	v_add_f32_e32 v83, v83, v110
	v_cvt_i32_f32_e32 v118, v120
	v_cvt_i32_f32_e32 v120, v122
	;; [unrolled: 1-line block ×3, first 2 shown]
	v_ldexp_f32 v6, v6, v114
	v_ldexp_f32 v85, v85, v116
	s_waitcnt lgkmcnt(0)
	v_max_f32_e32 v4, v4, v4
	v_exp_f32_e32 v83, v83
	s_delay_alu instid0(VALU_DEP_1) | instskip(NEXT) | instid1(VALU_DEP_1)
	v_dual_add_f32 v107, v107, v121 :: v_dual_max_f32 v4, v5, v4
	v_exp_f32_e32 v106, v107
	ds_bpermute_b32 v3, v3, v4
	v_ldexp_f32 v83, v83, v87
	s_delay_alu instid0(VALU_DEP_1)
	v_cndmask_b32_e32 v83, 0, v83, vcc_lo
	v_cmp_ngt_f32_e32 vcc_lo, 0xc2ce8ed0, v82
	v_fmac_f32_e32 v123, 0x32a5705f, v71
	v_ldexp_f32 v87, v106, v120
	v_cndmask_b32_e32 v84, 0, v84, vcc_lo
	v_cmp_ngt_f32_e32 vcc_lo, 0xc2ce8ed0, v81
	v_add_f32_e32 v69, v69, v115
	v_dual_sub_f32 v109, v109, v126 :: v_dual_add_f32 v108, v108, v123
	v_cndmask_b32_e32 v6, 0, v6, vcc_lo
	s_delay_alu instid0(VALU_DEP_3)
	v_exp_f32_e32 v69, v69
	v_cmp_ngt_f32_e32 vcc_lo, 0xc2ce8ed0, v66
	s_waitcnt lgkmcnt(0)
	v_max_f32_e32 v3, v3, v3
	v_add_f32_e32 v109, v109, v125
	v_exp_f32_e32 v107, v108
	s_delay_alu instid0(VALU_DEP_2) | instskip(NEXT) | instid1(VALU_DEP_2)
	v_max_f32_e32 v3, v4, v3
	v_exp_f32_e32 v108, v109
	v_cvt_i32_f32_e32 v109, v126
	s_delay_alu instid0(TRANS32_DEP_3) | instskip(SKIP_3) | instid1(TRANS32_DEP_2)
	v_ldexp_f32 v69, v69, v86
	v_ldexp_f32 v86, v105, v118
	v_sub_f32_e32 v80, v80, v3
	v_sub_f32_e32 v65, v65, v3
	v_ldexp_f32 v105, v107, v122
	v_cndmask_b32_e32 v69, 0, v69, vcc_lo
	v_cmp_ngt_f32_e32 vcc_lo, 0xc2ce8ed0, v74
	v_sub_f32_e32 v7, v7, v3
	v_ldexp_f32 v106, v108, v109
	v_mul_f32_e32 v108, 0x3fb8aa3b, v65
	v_cndmask_b32_e32 v85, 0, v85, vcc_lo
	v_cmp_ngt_f32_e32 vcc_lo, 0xc2ce8ed0, v67
	v_cndmask_b32_e32 v5, 0, v86, vcc_lo
	v_cmp_ngt_f32_e32 vcc_lo, 0xc2ce8ed0, v72
	;; [unrolled: 2-line block ×4, first 2 shown]
	v_cndmask_b32_e32 v105, 0, v106, vcc_lo
	v_cmp_nlt_f32_e32 vcc_lo, 0x42b17218, v70
	v_cndmask_b32_e32 v70, 0x7f800000, v83, vcc_lo
	v_cmp_nlt_f32_e32 vcc_lo, 0x42b17218, v82
	;; [unrolled: 2-line block ×3, first 2 shown]
	s_delay_alu instid0(VALU_DEP_4) | instskip(NEXT) | instid1(VALU_DEP_3)
	v_cvt_f16_f32_e32 v81, v70
	v_cvt_f16_f32_e32 v4, v82
	v_cndmask_b32_e32 v6, 0x7f800000, v6, vcc_lo
	v_cmp_nlt_f32_e32 vcc_lo, 0x42b17218, v66
	s_delay_alu instid0(VALU_DEP_2) | instskip(SKIP_2) | instid1(VALU_DEP_3)
	v_dual_cndmask_b32 v66, 0x7f800000, v69 :: v_dual_add_f32 v69, v6, v70
	v_cmp_nlt_f32_e32 vcc_lo, 0x42b17218, v74
	v_cvt_f16_f32_e32 v6, v6
	v_dual_fmac_f32 v69, v11, v66 :: v_dual_cndmask_b32 v74, 0x7f800000, v85
	v_cmp_nlt_f32_e32 vcc_lo, 0x42b17218, v67
	s_delay_alu instid0(VALU_DEP_3) | instskip(NEXT) | instid1(VALU_DEP_3)
	v_pack_b32_f16 v4, v6, v4
	v_dual_add_f32 v70, v82, v74 :: v_dual_cndmask_b32 v5, 0x7f800000, v5
	v_cmp_nlt_f32_e32 vcc_lo, 0x42b17218, v72
	v_dual_mul_f32 v82, 0x3fb8aa3b, v80 :: v_dual_mul_f32 v83, 0x3fb8aa3b, v7
	v_cvt_f16_f32_e32 v74, v74
	v_cndmask_b32_e32 v67, 0x7f800000, v86, vcc_lo
	v_cmp_nlt_f32_e32 vcc_lo, 0x42b17218, v71
	s_delay_alu instid0(VALU_DEP_4) | instskip(SKIP_3) | instid1(VALU_DEP_4)
	v_fma_f32 v84, 0x3fb8aa3b, v80, -v82
	v_rndne_f32_e32 v85, v82
	v_fma_f32 v86, 0x3fb8aa3b, v7, -v83
	v_pack_b32_f16 v6, v81, v74
	v_fmac_f32_e32 v84, 0x32a5705f, v80
	v_cndmask_b32_e32 v72, 0x7f800000, v87, vcc_lo
	v_rndne_f32_e32 v87, v83
	v_sub_f32_e32 v82, v82, v85
	v_cmp_nlt_f32_e32 vcc_lo, 0x42b17218, v68
	v_fmac_f32_e32 v86, 0x32a5705f, v7
	s_delay_alu instid0(VALU_DEP_4) | instskip(NEXT) | instid1(VALU_DEP_4)
	v_sub_f32_e32 v83, v83, v87
	v_dual_add_f32 v11, v82, v84 :: v_dual_cndmask_b32 v68, 0x7f800000, v105
	v_cvt_f16_f32_e32 v105, v66
	v_fma_f32 v66, 0x3fb8aa3b, v65, -v108
	s_delay_alu instid0(VALU_DEP_4)
	v_add_f32_e32 v82, v83, v86
	v_rndne_f32_e32 v83, v108
	v_exp_f32_e32 v11, v11
	v_pk_mul_f16 v109, v105, v64 op_sel_hi:[0,1]
	v_cvt_f16_f32_e32 v106, v5
	v_exp_f32_e32 v64, v82
	v_sub_f32_e32 v82, v108, v83
	v_pk_mul_f16 v108, v105, v62 op_sel_hi:[0,1]
	v_cvt_i32_f32_e32 v62, v85
	v_pk_mul_f16 v110, v105, v63 op_sel_hi:[0,1]
	v_cvt_i32_f32_e32 v63, v87
	v_fmac_f32_e32 v70, v10, v5
	v_cmp_ngt_f32_e32 vcc_lo, 0xc2ce8ed0, v80
	v_ldexp_f32 v5, v11, v62
	v_pk_mul_f16 v111, v106, v61 op_sel_hi:[0,1]
	v_ldexp_f32 v10, v64, v63
	v_cvt_i32_f32_e32 v61, v83
	v_cvt_f16_f32_e32 v107, v68
	v_cndmask_b32_e32 v5, 0, v5, vcc_lo
	v_cmp_ngt_f32_e32 vcc_lo, 0xc2ce8ed0, v7
	v_pk_mul_f16 v59, v106, v59 op_sel_hi:[0,1]
	v_pk_mul_f16 v58, v106, v58 op_sel_hi:[0,1]
	;; [unrolled: 1-line block ×4, first 2 shown]
	v_cndmask_b32_e32 v10, 0, v10, vcc_lo
	v_dual_fmac_f32 v66, 0x32a5705f, v65 :: v_dual_add_f32 v71, v72, v67
	v_cmp_nlt_f32_e32 vcc_lo, 0x42b17218, v80
	v_cvt_f16_f32_e32 v67, v67
	v_cvt_f16_f32_e32 v72, v72
	s_delay_alu instid0(VALU_DEP_4) | instskip(SKIP_1) | instid1(VALU_DEP_2)
	v_dual_add_f32 v66, v82, v66 :: v_dual_fmac_f32 v71, v9, v68
	v_pk_mul_f16 v55, v107, v55 op_sel_hi:[0,1]
	v_exp_f32_e32 v11, v66
	v_cndmask_b32_e32 v66, 0x7f800000, v5, vcc_lo
	v_cmp_nlt_f32_e32 vcc_lo, 0x42b17218, v7
	s_delay_alu instid0(VALU_DEP_2)
	v_cvt_f16_f32_e32 v7, v66
	v_cndmask_b32_e32 v10, 0x7f800000, v10, vcc_lo
	v_cmp_ngt_f32_e32 vcc_lo, 0xc2ce8ed0, v65
	s_waitcnt_depctr 0xfff
	v_ldexp_f32 v5, v11, v61
	v_cvt_f16_f32_e32 v11, v10
	s_delay_alu instid0(VALU_DEP_2) | instskip(SKIP_1) | instid1(VALU_DEP_3)
	v_cndmask_b32_e32 v61, 0, v5, vcc_lo
	v_pack_b32_f16 v5, v72, v7
	v_pack_b32_f16 v7, v67, v11
	v_cmp_nlt_f32_e32 vcc_lo, 0x42b17218, v65
	ds_store_2addr_b64 v88, v[4:5], v[6:7] offset1:32
	s_waitcnt vmcnt(3)
	ds_store_b128 v44, v[89:92]
	s_waitcnt vmcnt(2)
	ds_store_b128 v45, v[93:96]
	;; [unrolled: 2-line block ×4, first 2 shown]
	v_cndmask_b32_e32 v9, 0x7f800000, v61, vcc_lo
	s_waitcnt lgkmcnt(0)
	s_barrier
	buffer_gl0_inv
	ds_load_2addr_b64 v[4:7], v43 offset1:32
	ds_load_b128 v[61:64], v42
	v_add_f32_e32 v72, v66, v10
	v_cvt_f16_f32_e32 v10, v9
	v_add_co_u32 v184, vcc_lo, s19, v23
	v_add_co_ci_u32_e32 v185, vcc_lo, s20, v24, vcc_lo
	s_delay_alu instid0(VALU_DEP_4) | instskip(NEXT) | instid1(VALU_DEP_4)
	v_fmac_f32_e32 v72, v8, v9
	v_pk_mul_f16 v74, v10, v51 op_sel_hi:[0,1]
	v_pk_mul_f16 v104, v10, v52 op_sel_hi:[0,1]
	;; [unrolled: 1-line block ×4, first 2 shown]
	ds_load_b128 v[8:11], v42 offset:16
	ds_load_b128 v[49:52], v42 offset:32
	ds_load_b128 v[65:68], v42 offset:48
	ds_load_2addr_b64 v[80:83], v43 offset0:64 offset1:96
	ds_load_2addr_b64 v[84:87], v43 offset0:128 offset1:160
	;; [unrolled: 1-line block ×3, first 2 shown]
	ds_load_2addr_b64 v[92:95], v73 offset1:32
	ds_load_2addr_b64 v[96:99], v73 offset0:64 offset1:96
	ds_load_2addr_b64 v[100:103], v73 offset0:128 offset1:160
	v_add_co_u32 v186, vcc_lo, s19, v25
	v_add_co_ci_u32_e32 v187, vcc_lo, s20, v26, vcc_lo
	v_add_co_u32 v184, vcc_lo, v184, v41
	v_add_co_ci_u32_e32 v185, vcc_lo, 0, v185, vcc_lo
	s_waitcnt lgkmcnt(9)
	v_pk_mul_f16 v114, v4, v61 op_sel_hi:[1,0]
	v_pk_mul_f16 v115, v4, v61 op_sel:[0,1]
	v_pk_mul_f16 v116, v4, v62 op_sel_hi:[1,0]
	v_pk_fma_f16 v4, v4, v62, v74 op_sel:[0,1,0]
	v_pk_fma_f16 v74, v5, v61, v109 op_sel_hi:[1,0,1]
	v_pk_fma_f16 v109, v5, v61, v111 op_sel:[0,1,0]
	v_pk_fma_f16 v56, v5, v62, v56 op_sel_hi:[1,0,1]
	;; [unrolled: 2-line block ×7, first 2 shown]
	v_pk_fma_f16 v57, v106, v57, v115 op_sel_hi:[0,1,1]
	v_pk_fma_f16 v53, v107, v53, v116 op_sel_hi:[0,1,1]
	s_waitcnt lgkmcnt(5)
	v_pk_fma_f16 v4, v80, v64, v4 op_sel:[0,1,0]
	v_pk_fma_f16 v61, v81, v63, v74 op_sel_hi:[1,0,1]
	v_pk_fma_f16 v62, v81, v63, v109 op_sel:[0,1,0]
	v_pk_fma_f16 v56, v81, v64, v56 op_sel_hi:[1,0,1]
	v_pk_fma_f16 v5, v81, v64, v5 op_sel:[0,1,0]
	v_pk_fma_f16 v74, v82, v63, v104 op_sel_hi:[1,0,1]
	v_pk_fma_f16 v59, v82, v63, v59 op_sel:[0,1,0]
	v_pk_fma_f16 v6, v82, v64, v6 op_sel:[0,1,0]
	v_pk_fma_f16 v81, v83, v63, v108 op_sel_hi:[1,0,1]
	v_pk_fma_f16 v58, v83, v63, v58 op_sel:[0,1,0]
	v_pk_fma_f16 v7, v83, v64, v7 op_sel:[0,1,0]
	v_pk_fma_f16 v60, v80, v63, v60 op_sel_hi:[1,0,1]
	v_pk_fma_f16 v57, v80, v63, v57 op_sel:[0,1,0]
	v_pk_fma_f16 v54, v82, v64, v54 op_sel_hi:[1,0,1]
	v_pk_fma_f16 v55, v83, v64, v55 op_sel_hi:[1,0,1]
	v_pk_fma_f16 v53, v80, v64, v53 op_sel_hi:[1,0,1]
	s_waitcnt lgkmcnt(4)
	v_pk_fma_f16 v4, v84, v9, v4 op_sel:[0,1,0]
	v_pk_fma_f16 v61, v85, v8, v61 op_sel_hi:[1,0,1]
	v_pk_fma_f16 v62, v85, v8, v62 op_sel:[0,1,0]
	v_pk_fma_f16 v56, v85, v9, v56 op_sel_hi:[1,0,1]
	v_pk_fma_f16 v5, v85, v9, v5 op_sel:[0,1,0]
	v_pk_fma_f16 v63, v86, v8, v74 op_sel_hi:[1,0,1]
	v_pk_fma_f16 v59, v86, v8, v59 op_sel:[0,1,0]
	v_pk_fma_f16 v6, v86, v9, v6 op_sel:[0,1,0]
	v_pk_fma_f16 v64, v87, v8, v81 op_sel_hi:[1,0,1]
	v_pk_fma_f16 v58, v87, v8, v58 op_sel:[0,1,0]
	v_pk_fma_f16 v7, v87, v9, v7 op_sel:[0,1,0]
	v_pk_fma_f16 v60, v84, v8, v60 op_sel_hi:[1,0,1]
	v_pk_fma_f16 v8, v84, v8, v57 op_sel:[0,1,0]
	v_pk_fma_f16 v54, v86, v9, v54 op_sel_hi:[1,0,1]
	;; [unrolled: 17-line block ×3, first 2 shown]
	v_pk_fma_f16 v55, v91, v11, v55 op_sel_hi:[1,0,1]
	v_pk_fma_f16 v9, v88, v11, v9 op_sel_hi:[1,0,1]
	s_waitcnt lgkmcnt(2)
	v_pk_fma_f16 v4, v92, v50, v4 op_sel:[0,1,0]
	v_pk_fma_f16 v10, v93, v49, v53 op_sel_hi:[1,0,1]
	v_pk_fma_f16 v11, v93, v49, v57 op_sel:[0,1,0]
	v_pk_fma_f16 v53, v93, v50, v56 op_sel_hi:[1,0,1]
	;; [unrolled: 2-line block ×3, first 2 shown]
	v_pk_fma_f16 v57, v94, v49, v59 op_sel:[0,1,0]
	v_pk_fma_f16 v6, v94, v50, v6 op_sel:[0,1,0]
	v_pk_fma_f16 v59, v95, v49, v62 op_sel_hi:[1,0,1]
	v_pk_fma_f16 v58, v95, v49, v58 op_sel:[0,1,0]
	v_pk_fma_f16 v60, v92, v49, v60 op_sel_hi:[1,0,1]
	v_pk_fma_f16 v8, v92, v49, v8 op_sel:[0,1,0]
	v_pk_fma_f16 v7, v95, v50, v7 op_sel:[0,1,0]
	v_pk_fma_f16 v54, v94, v50, v54 op_sel_hi:[1,0,1]
	v_pk_fma_f16 v55, v95, v50, v55 op_sel_hi:[1,0,1]
	;; [unrolled: 1-line block ×3, first 2 shown]
	s_waitcnt lgkmcnt(1)
	v_pk_fma_f16 v49, v96, v52, v4 op_sel:[0,1,0]
	v_pk_fma_f16 v50, v96, v51, v60 op_sel_hi:[1,0,1]
	v_pk_fma_f16 v8, v96, v51, v8 op_sel:[0,1,0]
	v_pk_fma_f16 v10, v97, v51, v10 op_sel_hi:[1,0,1]
	v_pk_fma_f16 v11, v97, v51, v11 op_sel:[0,1,0]
	v_pk_fma_f16 v60, v97, v52, v5 op_sel:[0,1,0]
	v_pk_fma_f16 v56, v98, v51, v56 op_sel_hi:[1,0,1]
	v_pk_fma_f16 v57, v98, v51, v57 op_sel:[0,1,0]
	;; [unrolled: 3-line block ×3, first 2 shown]
	v_pk_fma_f16 v58, v99, v52, v7 op_sel:[0,1,0]
	ds_load_2addr_b64 v[4:7], v73 offset0:192 offset1:224
	v_pk_fma_f16 v9, v96, v52, v9 op_sel_hi:[1,0,1]
	v_pk_fma_f16 v53, v97, v52, v53 op_sel_hi:[1,0,1]
	;; [unrolled: 1-line block ×4, first 2 shown]
	s_waitcnt lgkmcnt(1)
	v_pk_fma_f16 v62, v100, v65, v50 op_sel_hi:[1,0,1]
	v_add_nc_u32_e32 v50, 0x1000, v43
	v_pk_fma_f16 v63, v100, v65, v8 op_sel:[0,1,0]
	v_pk_fma_f16 v64, v100, v66, v9 op_sel_hi:[1,0,1]
	v_pk_fma_f16 v74, v101, v65, v10 op_sel_hi:[1,0,1]
	v_pk_fma_f16 v80, v101, v65, v11 op_sel:[0,1,0]
	v_pk_fma_f16 v81, v101, v66, v53 op_sel_hi:[1,0,1]
	v_pk_fma_f16 v56, v102, v65, v56 op_sel_hi:[1,0,1]
	;; [unrolled: 3-line block ×3, first 2 shown]
	v_pk_fma_f16 v65, v103, v65, v51 op_sel:[0,1,0]
	v_pk_fma_f16 v55, v103, v66, v55 op_sel_hi:[1,0,1]
	ds_load_2addr_b64 v[8:11], v50 offset1:32
	ds_load_b128 v[51:54], v42 offset:64
	v_pk_fma_f16 v49, v100, v66, v49 op_sel:[0,1,0]
	v_pk_fma_f16 v60, v101, v66, v60 op_sel:[0,1,0]
	;; [unrolled: 1-line block ×4, first 2 shown]
	s_waitcnt lgkmcnt(2)
	v_pk_fma_f16 v62, v4, v67, v62 op_sel_hi:[1,0,1]
	v_pk_fma_f16 v63, v4, v67, v63 op_sel:[0,1,0]
	v_pk_fma_f16 v74, v5, v67, v74 op_sel_hi:[1,0,1]
	v_pk_fma_f16 v80, v5, v67, v80 op_sel:[0,1,0]
	v_pk_fma_f16 v83, v6, v67, v56 op_sel_hi:[1,0,1]
	v_pk_fma_f16 v84, v6, v67, v57 op_sel:[0,1,0]
	v_pk_fma_f16 v59, v7, v67, v59 op_sel_hi:[1,0,1]
	v_pk_fma_f16 v65, v7, v67, v65 op_sel:[0,1,0]
	v_pk_fma_f16 v67, v7, v68, v55 op_sel_hi:[1,0,1]
	ds_load_2addr_b64 v[55:58], v50 offset0:64 offset1:96
	v_pk_fma_f16 v64, v4, v68, v64 op_sel_hi:[1,0,1]
	v_pk_fma_f16 v49, v4, v68, v49 op_sel:[0,1,0]
	v_pk_fma_f16 v81, v5, v68, v81 op_sel_hi:[1,0,1]
	v_pk_fma_f16 v60, v5, v68, v60 op_sel:[0,1,0]
	;; [unrolled: 2-line block ×3, first 2 shown]
	v_pk_fma_f16 v66, v7, v68, v66 op_sel:[0,1,0]
	ds_load_b128 v[4:7], v42 offset:80
	s_waitcnt lgkmcnt(2)
	v_pk_fma_f16 v68, v8, v51, v62 op_sel_hi:[1,0,1]
	v_pk_fma_f16 v63, v8, v51, v63 op_sel:[0,1,0]
	v_pk_fma_f16 v64, v8, v52, v64 op_sel_hi:[1,0,1]
	v_pk_fma_f16 v8, v8, v52, v49 op_sel:[0,1,0]
	;; [unrolled: 2-line block ×6, first 2 shown]
	v_pk_fma_f16 v84, v11, v51, v59 op_sel_hi:[1,0,1]
	ds_load_2addr_b64 v[59:62], v50 offset0:128 offset1:160
	v_pk_fma_f16 v51, v11, v51, v65 op_sel:[0,1,0]
	v_pk_fma_f16 v65, v11, v52, v67 op_sel_hi:[1,0,1]
	v_pk_fma_f16 v52, v11, v52, v66 op_sel:[0,1,0]
	s_waitcnt lgkmcnt(2)
	v_pk_fma_f16 v66, v55, v53, v68 op_sel_hi:[1,0,1]
	v_pk_fma_f16 v63, v55, v53, v63 op_sel:[0,1,0]
	v_pk_fma_f16 v64, v55, v54, v64 op_sel_hi:[1,0,1]
	v_pk_fma_f16 v55, v55, v54, v8 op_sel:[0,1,0]
	v_pk_fma_f16 v49, v56, v53, v49 op_sel_hi:[1,0,1]
	v_pk_fma_f16 v67, v56, v53, v74 op_sel:[0,1,0]
	v_pk_fma_f16 v68, v56, v54, v80 op_sel_hi:[1,0,1]
	v_pk_fma_f16 v56, v56, v54, v9 op_sel:[0,1,0]
	v_pk_fma_f16 v74, v57, v53, v81 op_sel_hi:[1,0,1]
	v_pk_fma_f16 v80, v57, v53, v83 op_sel:[0,1,0]
	v_pk_fma_f16 v81, v57, v54, v82 op_sel_hi:[1,0,1]
	v_pk_fma_f16 v57, v57, v54, v10 op_sel:[0,1,0]
	ds_load_2addr_b64 v[8:11], v50 offset0:192 offset1:224
	v_add_co_u32 v188, vcc_lo, v186, v41
	v_add_co_ci_u32_e32 v189, vcc_lo, 0, v187, vcc_lo
	v_add_co_u32 v186, vcc_lo, s19, v27
	v_add_co_ci_u32_e32 v187, vcc_lo, s20, v28, vcc_lo
	v_pk_fma_f16 v82, v58, v53, v84 op_sel_hi:[1,0,1]
	v_pk_fma_f16 v51, v58, v53, v51 op_sel:[0,1,0]
	v_pk_fma_f16 v53, v58, v54, v65 op_sel_hi:[1,0,1]
	v_pk_fma_f16 v52, v58, v54, v52 op_sel:[0,1,0]
	s_waitcnt lgkmcnt(1)
	v_pk_fma_f16 v54, v59, v4, v66 op_sel_hi:[1,0,1]
	v_pk_fma_f16 v58, v59, v4, v63 op_sel:[0,1,0]
	v_pk_fma_f16 v63, v59, v5, v64 op_sel_hi:[1,0,1]
	v_pk_fma_f16 v55, v59, v5, v55 op_sel:[0,1,0]
	v_pk_fma_f16 v49, v60, v4, v49 op_sel_hi:[1,0,1]
	v_add_co_u32 v190, vcc_lo, s19, v29
	v_add_co_ci_u32_e32 v191, vcc_lo, s20, v30, vcc_lo
	v_add_co_u32 v192, vcc_lo, v186, v41
	v_pk_fma_f16 v200, v60, v4, v67 op_sel:[0,1,0]
	v_pk_fma_f16 v68, v60, v5, v68 op_sel_hi:[1,0,1]
	v_pk_fma_f16 v201, v60, v5, v56 op_sel:[0,1,0]
	v_pk_fma_f16 v74, v61, v4, v74 op_sel_hi:[1,0,1]
	;; [unrolled: 2-line block ×4, first 2 shown]
	v_pk_fma_f16 v206, v62, v4, v51 op_sel:[0,1,0]
	v_add_nc_u32_e32 v51, 0x1800, v43
	v_pk_fma_f16 v207, v62, v5, v53 op_sel_hi:[1,0,1]
	v_pk_fma_f16 v208, v62, v5, v52 op_sel:[0,1,0]
	s_waitcnt lgkmcnt(0)
	v_pk_fma_f16 v209, v8, v6, v54 op_sel_hi:[1,0,1]
	v_pk_fma_f16 v210, v8, v6, v58 op_sel:[0,1,0]
	v_pk_fma_f16 v211, v8, v7, v63 op_sel_hi:[1,0,1]
	v_pk_fma_f16 v212, v8, v7, v55 op_sel:[0,1,0]
	v_pk_fma_f16 v213, v9, v6, v49 op_sel_hi:[1,0,1]
	v_add_nc_u32_e32 v49, 0x2000, v43
	v_add_nc_u32_e32 v8, 0x2800, v43
	;; [unrolled: 1-line block ×4, first 2 shown]
	v_add_co_ci_u32_e32 v193, vcc_lo, 0, v187, vcc_lo
	v_add_co_u32 v196, vcc_lo, v190, v41
	v_add_co_ci_u32_e32 v197, vcc_lo, 0, v191, vcc_lo
	ds_load_2addr_b64 v[52:55], v51 offset1:32
	ds_load_2addr_b64 v[56:59], v51 offset0:64 offset1:96
	ds_load_2addr_b64 v[60:63], v51 offset0:128 offset1:160
	ds_load_b128 v[64:67], v42 offset:96
	ds_load_b128 v[80:83], v42 offset:112
	ds_load_2addr_b64 v[84:87], v51 offset0:192 offset1:224
	ds_load_2addr_b64 v[88:91], v49 offset1:32
	ds_load_2addr_b64 v[92:95], v49 offset0:64 offset1:96
	ds_load_2addr_b64 v[96:99], v49 offset0:128 offset1:160
	ds_load_b128 v[100:103], v42 offset:128
	ds_load_b128 v[104:107], v42 offset:144
	ds_load_2addr_b64 v[108:111], v49 offset0:192 offset1:224
	;; [unrolled: 6-line block ×5, first 2 shown]
	s_waitcnt lgkmcnt(0)
	s_barrier
	buffer_gl0_inv
	s_clause 0x3
	global_load_b128 v[184:187], v[184:185], off
	global_load_b128 v[188:191], v[188:189], off
	;; [unrolled: 1-line block ×4, first 2 shown]
	v_pk_fma_f16 v200, v9, v6, v200 op_sel:[0,1,0]
	v_pk_fma_f16 v68, v9, v7, v68 op_sel_hi:[1,0,1]
	v_pk_fma_f16 v9, v9, v7, v201 op_sel:[0,1,0]
	v_pk_fma_f16 v74, v10, v6, v74 op_sel_hi:[1,0,1]
	;; [unrolled: 2-line block ×20, first 2 shown]
	v_pk_fma_f16 v58, v59, v67, v64 op_sel_hi:[1,0,1]
	v_pk_fma_f16 v6, v59, v66, v6 op_sel:[0,1,0]
	v_pk_fma_f16 v7, v59, v67, v7 op_sel:[0,1,0]
	;; [unrolled: 1-line block ×3, first 2 shown]
	v_pk_fma_f16 v59, v60, v81, v65 op_sel_hi:[1,0,1]
	v_pk_fma_f16 v52, v60, v81, v52 op_sel:[0,1,0]
	v_pk_fma_f16 v56, v61, v80, v56 op_sel_hi:[1,0,1]
	v_pk_fma_f16 v53, v62, v80, v53 op_sel_hi:[1,0,1]
	v_pk_fma_f16 v57, v62, v80, v57 op_sel:[0,1,0]
	v_pk_fma_f16 v54, v63, v80, v54 op_sel_hi:[1,0,1]
	v_pk_fma_f16 v58, v63, v81, v58 op_sel_hi:[1,0,1]
	;; [unrolled: 1-line block ×3, first 2 shown]
	v_pk_fma_f16 v60, v61, v80, v200 op_sel:[0,1,0]
	v_pk_fma_f16 v64, v61, v81, v68 op_sel_hi:[1,0,1]
	v_pk_fma_f16 v9, v61, v81, v9 op_sel:[0,1,0]
	v_pk_fma_f16 v61, v62, v81, v74 op_sel_hi:[1,0,1]
	;; [unrolled: 2-line block ×4, first 2 shown]
	v_pk_fma_f16 v53, v86, v82, v53 op_sel_hi:[1,0,1]
	v_pk_fma_f16 v57, v86, v82, v57 op_sel:[0,1,0]
	v_pk_fma_f16 v54, v87, v82, v54 op_sel_hi:[1,0,1]
	v_pk_fma_f16 v58, v87, v83, v58 op_sel_hi:[1,0,1]
	v_pk_fma_f16 v10, v62, v81, v10 op_sel:[0,1,0]
	v_pk_fma_f16 v60, v85, v82, v60 op_sel:[0,1,0]
	v_pk_fma_f16 v62, v85, v83, v64 op_sel_hi:[1,0,1]
	v_pk_fma_f16 v61, v86, v83, v61 op_sel_hi:[1,0,1]
	v_pk_fma_f16 v55, v88, v100, v55 op_sel:[0,1,0]
	v_pk_fma_f16 v59, v88, v101, v59 op_sel_hi:[1,0,1]
	v_pk_fma_f16 v52, v88, v101, v52 op_sel:[0,1,0]
	v_pk_fma_f16 v56, v89, v100, v56 op_sel_hi:[1,0,1]
	v_pk_fma_f16 v53, v90, v100, v53 op_sel_hi:[1,0,1]
	v_pk_fma_f16 v57, v90, v100, v57 op_sel:[0,1,0]
	v_pk_fma_f16 v54, v91, v100, v54 op_sel_hi:[1,0,1]
	v_pk_fma_f16 v58, v91, v101, v58 op_sel_hi:[1,0,1]
	v_pk_fma_f16 v60, v89, v100, v60 op_sel:[0,1,0]
	v_pk_fma_f16 v62, v89, v101, v62 op_sel_hi:[1,0,1]
	v_pk_fma_f16 v61, v90, v101, v61 op_sel_hi:[1,0,1]
	v_pk_fma_f16 v6, v63, v80, v6 op_sel:[0,1,0]
	v_pk_fma_f16 v7, v63, v81, v7 op_sel:[0,1,0]
	v_pk_fma_f16 v11, v84, v82, v11 op_sel_hi:[1,0,1]
	v_pk_fma_f16 v9, v85, v83, v9 op_sel:[0,1,0]
	v_pk_fma_f16 v10, v86, v83, v10 op_sel:[0,1,0]
	v_pk_fma_f16 v55, v92, v102, v55 op_sel:[0,1,0]
	v_pk_fma_f16 v59, v92, v103, v59 op_sel_hi:[1,0,1]
	v_pk_fma_f16 v52, v92, v103, v52 op_sel:[0,1,0]
	v_pk_fma_f16 v56, v93, v102, v56 op_sel_hi:[1,0,1]
	v_pk_fma_f16 v53, v94, v102, v53 op_sel_hi:[1,0,1]
	v_pk_fma_f16 v57, v94, v102, v57 op_sel:[0,1,0]
	v_pk_fma_f16 v54, v95, v102, v54 op_sel_hi:[1,0,1]
	v_pk_fma_f16 v58, v95, v103, v58 op_sel_hi:[1,0,1]
	v_pk_fma_f16 v60, v93, v102, v60 op_sel:[0,1,0]
	v_pk_fma_f16 v62, v93, v103, v62 op_sel_hi:[1,0,1]
	v_pk_fma_f16 v61, v94, v103, v61 op_sel_hi:[1,0,1]
	v_pk_fma_f16 v6, v87, v82, v6 op_sel:[0,1,0]
	v_pk_fma_f16 v7, v87, v83, v7 op_sel:[0,1,0]
	v_pk_fma_f16 v11, v88, v100, v11 op_sel_hi:[1,0,1]
	v_pk_fma_f16 v9, v89, v101, v9 op_sel:[0,1,0]
	v_pk_fma_f16 v10, v90, v101, v10 op_sel:[0,1,0]
	;; [unrolled: 16-line block ×14, first 2 shown]
	v_pk_fma_f16 v63, v168, v176, v55 op_sel:[0,1,0]
	v_pk_fma_f16 v64, v168, v177, v59 op_sel_hi:[1,0,1]
	v_pk_fma_f16 v65, v168, v177, v52 op_sel:[0,1,0]
	v_pk_fma_f16 v66, v169, v176, v56 op_sel_hi:[1,0,1]
	v_pk_fma_f16 v67, v170, v176, v53 op_sel_hi:[1,0,1]
	v_pk_fma_f16 v68, v170, v176, v57 op_sel:[0,1,0]
	v_pk_fma_f16 v74, v171, v176, v54 op_sel_hi:[1,0,1]
	v_pk_fma_f16 v80, v171, v177, v58 op_sel_hi:[1,0,1]
	s_waitcnt vmcnt(3)
	ds_store_b128 v44, v[184:187]
	s_waitcnt vmcnt(2)
	ds_store_b128 v45, v[188:191]
	;; [unrolled: 2-line block ×4, first 2 shown]
	s_waitcnt lgkmcnt(0)
	s_barrier
	buffer_gl0_inv
	ds_load_2addr_b64 v[52:55], v43 offset1:32
	ds_load_b128 v[56:59], v42 offset:256
	v_pk_fma_f16 v60, v169, v176, v60 op_sel:[0,1,0]
	v_pk_fma_f16 v62, v169, v177, v62 op_sel_hi:[1,0,1]
	v_pk_fma_f16 v61, v170, v177, v61 op_sel_hi:[1,0,1]
	v_pk_fma_f16 v6, v163, v172, v6 op_sel:[0,1,0]
	v_pk_fma_f16 v7, v163, v173, v7 op_sel:[0,1,0]
	v_pk_fma_f16 v11, v164, v174, v11 op_sel_hi:[1,0,1]
	v_pk_fma_f16 v9, v165, v175, v9 op_sel:[0,1,0]
	v_pk_fma_f16 v10, v166, v175, v10 op_sel:[0,1,0]
	;; [unrolled: 1-line block ×3, first 2 shown]
	v_pk_fma_f16 v89, v180, v179, v64 op_sel_hi:[1,0,1]
	v_pk_fma_f16 v90, v180, v179, v65 op_sel:[0,1,0]
	v_pk_fma_f16 v91, v181, v178, v66 op_sel_hi:[1,0,1]
	v_pk_fma_f16 v92, v181, v178, v60 op_sel:[0,1,0]
	v_pk_fma_f16 v93, v181, v179, v62 op_sel_hi:[1,0,1]
	v_pk_fma_f16 v94, v182, v178, v67 op_sel_hi:[1,0,1]
	v_pk_fma_f16 v95, v182, v179, v61 op_sel_hi:[1,0,1]
	v_pk_fma_f16 v96, v183, v179, v80 op_sel_hi:[1,0,1]
	ds_load_b128 v[60:63], v42 offset:272
	ds_load_2addr_b64 v[64:67], v43 offset0:64 offset1:96
	ds_load_b128 v[80:83], v42 offset:288
	ds_load_b128 v[84:87], v42 offset:304
	v_pk_fma_f16 v6, v167, v174, v6 op_sel:[0,1,0]
	v_pk_fma_f16 v7, v167, v175, v7 op_sel:[0,1,0]
	v_pk_fma_f16 v11, v168, v176, v11 op_sel_hi:[1,0,1]
	v_pk_fma_f16 v9, v169, v177, v9 op_sel:[0,1,0]
	v_pk_fma_f16 v10, v170, v177, v10 op_sel:[0,1,0]
	;; [unrolled: 1-line block ×4, first 2 shown]
	v_pk_fma_f16 v11, v180, v178, v11 op_sel_hi:[1,0,1]
	v_pk_fma_f16 v9, v181, v179, v9 op_sel:[0,1,0]
	v_pk_fma_f16 v68, v182, v178, v68 op_sel:[0,1,0]
	;; [unrolled: 1-line block ×3, first 2 shown]
	v_pk_fma_f16 v74, v183, v178, v74 op_sel_hi:[1,0,1]
	v_pk_fma_f16 v6, v183, v178, v6 op_sel:[0,1,0]
	v_pk_fma_f16 v7, v183, v179, v7 op_sel:[0,1,0]
	s_waitcnt lgkmcnt(4)
	v_pk_fma_f16 v11, v52, v56, v11 op_sel_hi:[1,0,1]
	v_pk_fma_f16 v97, v52, v56, v88 op_sel:[0,1,0]
	v_pk_fma_f16 v98, v52, v57, v89 op_sel_hi:[1,0,1]
	v_pk_fma_f16 v52, v52, v57, v90 op_sel:[0,1,0]
	;; [unrolled: 2-line block ×6, first 2 shown]
	v_pk_fma_f16 v54, v55, v56, v74 op_sel_hi:[1,0,1]
	ds_load_2addr_b64 v[88:91], v43 offset0:128 offset1:160
	v_pk_fma_f16 v6, v55, v56, v6 op_sel:[0,1,0]
	v_pk_fma_f16 v56, v55, v57, v96 op_sel_hi:[1,0,1]
	v_pk_fma_f16 v7, v55, v57, v7 op_sel:[0,1,0]
	s_waitcnt lgkmcnt(3)
	v_pk_fma_f16 v11, v64, v58, v11 op_sel_hi:[1,0,1]
	v_pk_fma_f16 v57, v64, v58, v97 op_sel:[0,1,0]
	v_pk_fma_f16 v74, v64, v59, v98 op_sel_hi:[1,0,1]
	v_pk_fma_f16 v64, v64, v59, v52 op_sel:[0,1,0]
	;; [unrolled: 2-line block ×6, first 2 shown]
	v_pk_fma_f16 v66, v67, v58, v54 op_sel_hi:[1,0,1]
	ds_load_2addr_b64 v[52:55], v43 offset0:192 offset1:224
	v_pk_fma_f16 v6, v67, v58, v6 op_sel:[0,1,0]
	v_pk_fma_f16 v96, v67, v59, v56 op_sel_hi:[1,0,1]
	v_pk_fma_f16 v7, v67, v59, v7 op_sel:[0,1,0]
	s_waitcnt lgkmcnt(1)
	v_pk_fma_f16 v11, v88, v60, v11 op_sel_hi:[1,0,1]
	v_pk_fma_f16 v67, v88, v60, v57 op_sel:[0,1,0]
	v_pk_fma_f16 v74, v88, v61, v74 op_sel_hi:[1,0,1]
	v_pk_fma_f16 v64, v88, v61, v64 op_sel:[0,1,0]
	v_pk_fma_f16 v88, v89, v60, v95 op_sel_hi:[1,0,1]
	v_pk_fma_f16 v92, v89, v60, v92 op_sel:[0,1,0]
	v_pk_fma_f16 v93, v89, v61, v93 op_sel_hi:[1,0,1]
	v_pk_fma_f16 v9, v89, v61, v9 op_sel:[0,1,0]
	v_pk_fma_f16 v65, v90, v60, v65 op_sel_hi:[1,0,1]
	v_pk_fma_f16 v68, v90, v60, v68 op_sel:[0,1,0]
	v_pk_fma_f16 v89, v90, v61, v94 op_sel_hi:[1,0,1]
	v_pk_fma_f16 v10, v90, v61, v10 op_sel:[0,1,0]
	v_pk_fma_f16 v66, v91, v60, v66 op_sel_hi:[1,0,1]
	ds_load_2addr_b64 v[56:59], v73 offset1:32
	v_pk_fma_f16 v6, v91, v60, v6 op_sel:[0,1,0]
	v_pk_fma_f16 v60, v91, v61, v96 op_sel_hi:[1,0,1]
	v_pk_fma_f16 v7, v91, v61, v7 op_sel:[0,1,0]
	s_waitcnt lgkmcnt(1)
	v_pk_fma_f16 v11, v52, v62, v11 op_sel_hi:[1,0,1]
	v_pk_fma_f16 v61, v52, v62, v67 op_sel:[0,1,0]
	v_pk_fma_f16 v74, v52, v63, v74 op_sel_hi:[1,0,1]
	v_pk_fma_f16 v52, v52, v63, v64 op_sel:[0,1,0]
	v_pk_fma_f16 v88, v53, v62, v88 op_sel_hi:[1,0,1]
	v_pk_fma_f16 v90, v53, v62, v92 op_sel:[0,1,0]
	v_pk_fma_f16 v91, v53, v63, v93 op_sel_hi:[1,0,1]
	v_pk_fma_f16 v9, v53, v63, v9 op_sel:[0,1,0]
	v_pk_fma_f16 v53, v54, v62, v65 op_sel_hi:[1,0,1]
	v_pk_fma_f16 v68, v54, v62, v68 op_sel:[0,1,0]
	v_pk_fma_f16 v89, v54, v63, v89 op_sel_hi:[1,0,1]
	v_pk_fma_f16 v10, v54, v63, v10 op_sel:[0,1,0]
	v_pk_fma_f16 v54, v55, v62, v66 op_sel_hi:[1,0,1]
	ds_load_2addr_b64 v[64:67], v73 offset0:64 offset1:96
	v_pk_fma_f16 v6, v55, v62, v6 op_sel:[0,1,0]
	v_pk_fma_f16 v60, v55, v63, v60 op_sel_hi:[1,0,1]
	v_pk_fma_f16 v7, v55, v63, v7 op_sel:[0,1,0]
	s_waitcnt lgkmcnt(1)
	v_pk_fma_f16 v11, v56, v80, v11 op_sel_hi:[1,0,1]
	v_pk_fma_f16 v61, v56, v80, v61 op_sel:[0,1,0]
	v_pk_fma_f16 v62, v56, v81, v74 op_sel_hi:[1,0,1]
	v_pk_fma_f16 v56, v56, v81, v52 op_sel:[0,1,0]
	v_pk_fma_f16 v63, v57, v80, v88 op_sel_hi:[1,0,1]
	v_pk_fma_f16 v74, v57, v80, v90 op_sel:[0,1,0]
	v_pk_fma_f16 v88, v57, v81, v91 op_sel_hi:[1,0,1]
	v_pk_fma_f16 v9, v57, v81, v9 op_sel:[0,1,0]
	v_pk_fma_f16 v57, v58, v80, v53 op_sel_hi:[1,0,1]
	v_pk_fma_f16 v68, v58, v80, v68 op_sel:[0,1,0]
	v_pk_fma_f16 v89, v58, v81, v89 op_sel_hi:[1,0,1]
	v_pk_fma_f16 v10, v58, v81, v10 op_sel:[0,1,0]
	v_pk_fma_f16 v58, v59, v80, v54 op_sel_hi:[1,0,1]
	ds_load_2addr_b64 v[52:55], v73 offset0:128 offset1:160
	;; [unrolled: 18-line block ×3, first 2 shown]
	v_pk_fma_f16 v6, v67, v82, v6 op_sel:[0,1,0]
	v_pk_fma_f16 v60, v67, v83, v60 op_sel_hi:[1,0,1]
	v_pk_fma_f16 v7, v67, v83, v7 op_sel:[0,1,0]
	s_waitcnt lgkmcnt(1)
	v_pk_fma_f16 v11, v52, v84, v11 op_sel_hi:[1,0,1]
	v_pk_fma_f16 v73, v52, v84, v61 op_sel:[0,1,0]
	v_pk_fma_f16 v82, v52, v85, v62 op_sel_hi:[1,0,1]
	v_pk_fma_f16 v52, v52, v85, v64 op_sel:[0,1,0]
	;; [unrolled: 2-line block ×7, first 2 shown]
	v_pk_fma_f16 v84, v55, v85, v60 op_sel_hi:[1,0,1]
	ds_load_2addr_b64 v[60:63], v50 offset1:32
	ds_load_b128 v[64:67], v42 offset:320
	v_pk_fma_f16 v7, v55, v85, v7 op_sel:[0,1,0]
	s_waitcnt lgkmcnt(2)
	v_pk_fma_f16 v85, v56, v87, v52 op_sel:[0,1,0]
	v_pk_fma_f16 v88, v58, v86, v53 op_sel_hi:[1,0,1]
	v_pk_fma_f16 v89, v59, v86, v54 op_sel_hi:[1,0,1]
	ds_load_2addr_b64 v[52:55], v50 offset0:64 offset1:96
	v_pk_fma_f16 v11, v56, v86, v11 op_sel_hi:[1,0,1]
	v_pk_fma_f16 v73, v56, v86, v73 op_sel:[0,1,0]
	v_pk_fma_f16 v82, v56, v87, v82 op_sel_hi:[1,0,1]
	v_pk_fma_f16 v83, v57, v86, v83 op_sel_hi:[1,0,1]
	v_pk_fma_f16 v74, v57, v86, v74 op_sel:[0,1,0]
	v_pk_fma_f16 v80, v57, v87, v80 op_sel_hi:[1,0,1]
	v_pk_fma_f16 v9, v57, v87, v9 op_sel:[0,1,0]
	v_pk_fma_f16 v68, v58, v86, v68 op_sel:[0,1,0]
	v_pk_fma_f16 v81, v58, v87, v81 op_sel_hi:[1,0,1]
	v_pk_fma_f16 v10, v58, v87, v10 op_sel:[0,1,0]
	;; [unrolled: 3-line block ×3, first 2 shown]
	ds_load_b128 v[56:59], v42 offset:336
	s_waitcnt lgkmcnt(2)
	v_pk_fma_f16 v11, v60, v64, v11 op_sel_hi:[1,0,1]
	v_pk_fma_f16 v73, v60, v64, v73 op_sel:[0,1,0]
	v_pk_fma_f16 v86, v60, v65, v82 op_sel_hi:[1,0,1]
	v_pk_fma_f16 v60, v60, v65, v85 op_sel:[0,1,0]
	;; [unrolled: 2-line block ×6, first 2 shown]
	v_pk_fma_f16 v62, v63, v64, v89 op_sel_hi:[1,0,1]
	ds_load_2addr_b64 v[80:83], v50 offset0:128 offset1:160
	v_pk_fma_f16 v6, v63, v64, v6 op_sel:[0,1,0]
	v_pk_fma_f16 v64, v63, v65, v84 op_sel_hi:[1,0,1]
	v_pk_fma_f16 v7, v63, v65, v7 op_sel:[0,1,0]
	s_waitcnt lgkmcnt(2)
	v_pk_fma_f16 v11, v52, v66, v11 op_sel_hi:[1,0,1]
	v_pk_fma_f16 v65, v52, v66, v73 op_sel:[0,1,0]
	v_pk_fma_f16 v73, v52, v67, v86 op_sel_hi:[1,0,1]
	v_pk_fma_f16 v52, v52, v67, v60 op_sel:[0,1,0]
	;; [unrolled: 2-line block ×6, first 2 shown]
	v_pk_fma_f16 v54, v55, v66, v62 op_sel_hi:[1,0,1]
	ds_load_2addr_b64 v[60:63], v50 offset0:192 offset1:224
	v_pk_fma_f16 v6, v55, v66, v6 op_sel:[0,1,0]
	v_pk_fma_f16 v64, v55, v67, v64 op_sel_hi:[1,0,1]
	v_pk_fma_f16 v7, v55, v67, v7 op_sel:[0,1,0]
	s_waitcnt lgkmcnt(1)
	v_pk_fma_f16 v11, v80, v56, v11 op_sel_hi:[1,0,1]
	v_pk_fma_f16 v50, v80, v56, v65 op_sel:[0,1,0]
	v_pk_fma_f16 v73, v80, v57, v73 op_sel_hi:[1,0,1]
	v_pk_fma_f16 v80, v80, v57, v52 op_sel:[0,1,0]
	;; [unrolled: 2-line block ×7, first 2 shown]
	v_pk_fma_f16 v56, v83, v57, v64 op_sel_hi:[1,0,1]
	ds_load_2addr_b64 v[52:55], v51 offset1:32
	ds_load_b128 v[64:67], v42 offset:352
	v_pk_fma_f16 v7, v83, v57, v7 op_sel:[0,1,0]
	s_waitcnt lgkmcnt(2)
	v_pk_fma_f16 v11, v60, v58, v11 op_sel_hi:[1,0,1]
	v_pk_fma_f16 v50, v60, v58, v50 op_sel:[0,1,0]
	v_pk_fma_f16 v73, v60, v59, v73 op_sel_hi:[1,0,1]
	v_pk_fma_f16 v60, v60, v59, v80 op_sel:[0,1,0]
	v_pk_fma_f16 v84, v61, v58, v84 op_sel_hi:[1,0,1]
	v_pk_fma_f16 v74, v61, v58, v74 op_sel:[0,1,0]
	v_pk_fma_f16 v85, v61, v59, v85 op_sel_hi:[1,0,1]
	v_pk_fma_f16 v9, v61, v59, v9 op_sel:[0,1,0]
	v_pk_fma_f16 v61, v62, v58, v81 op_sel_hi:[1,0,1]
	v_pk_fma_f16 v68, v62, v58, v68 op_sel:[0,1,0]
	v_pk_fma_f16 v86, v62, v59, v86 op_sel_hi:[1,0,1]
	v_pk_fma_f16 v10, v62, v59, v10 op_sel:[0,1,0]
	v_pk_fma_f16 v62, v63, v58, v82 op_sel_hi:[1,0,1]
	ds_load_2addr_b64 v[80:83], v51 offset0:64 offset1:96
	v_pk_fma_f16 v6, v63, v58, v6 op_sel:[0,1,0]
	v_pk_fma_f16 v87, v63, v59, v56 op_sel_hi:[1,0,1]
	v_pk_fma_f16 v7, v63, v59, v7 op_sel:[0,1,0]
	ds_load_b128 v[56:59], v42 offset:368
	s_waitcnt lgkmcnt(2)
	v_pk_fma_f16 v11, v52, v64, v11 op_sel_hi:[1,0,1]
	v_pk_fma_f16 v50, v52, v64, v50 op_sel:[0,1,0]
	v_pk_fma_f16 v73, v52, v65, v73 op_sel_hi:[1,0,1]
	v_pk_fma_f16 v52, v52, v65, v60 op_sel:[0,1,0]
	;; [unrolled: 2-line block ×6, first 2 shown]
	v_pk_fma_f16 v54, v55, v64, v62 op_sel_hi:[1,0,1]
	ds_load_2addr_b64 v[60:63], v51 offset0:128 offset1:160
	v_pk_fma_f16 v6, v55, v64, v6 op_sel:[0,1,0]
	v_pk_fma_f16 v64, v55, v65, v87 op_sel_hi:[1,0,1]
	v_pk_fma_f16 v7, v55, v65, v7 op_sel:[0,1,0]
	s_waitcnt lgkmcnt(2)
	v_pk_fma_f16 v11, v80, v66, v11 op_sel_hi:[1,0,1]
	v_pk_fma_f16 v55, v80, v66, v50 op_sel:[0,1,0]
	v_pk_fma_f16 v65, v80, v67, v73 op_sel_hi:[1,0,1]
	v_pk_fma_f16 v73, v80, v67, v52 op_sel:[0,1,0]
	v_pk_fma_f16 v80, v81, v66, v84 op_sel_hi:[1,0,1]
	v_pk_fma_f16 v74, v81, v66, v74 op_sel:[0,1,0]
	v_pk_fma_f16 v84, v81, v67, v85 op_sel_hi:[1,0,1]
	v_pk_fma_f16 v9, v81, v67, v9 op_sel:[0,1,0]
	v_pk_fma_f16 v81, v82, v66, v53 op_sel_hi:[1,0,1]
	ds_load_2addr_b64 v[50:53], v51 offset0:192 offset1:224
	v_pk_fma_f16 v68, v82, v66, v68 op_sel:[0,1,0]
	v_pk_fma_f16 v54, v83, v66, v54 op_sel_hi:[1,0,1]
	v_pk_fma_f16 v6, v83, v66, v6 op_sel:[0,1,0]
	v_pk_fma_f16 v64, v83, v67, v64 op_sel_hi:[1,0,1]
	v_pk_fma_f16 v85, v82, v67, v86 op_sel_hi:[1,0,1]
	v_pk_fma_f16 v10, v82, v67, v10 op_sel:[0,1,0]
	v_pk_fma_f16 v7, v83, v67, v7 op_sel:[0,1,0]
	s_waitcnt lgkmcnt(1)
	v_pk_fma_f16 v11, v60, v56, v11 op_sel_hi:[1,0,1]
	v_pk_fma_f16 v55, v60, v56, v55 op_sel:[0,1,0]
	v_pk_fma_f16 v86, v60, v57, v65 op_sel_hi:[1,0,1]
	v_pk_fma_f16 v60, v60, v57, v73 op_sel:[0,1,0]
	;; [unrolled: 2-line block ×6, first 2 shown]
	v_pk_fma_f16 v56, v63, v57, v64 op_sel_hi:[1,0,1]
	ds_load_2addr_b64 v[64:67], v49 offset1:32
	ds_load_b128 v[80:83], v42 offset:384
	v_pk_fma_f16 v85, v62, v57, v85 op_sel_hi:[1,0,1]
	v_pk_fma_f16 v10, v62, v57, v10 op_sel:[0,1,0]
	v_pk_fma_f16 v7, v63, v57, v7 op_sel:[0,1,0]
	s_waitcnt lgkmcnt(2)
	v_pk_fma_f16 v62, v50, v58, v55 op_sel:[0,1,0]
	v_pk_fma_f16 v63, v50, v59, v86 op_sel_hi:[1,0,1]
	v_pk_fma_f16 v86, v53, v58, v54 op_sel_hi:[1,0,1]
	;; [unrolled: 1-line block ×3, first 2 shown]
	ds_load_2addr_b64 v[54:57], v49 offset0:64 offset1:96
	v_pk_fma_f16 v11, v50, v58, v11 op_sel_hi:[1,0,1]
	v_pk_fma_f16 v60, v50, v59, v60 op_sel:[0,1,0]
	v_pk_fma_f16 v73, v51, v58, v73 op_sel_hi:[1,0,1]
	v_pk_fma_f16 v74, v51, v58, v74 op_sel:[0,1,0]
	;; [unrolled: 2-line block ×5, first 2 shown]
	v_pk_fma_f16 v6, v53, v58, v6 op_sel:[0,1,0]
	v_pk_fma_f16 v7, v53, v59, v7 op_sel:[0,1,0]
	ds_load_b128 v[50:53], v42 offset:400
	s_waitcnt lgkmcnt(2)
	v_pk_fma_f16 v11, v64, v80, v11 op_sel_hi:[1,0,1]
	v_pk_fma_f16 v62, v64, v80, v62 op_sel:[0,1,0]
	v_pk_fma_f16 v63, v64, v81, v63 op_sel_hi:[1,0,1]
	v_pk_fma_f16 v64, v64, v81, v60 op_sel:[0,1,0]
	;; [unrolled: 2-line block ×4, first 2 shown]
	v_pk_fma_f16 v65, v66, v80, v61 op_sel_hi:[1,0,1]
	ds_load_2addr_b64 v[58:61], v49 offset0:128 offset1:160
	v_pk_fma_f16 v68, v66, v80, v68 op_sel:[0,1,0]
	v_pk_fma_f16 v85, v66, v81, v85 op_sel_hi:[1,0,1]
	v_pk_fma_f16 v10, v66, v81, v10 op_sel:[0,1,0]
	v_pk_fma_f16 v66, v67, v80, v86 op_sel_hi:[1,0,1]
	;; [unrolled: 2-line block ×3, first 2 shown]
	v_pk_fma_f16 v7, v67, v81, v7 op_sel:[0,1,0]
	s_waitcnt lgkmcnt(2)
	v_pk_fma_f16 v11, v54, v82, v11 op_sel_hi:[1,0,1]
	v_pk_fma_f16 v67, v54, v82, v62 op_sel:[0,1,0]
	v_pk_fma_f16 v81, v54, v83, v63 op_sel_hi:[1,0,1]
	v_pk_fma_f16 v54, v54, v83, v64 op_sel:[0,1,0]
	;; [unrolled: 2-line block ×4, first 2 shown]
	v_pk_fma_f16 v55, v56, v82, v65 op_sel_hi:[1,0,1]
	ds_load_2addr_b64 v[62:65], v49 offset0:192 offset1:224
	v_pk_fma_f16 v68, v56, v82, v68 op_sel:[0,1,0]
	v_pk_fma_f16 v85, v56, v83, v85 op_sel_hi:[1,0,1]
	v_pk_fma_f16 v10, v56, v83, v10 op_sel:[0,1,0]
	v_pk_fma_f16 v56, v57, v82, v66 op_sel_hi:[1,0,1]
	;; [unrolled: 2-line block ×3, first 2 shown]
	v_pk_fma_f16 v7, v57, v83, v7 op_sel:[0,1,0]
	s_waitcnt lgkmcnt(1)
	v_pk_fma_f16 v11, v58, v50, v11 op_sel_hi:[1,0,1]
	v_pk_fma_f16 v49, v58, v50, v67 op_sel:[0,1,0]
	v_pk_fma_f16 v67, v58, v51, v81 op_sel_hi:[1,0,1]
	v_pk_fma_f16 v58, v58, v51, v54 op_sel:[0,1,0]
	v_pk_fma_f16 v73, v59, v50, v73 op_sel_hi:[1,0,1]
	v_pk_fma_f16 v74, v59, v50, v74 op_sel:[0,1,0]
	v_pk_fma_f16 v84, v59, v51, v84 op_sel_hi:[1,0,1]
	v_pk_fma_f16 v9, v59, v51, v9 op_sel:[0,1,0]
	v_pk_fma_f16 v59, v60, v50, v55 op_sel_hi:[1,0,1]
	v_pk_fma_f16 v68, v60, v50, v68 op_sel:[0,1,0]
	v_pk_fma_f16 v85, v60, v51, v85 op_sel_hi:[1,0,1]
	v_pk_fma_f16 v10, v60, v51, v10 op_sel:[0,1,0]
	v_pk_fma_f16 v60, v61, v50, v56 op_sel_hi:[1,0,1]
	v_pk_fma_f16 v6, v61, v50, v6 op_sel:[0,1,0]
	v_pk_fma_f16 v50, v61, v51, v66 op_sel_hi:[1,0,1]
	ds_load_2addr_b64 v[54:57], v8 offset1:32
	ds_load_b128 v[80:83], v42 offset:416
	v_pk_fma_f16 v7, v61, v51, v7 op_sel:[0,1,0]
	s_waitcnt lgkmcnt(2)
	v_pk_fma_f16 v11, v62, v52, v11 op_sel_hi:[1,0,1]
	v_pk_fma_f16 v66, v62, v52, v49 op_sel:[0,1,0]
	v_pk_fma_f16 v73, v63, v52, v73 op_sel_hi:[1,0,1]
	v_pk_fma_f16 v74, v63, v52, v74 op_sel:[0,1,0]
	;; [unrolled: 2-line block ×6, first 2 shown]
	v_pk_fma_f16 v86, v65, v53, v50 op_sel_hi:[1,0,1]
	ds_load_2addr_b64 v[49:52], v8 offset0:64 offset1:96
	v_pk_fma_f16 v67, v62, v53, v67 op_sel_hi:[1,0,1]
	v_pk_fma_f16 v62, v62, v53, v58 op_sel:[0,1,0]
	v_pk_fma_f16 v7, v65, v53, v7 op_sel:[0,1,0]
	ds_load_b128 v[58:61], v42 offset:432
	s_waitcnt lgkmcnt(2)
	v_pk_fma_f16 v11, v54, v80, v11 op_sel_hi:[1,0,1]
	v_pk_fma_f16 v65, v54, v80, v66 op_sel:[0,1,0]
	v_pk_fma_f16 v66, v54, v81, v67 op_sel_hi:[1,0,1]
	v_pk_fma_f16 v62, v54, v81, v62 op_sel:[0,1,0]
	v_pk_fma_f16 v67, v55, v80, v73 op_sel_hi:[1,0,1]
	v_pk_fma_f16 v73, v55, v80, v74 op_sel:[0,1,0]
	v_pk_fma_f16 v74, v55, v81, v84 op_sel_hi:[1,0,1]
	v_pk_fma_f16 v9, v55, v81, v9 op_sel:[0,1,0]
	v_pk_fma_f16 v63, v56, v80, v63 op_sel_hi:[1,0,1]
	v_pk_fma_f16 v68, v56, v80, v68 op_sel:[0,1,0]
	v_pk_fma_f16 v84, v56, v81, v85 op_sel_hi:[1,0,1]
	v_pk_fma_f16 v10, v56, v81, v10 op_sel:[0,1,0]
	v_pk_fma_f16 v64, v57, v80, v64 op_sel_hi:[1,0,1]
	v_pk_fma_f16 v6, v57, v80, v6 op_sel:[0,1,0]
	ds_load_2addr_b64 v[53:56], v8 offset0:128 offset1:160
	v_pk_fma_f16 v80, v57, v81, v86 op_sel_hi:[1,0,1]
	v_pk_fma_f16 v57, v57, v81, v7 op_sel:[0,1,0]
	s_waitcnt lgkmcnt(2)
	v_pk_fma_f16 v11, v49, v82, v11 op_sel_hi:[1,0,1]
	v_pk_fma_f16 v65, v49, v82, v65 op_sel:[0,1,0]
	v_pk_fma_f16 v66, v49, v83, v66 op_sel_hi:[1,0,1]
	v_pk_fma_f16 v49, v49, v83, v62 op_sel:[0,1,0]
	;; [unrolled: 2-line block ×7, first 2 shown]
	ds_load_2addr_b64 v[6:9], v8 offset0:192 offset1:224
	v_pk_fma_f16 v80, v52, v83, v80 op_sel_hi:[1,0,1]
	v_pk_fma_f16 v57, v52, v83, v57 op_sel:[0,1,0]
	s_waitcnt lgkmcnt(1)
	v_pk_fma_f16 v11, v53, v58, v11 op_sel_hi:[1,0,1]
	v_pk_fma_f16 v81, v53, v58, v65 op_sel:[0,1,0]
	v_pk_fma_f16 v66, v53, v59, v66 op_sel_hi:[1,0,1]
	v_pk_fma_f16 v53, v53, v59, v49 op_sel:[0,1,0]
	;; [unrolled: 2-line block ×7, first 2 shown]
	ds_load_2addr_b64 v[49:52], v5 offset1:32
	ds_load_b128 v[62:65], v42 offset:448
	v_pk_fma_f16 v80, v56, v59, v80 op_sel_hi:[1,0,1]
	v_pk_fma_f16 v57, v56, v59, v57 op_sel:[0,1,0]
	s_waitcnt lgkmcnt(2)
	v_pk_fma_f16 v59, v6, v60, v81 op_sel:[0,1,0]
	v_pk_fma_f16 v81, v6, v61, v53 op_sel:[0,1,0]
	;; [unrolled: 1-line block ×3, first 2 shown]
	v_pk_fma_f16 v85, v9, v60, v55 op_sel_hi:[1,0,1]
	ds_load_2addr_b64 v[53:56], v5 offset0:64 offset1:96
	v_pk_fma_f16 v11, v6, v60, v11 op_sel_hi:[1,0,1]
	v_pk_fma_f16 v66, v6, v61, v66 op_sel_hi:[1,0,1]
	;; [unrolled: 1-line block ×3, first 2 shown]
	v_pk_fma_f16 v67, v7, v60, v67 op_sel:[0,1,0]
	v_pk_fma_f16 v73, v7, v61, v73 op_sel_hi:[1,0,1]
	v_pk_fma_f16 v83, v8, v60, v83 op_sel_hi:[1,0,1]
	v_pk_fma_f16 v68, v8, v60, v68 op_sel:[0,1,0]
	v_pk_fma_f16 v74, v8, v61, v74 op_sel_hi:[1,0,1]
	v_pk_fma_f16 v10, v8, v61, v10 op_sel:[0,1,0]
	v_pk_fma_f16 v58, v9, v60, v58 op_sel:[0,1,0]
	v_pk_fma_f16 v80, v9, v61, v80 op_sel_hi:[1,0,1]
	v_pk_fma_f16 v61, v9, v61, v57 op_sel:[0,1,0]
	ds_load_b128 v[6:9], v42 offset:464
	s_waitcnt lgkmcnt(2)
	v_pk_fma_f16 v11, v49, v62, v11 op_sel_hi:[1,0,1]
	v_pk_fma_f16 v86, v49, v62, v59 op_sel:[0,1,0]
	v_pk_fma_f16 v66, v49, v63, v66 op_sel_hi:[1,0,1]
	v_pk_fma_f16 v49, v49, v63, v81 op_sel:[0,1,0]
	;; [unrolled: 2-line block ×7, first 2 shown]
	ds_load_2addr_b64 v[57:60], v5 offset0:128 offset1:160
	v_pk_fma_f16 v80, v52, v63, v80 op_sel_hi:[1,0,1]
	v_pk_fma_f16 v61, v52, v63, v61 op_sel:[0,1,0]
	s_waitcnt lgkmcnt(2)
	v_pk_fma_f16 v11, v53, v64, v11 op_sel_hi:[1,0,1]
	v_pk_fma_f16 v63, v53, v64, v86 op_sel:[0,1,0]
	v_pk_fma_f16 v66, v53, v65, v66 op_sel_hi:[1,0,1]
	v_pk_fma_f16 v53, v53, v65, v49 op_sel:[0,1,0]
	;; [unrolled: 2-line block ×6, first 2 shown]
	v_pk_fma_f16 v55, v56, v64, v51 op_sel_hi:[1,0,1]
	ds_load_2addr_b64 v[49:52], v5 offset0:192 offset1:224
	v_pk_fma_f16 v62, v56, v64, v62 op_sel:[0,1,0]
	v_pk_fma_f16 v64, v56, v65, v80 op_sel_hi:[1,0,1]
	v_pk_fma_f16 v5, v56, v65, v61 op_sel:[0,1,0]
	s_waitcnt lgkmcnt(1)
	v_pk_fma_f16 v11, v57, v6, v11 op_sel_hi:[1,0,1]
	v_pk_fma_f16 v65, v57, v6, v63 op_sel:[0,1,0]
	v_pk_fma_f16 v66, v57, v7, v66 op_sel_hi:[1,0,1]
	v_pk_fma_f16 v57, v57, v7, v53 op_sel:[0,1,0]
	;; [unrolled: 2-line block ×7, first 2 shown]
	v_pk_fma_f16 v82, v60, v7, v64 op_sel_hi:[1,0,1]
	ds_load_2addr_b64 v[53:56], v4 offset1:32
	ds_load_b128 v[61:64], v42 offset:480
	v_pk_fma_f16 v60, v60, v7, v5 op_sel:[0,1,0]
	s_waitcnt lgkmcnt(2)
	v_pk_fma_f16 v11, v49, v8, v11 op_sel_hi:[1,0,1]
	v_pk_fma_f16 v83, v49, v8, v65 op_sel:[0,1,0]
	v_pk_fma_f16 v84, v49, v9, v66 op_sel_hi:[1,0,1]
	v_pk_fma_f16 v49, v49, v9, v57 op_sel:[0,1,0]
	;; [unrolled: 2-line block ×7, first 2 shown]
	ds_load_2addr_b64 v[5:8], v4 offset0:64 offset1:96
	v_pk_fma_f16 v82, v52, v9, v82 op_sel_hi:[1,0,1]
	v_pk_fma_f16 v9, v52, v9, v60 op_sel:[0,1,0]
	ds_load_b128 v[65:68], v42 offset:496
	s_waitcnt lgkmcnt(2)
	v_pk_fma_f16 v11, v53, v61, v11 op_sel_hi:[1,0,1]
	v_pk_fma_f16 v60, v53, v61, v83 op_sel:[0,1,0]
	v_pk_fma_f16 v83, v53, v62, v84 op_sel_hi:[1,0,1]
	v_pk_fma_f16 v53, v53, v62, v49 op_sel:[0,1,0]
	;; [unrolled: 2-line block ×6, first 2 shown]
	v_pk_fma_f16 v55, v56, v61, v51 op_sel_hi:[1,0,1]
	ds_load_2addr_b64 v[49:52], v4 offset0:128 offset1:160
	v_pk_fma_f16 v59, v56, v61, v59 op_sel:[0,1,0]
	v_pk_fma_f16 v61, v56, v62, v82 op_sel_hi:[1,0,1]
	v_pk_fma_f16 v9, v56, v62, v9 op_sel:[0,1,0]
	s_waitcnt lgkmcnt(2)
	v_pk_fma_f16 v11, v5, v63, v11 op_sel_hi:[1,0,1]
	v_pk_fma_f16 v56, v5, v63, v60 op_sel:[0,1,0]
	v_pk_fma_f16 v60, v5, v64, v83 op_sel_hi:[1,0,1]
	v_pk_fma_f16 v53, v5, v64, v53 op_sel:[0,1,0]
	;; [unrolled: 2-line block ×6, first 2 shown]
	ds_load_2addr_b64 v[4:7], v4 offset0:192 offset1:224
	s_waitcnt lgkmcnt(0)
	s_barrier
	buffer_gl0_inv
	s_load_b32 s19, s[4:5], 0x4
	v_pk_fma_f16 v55, v8, v63, v55 op_sel_hi:[1,0,1]
	v_pk_fma_f16 v59, v8, v63, v59 op_sel:[0,1,0]
	v_pk_fma_f16 v61, v8, v64, v61 op_sel_hi:[1,0,1]
	v_pk_fma_f16 v8, v8, v64, v9 op_sel:[0,1,0]
	;; [unrolled: 2-line block ×10, first 2 shown]
	s_waitcnt lgkmcnt(0)
	s_lshl_b32 s19, s19, 6
	v_pk_fma_f16 v60, v4, v67, v9 op_sel_hi:[1,0,1]
	v_pk_fma_f16 v57, v4, v67, v11 op_sel:[0,1,0]
	v_pk_fma_f16 v53, v4, v68, v56 op_sel_hi:[1,0,1]
	v_pk_fma_f16 v51, v4, v68, v49 op_sel:[0,1,0]
	;; [unrolled: 2-line block ×8, first 2 shown]
	s_add_i32 s3, s19, s3
	s_delay_alu instid0(SALU_CYCLE_1)
	s_cmp_ge_i32 s3, s2
	s_cbranch_scc1 .LBB58_43
; %bb.42:                               ;   in Loop: Header=BB58_9 Depth=1
	v_dual_mov_b32 v66, v0 :: v_dual_mov_b32 v67, v1
	v_dual_mov_b32 v68, v2 :: v_dual_mov_b32 v65, v3
	;; [unrolled: 1-line block ×4, first 2 shown]
	s_branch .LBB58_9
.LBB58_43:
	v_mov_b32_e32 v7, v33
.LBB58_44:
	v_cmp_lt_i32_e32 vcc_lo, v79, v34
	s_cmp_lg_u64 s[24:25], 0
	s_cselect_b32 s2, -1, 0
	s_cmp_eq_u32 s14, 0
	v_cndmask_b32_e32 v4, v7, v79, vcc_lo
	v_cmp_lt_i32_e32 vcc_lo, v78, v34
	s_cselect_b32 s3, -1, 0
	s_delay_alu instid0(SALU_CYCLE_1) | instskip(SKIP_2) | instid1(VALU_DEP_2)
	s_and_b32 s2, s3, s2
	v_cndmask_b32_e32 v9, v7, v78, vcc_lo
	v_cmp_lt_i32_e32 vcc_lo, v77, v34
	v_lshlrev_b32_e32 v9, 2, v9
	v_dual_cndmask_b32 v15, v7, v77 :: v_dual_lshlrev_b32 v4, 2, v4
	v_cmp_lt_i32_e32 vcc_lo, v76, v34
	ds_bpermute_b32 v5, v4, v69
	v_lshlrev_b32_e32 v15, 2, v15
	s_waitcnt lgkmcnt(0)
	v_add_f32_e32 v5, v69, v5
	ds_bpermute_b32 v6, v4, v70
	ds_bpermute_b32 v8, v4, v71
	;; [unrolled: 1-line block ×4, first 2 shown]
	s_waitcnt lgkmcnt(3)
	v_add_f32_e32 v6, v70, v6
	s_waitcnt lgkmcnt(2)
	v_add_f32_e32 v8, v71, v8
	;; [unrolled: 2-line block ×3, first 2 shown]
	ds_bpermute_b32 v11, v9, v6
	ds_bpermute_b32 v14, v9, v8
	;; [unrolled: 1-line block ×3, first 2 shown]
	s_waitcnt lgkmcnt(2)
	v_dual_add_f32 v5, v5, v10 :: v_dual_add_f32 v6, v6, v11
	s_waitcnt lgkmcnt(1)
	v_add_f32_e32 v8, v8, v14
	s_waitcnt lgkmcnt(0)
	v_add_f32_e32 v4, v4, v9
	ds_bpermute_b32 v9, v15, v5
	ds_bpermute_b32 v10, v15, v6
	;; [unrolled: 1-line block ×4, first 2 shown]
	v_cndmask_b32_e32 v15, v7, v76, vcc_lo
	v_cmp_lt_i32_e32 vcc_lo, v75, v34
	s_delay_alu instid0(VALU_DEP_2)
	v_lshlrev_b32_e32 v15, 2, v15
	v_cndmask_b32_e32 v7, v7, v75, vcc_lo
	s_and_b32 vcc_lo, exec_lo, s2
	s_waitcnt lgkmcnt(2)
	v_dual_add_f32 v5, v5, v9 :: v_dual_add_f32 v6, v6, v10
	s_waitcnt lgkmcnt(0)
	v_add_f32_e32 v4, v4, v14
	ds_bpermute_b32 v9, v15, v5
	v_add_f32_e32 v8, v8, v11
	ds_bpermute_b32 v10, v15, v6
	v_lshlrev_b32_e32 v7, 2, v7
	ds_bpermute_b32 v14, v15, v4
	s_waitcnt lgkmcnt(2)
	v_add_f32_e32 v5, v5, v9
	ds_bpermute_b32 v11, v15, v8
	s_waitcnt lgkmcnt(2)
	v_add_f32_e32 v6, v6, v10
	s_waitcnt lgkmcnt(1)
	v_add_f32_e32 v9, v4, v14
	ds_bpermute_b32 v4, v7, v5
	ds_bpermute_b32 v10, v7, v6
	s_waitcnt lgkmcnt(2)
	v_add_f32_e32 v8, v8, v11
	s_waitcnt lgkmcnt(0)
	v_dual_add_f32 v4, v5, v4 :: v_dual_add_f32 v5, v6, v10
	ds_bpermute_b32 v11, v7, v8
	ds_bpermute_b32 v7, v7, v9
	s_waitcnt lgkmcnt(1)
	v_add_f32_e32 v6, v8, v11
	s_waitcnt lgkmcnt(0)
	v_add_f32_e32 v7, v9, v7
	s_cbranch_vccz .LBB58_47
; %bb.45:
	v_dual_max_f32 v15, v1, v1 :: v_dual_add_nc_u32 v8, s15, v32
	s_delay_alu instid0(VALU_DEP_1) | instskip(NEXT) | instid1(VALU_DEP_1)
	v_ashrrev_i32_e32 v9, 31, v8
	v_lshlrev_b64 v[8:9], 2, v[8:9]
	s_delay_alu instid0(VALU_DEP_1) | instskip(NEXT) | instid1(VALU_DEP_2)
	v_add_co_u32 v8, vcc_lo, s24, v8
	v_add_co_ci_u32_e32 v9, vcc_lo, s25, v9, vcc_lo
	global_load_b128 v[8:11], v[8:9], off
	v_max_f32_e32 v14, v0, v0
	s_waitcnt vmcnt(0)
	v_dual_max_f32 v16, v2, v2 :: v_dual_max_f32 v17, v8, v8
	v_dual_max_f32 v19, v9, v9 :: v_dual_max_f32 v20, v10, v10
	s_delay_alu instid0(VALU_DEP_2) | instskip(NEXT) | instid1(VALU_DEP_2)
	v_dual_max_f32 v21, v11, v11 :: v_dual_max_f32 v14, v14, v17
	v_dual_max_f32 v15, v15, v19 :: v_dual_max_f32 v16, v16, v20
	v_max_f32_e32 v18, v3, v3
	s_delay_alu instid0(VALU_DEP_2) | instskip(SKIP_1) | instid1(VALU_DEP_3)
	v_dual_sub_f32 v8, v8, v14 :: v_dual_sub_f32 v9, v9, v15
	v_sub_f32_e32 v19, v1, v15
	v_dual_max_f32 v17, v18, v21 :: v_dual_sub_f32 v18, v0, v14
	v_sub_f32_e32 v10, v10, v16
	s_delay_alu instid0(VALU_DEP_2)
	v_dual_sub_f32 v20, v2, v16 :: v_dual_sub_f32 v21, v3, v17
	v_dual_mov_b32 v0, v14 :: v_dual_mov_b32 v1, v15
	v_dual_sub_f32 v11, v11, v17 :: v_dual_mov_b32 v2, v16
	v_mov_b32_e32 v3, v17
	v_dual_mul_f32 v15, 0x3fb8aa3b, v8 :: v_dual_mul_f32 v14, 0x3fb8aa3b, v18
	v_dual_mul_f32 v17, 0x3fb8aa3b, v9 :: v_dual_mul_f32 v16, 0x3fb8aa3b, v19
	v_mul_f32_e32 v23, 0x3fb8aa3b, v10
	s_delay_alu instid0(VALU_DEP_3) | instskip(NEXT) | instid1(VALU_DEP_4)
	v_fma_f32 v28, 0x3fb8aa3b, v8, -v15
	v_fma_f32 v26, 0x3fb8aa3b, v18, -v14
	v_rndne_f32_e32 v27, v14
	v_rndne_f32_e32 v29, v15
	;; [unrolled: 1-line block ×3, first 2 shown]
	v_fma_f32 v38, 0x3fb8aa3b, v10, -v23
	v_fmac_f32_e32 v26, 0x32a5705f, v18
	s_delay_alu instid0(VALU_DEP_4) | instskip(NEXT) | instid1(VALU_DEP_4)
	v_dual_fmac_f32 v28, 0x32a5705f, v8 :: v_dual_sub_f32 v15, v15, v29
	v_sub_f32_e32 v23, v23, v39
	v_sub_f32_e32 v14, v14, v27
	v_dual_mul_f32 v22, 0x3fb8aa3b, v20 :: v_dual_mul_f32 v25, 0x3fb8aa3b, v11
	s_delay_alu instid0(VALU_DEP_4) | instskip(SKIP_1) | instid1(VALU_DEP_4)
	v_add_f32_e32 v15, v15, v28
	v_fma_f32 v30, 0x3fb8aa3b, v19, -v16
	v_add_f32_e32 v14, v14, v26
	v_rndne_f32_e32 v33, v16
	v_fma_f32 v34, 0x3fb8aa3b, v9, -v17
	v_rndne_f32_e32 v35, v17
	v_fmac_f32_e32 v38, 0x32a5705f, v10
	v_exp_f32_e32 v14, v14
	v_mul_f32_e32 v24, 0x3fb8aa3b, v21
	v_rndne_f32_e32 v43, v25
	v_sub_f32_e32 v17, v17, v35
	v_cvt_i32_f32_e32 v27, v27
	v_sub_f32_e32 v16, v16, v33
	v_dual_fmac_f32 v34, 0x32a5705f, v9 :: v_dual_add_f32 v23, v23, v38
	v_fmac_f32_e32 v30, 0x32a5705f, v19
	v_exp_f32_e32 v15, v15
	v_fma_f32 v36, 0x3fb8aa3b, v20, -v22
	s_delay_alu instid0(VALU_DEP_3)
	v_add_f32_e32 v17, v17, v34
	v_rndne_f32_e32 v37, v22
	v_fma_f32 v42, 0x3fb8aa3b, v11, -v25
	v_cvt_i32_f32_e32 v29, v29
	v_dual_sub_f32 v25, v25, v43 :: v_dual_add_f32 v16, v16, v30
	v_ldexp_f32 v14, v14, v27
	v_cmp_ngt_f32_e32 vcc_lo, 0xc2ce8ed0, v18
	v_fmac_f32_e32 v42, 0x32a5705f, v11
	v_fmac_f32_e32 v36, 0x32a5705f, v20
	v_exp_f32_e32 v16, v16
	v_ldexp_f32 v15, v15, v29
	v_cndmask_b32_e32 v14, 0, v14, vcc_lo
	v_cmp_ngt_f32_e32 vcc_lo, 0xc2ce8ed0, v8
	v_sub_f32_e32 v22, v22, v37
	v_cvt_i32_f32_e32 v33, v33
	v_add_f32_e32 v25, v25, v42
	v_exp_f32_e32 v17, v17
	s_delay_alu instid0(VALU_DEP_3)
	v_dual_cndmask_b32 v15, 0, v15 :: v_dual_add_f32 v22, v22, v36
	v_cvt_i32_f32_e32 v35, v35
	v_ldexp_f32 v16, v16, v33
	v_cmp_ngt_f32_e32 vcc_lo, 0xc2ce8ed0, v19
	v_cvt_i32_f32_e32 v37, v37
	v_exp_f32_e32 v22, v22
	v_exp_f32_e32 v23, v23
	v_fma_f32 v40, 0x3fb8aa3b, v21, -v24
	s_delay_alu instid0(TRANS32_DEP_3)
	v_ldexp_f32 v17, v17, v35
	v_cndmask_b32_e32 v16, 0, v16, vcc_lo
	v_cmp_ngt_f32_e32 vcc_lo, 0xc2ce8ed0, v9
	v_rndne_f32_e32 v41, v24
	v_cvt_i32_f32_e32 v39, v39
	v_exp_f32_e32 v25, v25
	v_cvt_i32_f32_e32 v28, v43
	v_ldexp_f32 v22, v22, v37
	v_cndmask_b32_e32 v17, 0, v17, vcc_lo
	v_cmp_ngt_f32_e32 vcc_lo, 0xc2ce8ed0, v20
	v_sub_f32_e32 v24, v24, v41
	v_ldexp_f32 v23, v23, v39
	v_cvt_i32_f32_e32 v26, v41
	v_cndmask_b32_e32 v22, 0, v22, vcc_lo
	v_cmp_ngt_f32_e32 vcc_lo, 0xc2ce8ed0, v10
	v_fmac_f32_e32 v40, 0x32a5705f, v21
	v_ldexp_f32 v25, v25, v28
	s_delay_alu instid0(VALU_DEP_2) | instskip(SKIP_1) | instid1(VALU_DEP_2)
	v_dual_cndmask_b32 v23, 0, v23 :: v_dual_add_f32 v24, v24, v40
	v_cmp_ngt_f32_e32 vcc_lo, 0xc2ce8ed0, v21
	v_exp_f32_e32 v24, v24
	s_waitcnt_depctr 0xfff
	v_ldexp_f32 v24, v24, v26
	s_delay_alu instid0(VALU_DEP_1)
	v_cndmask_b32_e32 v24, 0, v24, vcc_lo
	v_cmp_ngt_f32_e32 vcc_lo, 0xc2ce8ed0, v11
	v_cndmask_b32_e32 v25, 0, v25, vcc_lo
	v_cmp_nlt_f32_e32 vcc_lo, 0x42b17218, v18
	v_cndmask_b32_e32 v14, 0x7f800000, v14, vcc_lo
	v_cmp_nlt_f32_e32 vcc_lo, 0x42b17218, v8
	;; [unrolled: 2-line block ×3, first 2 shown]
	s_delay_alu instid0(VALU_DEP_2) | instskip(SKIP_4) | instid1(VALU_DEP_3)
	v_dual_fmac_f32 v8, v4, v14 :: v_dual_cndmask_b32 v15, 0x7f800000, v16
	v_cmp_nlt_f32_e32 vcc_lo, 0x42b17218, v9
	v_cvt_f16_f32_e32 v4, v14
	v_cndmask_b32_e32 v9, 0x7f800000, v17, vcc_lo
	v_cmp_nlt_f32_e32 vcc_lo, 0x42b17218, v20
	v_pk_mul_f16 v60, v4, v60 op_sel_hi:[0,1]
	v_pk_mul_f16 v64, v4, v64 op_sel_hi:[0,1]
	;; [unrolled: 1-line block ×3, first 2 shown]
	v_dual_fmac_f32 v9, v5, v15 :: v_dual_cndmask_b32 v16, 0x7f800000, v22
	v_cmp_nlt_f32_e32 vcc_lo, 0x42b17218, v10
	v_cvt_f16_f32_e32 v5, v15
	v_pk_mul_f16 v63, v4, v63 op_sel_hi:[0,1]
	v_mov_b32_e32 v4, v8
	v_cndmask_b32_e32 v10, 0x7f800000, v23, vcc_lo
	v_cmp_nlt_f32_e32 vcc_lo, 0x42b17218, v21
	v_pk_mul_f16 v57, v5, v57 op_sel_hi:[0,1]
	v_pk_mul_f16 v61, v5, v61 op_sel_hi:[0,1]
	;; [unrolled: 1-line block ×3, first 2 shown]
	v_fmac_f32_e32 v10, v6, v16
	v_cndmask_b32_e32 v17, 0x7f800000, v24, vcc_lo
	v_cmp_nlt_f32_e32 vcc_lo, 0x42b17218, v11
	v_cvt_f16_f32_e32 v6, v16
	v_pk_mul_f16 v58, v5, v58 op_sel_hi:[0,1]
	v_mov_b32_e32 v5, v9
	v_cndmask_b32_e32 v11, 0x7f800000, v25, vcc_lo
	s_delay_alu instid0(VALU_DEP_4)
	v_pk_mul_f16 v53, v6, v53 op_sel_hi:[0,1]
	v_pk_mul_f16 v56, v6, v56 op_sel_hi:[0,1]
	;; [unrolled: 1-line block ×4, first 2 shown]
	v_fmac_f32_e32 v11, v7, v17
	v_cvt_f16_f32_e32 v7, v17
	v_mov_b32_e32 v6, v10
	s_delay_alu instid0(VALU_DEP_2)
	v_pk_mul_f16 v51, v7, v51 op_sel_hi:[0,1]
	v_pk_mul_f16 v52, v7, v52 op_sel_hi:[0,1]
	;; [unrolled: 1-line block ×4, first 2 shown]
	v_mov_b32_e32 v7, v11
	s_mov_b32 s2, exec_lo
	v_cmpx_gt_i32_e64 s6, v12
	s_cbranch_execnz .LBB58_48
.LBB58_46:
	s_nop 0
	s_sendmsg sendmsg(MSG_DEALLOC_VGPRS)
	s_endpgm
.LBB58_47:
	s_delay_alu instid0(VALU_DEP_1)
	v_dual_mov_b32 v11, v7 :: v_dual_mov_b32 v10, v6
	v_dual_mov_b32 v9, v5 :: v_dual_mov_b32 v8, v4
	s_mov_b32 s2, exec_lo
	v_cmpx_gt_i32_e64 s6, v12
	s_cbranch_execz .LBB58_46
.LBB58_48:
	s_load_b32 s1, s[0:1], 0xd4
	v_mov_b32_e32 v14, 1.0
	s_waitcnt lgkmcnt(0)
	s_cmp_lg_u32 s1, 1
	s_cselect_b32 s3, -1, 0
	s_cmp_eq_u32 s1, 1
	s_cselect_b32 s2, -1, 0
	s_and_b32 vcc_lo, exec_lo, s3
	s_cbranch_vccnz .LBB58_50
; %bb.49:
	v_div_scale_f32 v14, null, v4, v4, 1.0
	s_delay_alu instid0(VALU_DEP_1) | instskip(SKIP_2) | instid1(VALU_DEP_1)
	v_rcp_f32_e32 v15, v14
	s_waitcnt_depctr 0xfff
	v_fma_f32 v16, -v14, v15, 1.0
	v_fmac_f32_e32 v15, v16, v15
	v_div_scale_f32 v16, vcc_lo, 1.0, v4, 1.0
	s_delay_alu instid0(VALU_DEP_1) | instskip(NEXT) | instid1(VALU_DEP_1)
	v_mul_f32_e32 v17, v16, v15
	v_fma_f32 v18, -v14, v17, v16
	s_delay_alu instid0(VALU_DEP_1) | instskip(NEXT) | instid1(VALU_DEP_1)
	v_fmac_f32_e32 v17, v18, v15
	v_fma_f32 v14, -v14, v17, v16
	s_delay_alu instid0(VALU_DEP_1) | instskip(NEXT) | instid1(VALU_DEP_1)
	v_div_fmas_f32 v14, v14, v15, v17
	v_div_fixup_f32 v14, v14, v4, 1.0
.LBB58_50:
	v_mad_u64_u32 v[15:16], null, s12, s6, v[12:13]
	v_cmp_eq_u32_e32 vcc_lo, 0, v13
	v_cvt_f32_f16_e32 v16, v64
	v_lshrrev_b32_e32 v18, 16, v60
	v_mov_b32_e32 v24, 0
	v_lshrrev_b32_e32 v20, 16, v63
	v_cvt_f32_f16_e32 v19, v60
	v_mul_f32_e32 v17, v14, v16
	v_mul_lo_u32 v4, v15, s7
	v_lshrrev_b32_e32 v15, 16, v64
	v_cvt_f32_f16_e32 v22, v62
	v_cvt_f32_f16_e32 v16, v18
	;; [unrolled: 1-line block ×3, first 2 shown]
	s_delay_alu instid0(VALU_DEP_4)
	v_cvt_f32_f16_e32 v27, v15
	v_mul_f32_e32 v15, v14, v19
	v_add3_u32 v4, s15, v32, v4
	v_mul_f32_e32 v19, v14, v22
	v_mul_f32_e32 v22, v14, v20
	;; [unrolled: 1-line block ×4, first 2 shown]
	v_mad_u64_u32 v[12:13], null, s1, v4, s[14:15]
	v_cvt_f32_f16_e32 v4, v63
	v_lshrrev_b32_e32 v13, 16, v62
	s_delay_alu instid0(VALU_DEP_2) | instskip(NEXT) | instid1(VALU_DEP_4)
	v_mul_f32_e32 v21, v14, v4
	v_lshl_add_u32 v23, v12, 8, v31
	s_delay_alu instid0(VALU_DEP_3) | instskip(NEXT) | instid1(VALU_DEP_2)
	v_cvt_f32_f16_e32 v4, v13
	v_lshlrev_b64 v[25:26], 2, v[23:24]
	s_delay_alu instid0(VALU_DEP_2) | instskip(NEXT) | instid1(VALU_DEP_1)
	v_dual_mul_f32 v20, v14, v4 :: v_dual_add_nc_u32 v23, 0x80, v23
	v_lshlrev_b64 v[13:14], 2, v[23:24]
	s_delay_alu instid0(VALU_DEP_3) | instskip(NEXT) | instid1(VALU_DEP_1)
	v_add_co_u32 v23, s0, s28, v25
	v_add_co_ci_u32_e64 v24, s0, s29, v26, s0
	s_delay_alu instid0(VALU_DEP_3) | instskip(NEXT) | instid1(VALU_DEP_1)
	v_add_co_u32 v13, s0, s28, v13
	v_add_co_ci_u32_e64 v14, s0, s29, v14, s0
	s_and_b32 s0, vcc_lo, s3
	s_clause 0x1
	global_store_b128 v[23:24], v[15:18], off
	global_store_b128 v[13:14], v[19:22], off
	s_and_saveexec_b32 s3, s0
	s_cbranch_execz .LBB58_52
; %bb.51:
	v_ashrrev_i32_e32 v13, 31, v12
	v_mov_b32_e32 v15, v0
	v_mov_b32_e32 v16, v8
	s_delay_alu instid0(VALU_DEP_3) | instskip(NEXT) | instid1(VALU_DEP_1)
	v_lshlrev_b64 v[13:14], 3, v[12:13]
	v_add_co_u32 v13, vcc_lo, s30, v13
	s_delay_alu instid0(VALU_DEP_2)
	v_add_co_ci_u32_e32 v14, vcc_lo, s31, v14, vcc_lo
	global_store_b64 v[13:14], v[15:16], off
.LBB58_52:
	s_or_b32 exec_lo, exec_lo, s3
	v_cndmask_b32_e64 v13, 0, 1, s2
	v_mov_b32_e32 v0, 1.0
	s_and_not1_b32 vcc_lo, exec_lo, s2
	s_cbranch_vccnz .LBB58_54
; %bb.53:
	v_div_scale_f32 v0, null, v5, v5, 1.0
	s_delay_alu instid0(VALU_DEP_1) | instskip(SKIP_2) | instid1(VALU_DEP_1)
	v_rcp_f32_e32 v4, v0
	s_waitcnt_depctr 0xfff
	v_fma_f32 v8, -v0, v4, 1.0
	v_fmac_f32_e32 v4, v8, v4
	v_div_scale_f32 v8, vcc_lo, 1.0, v5, 1.0
	s_delay_alu instid0(VALU_DEP_1) | instskip(NEXT) | instid1(VALU_DEP_1)
	v_mul_f32_e32 v14, v8, v4
	v_fma_f32 v15, -v0, v14, v8
	s_delay_alu instid0(VALU_DEP_1) | instskip(NEXT) | instid1(VALU_DEP_1)
	v_fmac_f32_e32 v14, v15, v4
	v_fma_f32 v0, -v0, v14, v8
	s_delay_alu instid0(VALU_DEP_1) | instskip(NEXT) | instid1(VALU_DEP_1)
	v_div_fmas_f32 v0, v0, v4, v14
	v_div_fixup_f32 v0, v0, v5, 1.0
.LBB58_54:
	v_lshrrev_b32_e32 v5, 16, v61
	v_dual_mov_b32 v19, 0 :: v_dual_add_nc_u32 v4, s1, v12
	v_lshrrev_b32_e32 v8, 16, v57
	v_cvt_f32_f16_e32 v12, v61
	s_delay_alu instid0(VALU_DEP_4) | instskip(NEXT) | instid1(VALU_DEP_4)
	v_cvt_f32_f16_e32 v5, v5
	v_lshl_add_u32 v18, v4, 8, v31
	v_cvt_f32_f16_e32 v14, v57
	v_cvt_f32_f16_e32 v8, v8
	v_mul_f32_e32 v16, v0, v12
	v_mul_f32_e32 v17, v0, v5
	v_lshlrev_b64 v[20:21], 2, v[18:19]
	s_delay_alu instid0(VALU_DEP_4) | instskip(SKIP_3) | instid1(VALU_DEP_4)
	v_dual_mul_f32 v15, v0, v8 :: v_dual_add_nc_u32 v18, 0x80, v18
	v_lshrrev_b32_e32 v5, 16, v58
	v_lshrrev_b32_e32 v8, 16, v59
	v_cvt_f32_f16_e32 v12, v58
	v_lshlrev_b64 v[24:25], 2, v[18:19]
	v_add_co_u32 v22, vcc_lo, s28, v20
	v_cvt_f32_f16_e32 v5, v5
	v_cvt_f32_f16_e32 v8, v8
	;; [unrolled: 1-line block ×3, first 2 shown]
	v_add_co_ci_u32_e32 v23, vcc_lo, s29, v21, vcc_lo
	v_add_co_u32 v24, vcc_lo, s28, v24
	v_mul_f32_e32 v14, v0, v14
	v_mul_f32_e32 v21, v0, v5
	;; [unrolled: 1-line block ×5, first 2 shown]
	v_add_co_ci_u32_e32 v25, vcc_lo, s29, v25, vcc_lo
	s_clause 0x1
	global_store_b128 v[22:23], v[14:17], off
	global_store_b128 v[24:25], v[18:21], off
	s_and_saveexec_b32 s2, s0
	s_cbranch_execz .LBB58_56
; %bb.55:
	v_ashrrev_i32_e32 v5, 31, v4
	v_mov_b32_e32 v8, v1
	s_delay_alu instid0(VALU_DEP_2) | instskip(NEXT) | instid1(VALU_DEP_1)
	v_lshlrev_b64 v[14:15], 3, v[4:5]
	v_add_co_u32 v14, vcc_lo, s30, v14
	s_delay_alu instid0(VALU_DEP_2)
	v_add_co_ci_u32_e32 v15, vcc_lo, s31, v15, vcc_lo
	global_store_b64 v[14:15], v[8:9], off
.LBB58_56:
	s_or_b32 exec_lo, exec_lo, s2
	v_cmp_ne_u32_e32 vcc_lo, 1, v13
	v_mov_b32_e32 v1, 1.0
	s_cbranch_vccnz .LBB58_58
; %bb.57:
	v_div_scale_f32 v0, null, v6, v6, 1.0
	s_delay_alu instid0(VALU_DEP_1) | instskip(SKIP_2) | instid1(VALU_DEP_1)
	v_rcp_f32_e32 v1, v0
	s_waitcnt_depctr 0xfff
	v_fma_f32 v5, -v0, v1, 1.0
	v_fmac_f32_e32 v1, v5, v1
	v_div_scale_f32 v5, vcc_lo, 1.0, v6, 1.0
	s_delay_alu instid0(VALU_DEP_1) | instskip(NEXT) | instid1(VALU_DEP_1)
	v_mul_f32_e32 v8, v5, v1
	v_fma_f32 v9, -v0, v8, v5
	s_delay_alu instid0(VALU_DEP_1) | instskip(NEXT) | instid1(VALU_DEP_1)
	v_fmac_f32_e32 v8, v9, v1
	v_fma_f32 v0, -v0, v8, v5
	s_delay_alu instid0(VALU_DEP_1) | instskip(NEXT) | instid1(VALU_DEP_1)
	v_div_fmas_f32 v0, v0, v1, v8
	v_div_fixup_f32 v1, v0, v6, 1.0
.LBB58_58:
	v_lshrrev_b32_e32 v6, 16, v56
	v_dual_mov_b32 v5, 0 :: v_dual_add_nc_u32 v0, s1, v4
	v_lshrrev_b32_e32 v8, 16, v53
	v_cvt_f32_f16_e32 v9, v56
	s_delay_alu instid0(VALU_DEP_4) | instskip(NEXT) | instid1(VALU_DEP_4)
	v_cvt_f32_f16_e32 v6, v6
	v_lshl_add_u32 v4, v0, 8, v31
	v_cvt_f32_f16_e32 v14, v53
	v_cvt_f32_f16_e32 v12, v8
	v_mul_f32_e32 v16, v1, v9
	v_mul_f32_e32 v17, v1, v6
	v_lshlrev_b64 v[8:9], 2, v[4:5]
	v_add_nc_u32_e32 v4, 0x80, v4
	v_mul_f32_e32 v15, v1, v12
	v_lshrrev_b32_e32 v6, 16, v55
	v_lshrrev_b32_e32 v12, 16, v54
	v_cvt_f32_f16_e32 v18, v55
	v_lshlrev_b64 v[4:5], 2, v[4:5]
	v_add_co_u32 v8, vcc_lo, s28, v8
	v_cvt_f32_f16_e32 v6, v6
	v_cvt_f32_f16_e32 v12, v12
	;; [unrolled: 1-line block ×3, first 2 shown]
	v_add_co_ci_u32_e32 v9, vcc_lo, s29, v9, vcc_lo
	v_add_co_u32 v4, vcc_lo, s28, v4
	v_mul_f32_e32 v14, v1, v14
	v_mul_f32_e32 v21, v1, v6
	;; [unrolled: 1-line block ×5, first 2 shown]
	v_add_co_ci_u32_e32 v5, vcc_lo, s29, v5, vcc_lo
	s_clause 0x1
	global_store_b128 v[8:9], v[14:17], off
	global_store_b128 v[4:5], v[18:21], off
	s_and_saveexec_b32 s2, s0
	s_cbranch_execz .LBB58_60
; %bb.59:
	v_ashrrev_i32_e32 v1, 31, v0
	v_mov_b32_e32 v9, v2
	s_delay_alu instid0(VALU_DEP_2) | instskip(NEXT) | instid1(VALU_DEP_1)
	v_lshlrev_b64 v[4:5], 3, v[0:1]
	v_add_co_u32 v4, vcc_lo, s30, v4
	s_delay_alu instid0(VALU_DEP_2)
	v_add_co_ci_u32_e32 v5, vcc_lo, s31, v5, vcc_lo
	global_store_b64 v[4:5], v[9:10], off
.LBB58_60:
	s_or_b32 exec_lo, exec_lo, s2
	v_cmp_ne_u32_e32 vcc_lo, 1, v13
	v_mov_b32_e32 v1, 1.0
	s_cbranch_vccnz .LBB58_62
; %bb.61:
	v_div_scale_f32 v1, null, v7, v7, 1.0
	s_delay_alu instid0(VALU_DEP_1) | instskip(SKIP_2) | instid1(VALU_DEP_1)
	v_rcp_f32_e32 v2, v1
	s_waitcnt_depctr 0xfff
	v_fma_f32 v4, -v1, v2, 1.0
	v_fmac_f32_e32 v2, v4, v2
	v_div_scale_f32 v4, vcc_lo, 1.0, v7, 1.0
	s_delay_alu instid0(VALU_DEP_1) | instskip(NEXT) | instid1(VALU_DEP_1)
	v_mul_f32_e32 v5, v4, v2
	v_fma_f32 v6, -v1, v5, v4
	s_delay_alu instid0(VALU_DEP_1) | instskip(NEXT) | instid1(VALU_DEP_1)
	v_fmac_f32_e32 v5, v6, v2
	v_fma_f32 v1, -v1, v5, v4
	s_delay_alu instid0(VALU_DEP_1) | instskip(NEXT) | instid1(VALU_DEP_1)
	v_div_fmas_f32 v1, v1, v2, v5
	v_div_fixup_f32 v1, v1, v7, 1.0
.LBB58_62:
	v_lshrrev_b32_e32 v2, 16, v52
	v_dual_mov_b32 v9, 0 :: v_dual_add_nc_u32 v0, s1, v0
	v_lshrrev_b32_e32 v4, 16, v51
	v_cvt_f32_f16_e32 v5, v52
	s_delay_alu instid0(VALU_DEP_4) | instskip(NEXT) | instid1(VALU_DEP_4)
	v_cvt_f32_f16_e32 v2, v2
	v_lshl_add_u32 v8, v0, 8, v31
	v_cvt_f32_f16_e32 v10, v51
	v_cvt_f32_f16_e32 v4, v4
	v_mul_f32_e32 v6, v1, v5
	v_mul_f32_e32 v7, v1, v2
	v_lshlrev_b64 v[12:13], 2, v[8:9]
	v_add_nc_u32_e32 v8, 0x80, v8
	v_mul_f32_e32 v5, v1, v4
	v_mul_f32_e32 v4, v1, v10
	v_lshrrev_b32_e32 v2, 16, v49
	v_lshrrev_b32_e32 v10, 16, v50
	v_lshlrev_b64 v[8:9], 2, v[8:9]
	v_add_co_u32 v16, vcc_lo, s28, v12
	s_delay_alu instid0(VALU_DEP_4)
	v_cvt_f32_f16_e32 v2, v2
	v_cvt_f32_f16_e32 v12, v49
	;; [unrolled: 1-line block ×4, first 2 shown]
	v_add_co_ci_u32_e32 v17, vcc_lo, s29, v13, vcc_lo
	v_mul_f32_e32 v15, v1, v2
	v_mul_f32_e32 v14, v1, v12
	v_mul_f32_e32 v13, v1, v10
	v_mul_f32_e32 v12, v1, v18
	v_add_co_u32 v1, vcc_lo, s28, v8
	v_add_co_ci_u32_e32 v2, vcc_lo, s29, v9, vcc_lo
	s_clause 0x1
	global_store_b128 v[16:17], v[4:7], off
	global_store_b128 v[1:2], v[12:15], off
	s_and_b32 exec_lo, exec_lo, s0
	s_cbranch_execz .LBB58_46
; %bb.63:
	v_ashrrev_i32_e32 v1, 31, v0
	v_mov_b32_e32 v10, v3
	s_delay_alu instid0(VALU_DEP_2) | instskip(NEXT) | instid1(VALU_DEP_1)
	v_lshlrev_b64 v[0:1], 3, v[0:1]
	v_add_co_u32 v0, vcc_lo, s30, v0
	s_delay_alu instid0(VALU_DEP_2)
	v_add_co_ci_u32_e32 v1, vcc_lo, s31, v1, vcc_lo
	global_store_b64 v[0:1], v[10:11], off
	s_nop 0
	s_sendmsg sendmsg(MSG_DEALLOC_VGPRS)
	s_endpgm
	.section	.rodata,"a",@progbits
	.p2align	6, 0x0
	.amdhsa_kernel _ZL15flash_attn_tileILi256ELi256ELi4ELi8ELb1EEvPKcS1_S1_S1_S1_PKiPfP15HIP_vector_typeIfLj2EEffffjfiS5_IjLj3EEiiiiiiiiiiiliiliiiiil
		.amdhsa_group_segment_fixed_size 37888
		.amdhsa_private_segment_fixed_size 0
		.amdhsa_kernarg_size 464
		.amdhsa_user_sgpr_count 13
		.amdhsa_user_sgpr_dispatch_ptr 0
		.amdhsa_user_sgpr_queue_ptr 0
		.amdhsa_user_sgpr_kernarg_segment_ptr 1
		.amdhsa_user_sgpr_dispatch_id 0
		.amdhsa_user_sgpr_private_segment_size 0
		.amdhsa_wavefront_size32 1
		.amdhsa_uses_dynamic_stack 0
		.amdhsa_enable_private_segment 0
		.amdhsa_system_sgpr_workgroup_id_x 1
		.amdhsa_system_sgpr_workgroup_id_y 1
		.amdhsa_system_sgpr_workgroup_id_z 1
		.amdhsa_system_sgpr_workgroup_info 0
		.amdhsa_system_vgpr_workitem_id 1
		.amdhsa_next_free_vgpr 214
		.amdhsa_next_free_sgpr 40
		.amdhsa_reserve_vcc 1
		.amdhsa_float_round_mode_32 0
		.amdhsa_float_round_mode_16_64 0
		.amdhsa_float_denorm_mode_32 3
		.amdhsa_float_denorm_mode_16_64 3
		.amdhsa_dx10_clamp 1
		.amdhsa_ieee_mode 1
		.amdhsa_fp16_overflow 0
		.amdhsa_workgroup_processor_mode 1
		.amdhsa_memory_ordered 1
		.amdhsa_forward_progress 0
		.amdhsa_shared_vgpr_count 0
		.amdhsa_exception_fp_ieee_invalid_op 0
		.amdhsa_exception_fp_denorm_src 0
		.amdhsa_exception_fp_ieee_div_zero 0
		.amdhsa_exception_fp_ieee_overflow 0
		.amdhsa_exception_fp_ieee_underflow 0
		.amdhsa_exception_fp_ieee_inexact 0
		.amdhsa_exception_int_div_zero 0
	.end_amdhsa_kernel
	.section	.text._ZL15flash_attn_tileILi256ELi256ELi4ELi8ELb1EEvPKcS1_S1_S1_S1_PKiPfP15HIP_vector_typeIfLj2EEffffjfiS5_IjLj3EEiiiiiiiiiiiliiliiiiil,"axG",@progbits,_ZL15flash_attn_tileILi256ELi256ELi4ELi8ELb1EEvPKcS1_S1_S1_S1_PKiPfP15HIP_vector_typeIfLj2EEffffjfiS5_IjLj3EEiiiiiiiiiiiliiliiiiil,comdat
.Lfunc_end58:
	.size	_ZL15flash_attn_tileILi256ELi256ELi4ELi8ELb1EEvPKcS1_S1_S1_S1_PKiPfP15HIP_vector_typeIfLj2EEffffjfiS5_IjLj3EEiiiiiiiiiiiliiliiiiil, .Lfunc_end58-_ZL15flash_attn_tileILi256ELi256ELi4ELi8ELb1EEvPKcS1_S1_S1_S1_PKiPfP15HIP_vector_typeIfLj2EEffffjfiS5_IjLj3EEiiiiiiiiiiiliiliiiiil
                                        ; -- End function
	.section	.AMDGPU.csdata,"",@progbits
; Kernel info:
; codeLenInByte = 42268
; NumSgprs: 42
; NumVgprs: 214
; ScratchSize: 0
; MemoryBound: 0
; FloatMode: 240
; IeeeMode: 1
; LDSByteSize: 37888 bytes/workgroup (compile time only)
; SGPRBlocks: 5
; VGPRBlocks: 26
; NumSGPRsForWavesPerEU: 42
; NumVGPRsForWavesPerEU: 214
; Occupancy: 6
; WaveLimiterHint : 1
; COMPUTE_PGM_RSRC2:SCRATCH_EN: 0
; COMPUTE_PGM_RSRC2:USER_SGPR: 13
; COMPUTE_PGM_RSRC2:TRAP_HANDLER: 0
; COMPUTE_PGM_RSRC2:TGID_X_EN: 1
; COMPUTE_PGM_RSRC2:TGID_Y_EN: 1
; COMPUTE_PGM_RSRC2:TGID_Z_EN: 1
; COMPUTE_PGM_RSRC2:TIDIG_COMP_CNT: 1
	.section	.text._ZL15flash_attn_tileILi256ELi256ELi2ELi8ELb1EEvPKcS1_S1_S1_S1_PKiPfP15HIP_vector_typeIfLj2EEffffjfiS5_IjLj3EEiiiiiiiiiiiliiliiiiil,"axG",@progbits,_ZL15flash_attn_tileILi256ELi256ELi2ELi8ELb1EEvPKcS1_S1_S1_S1_PKiPfP15HIP_vector_typeIfLj2EEffffjfiS5_IjLj3EEiiiiiiiiiiiliiliiiiil,comdat
	.globl	_ZL15flash_attn_tileILi256ELi256ELi2ELi8ELb1EEvPKcS1_S1_S1_S1_PKiPfP15HIP_vector_typeIfLj2EEffffjfiS5_IjLj3EEiiiiiiiiiiiliiliiiiil ; -- Begin function _ZL15flash_attn_tileILi256ELi256ELi2ELi8ELb1EEvPKcS1_S1_S1_S1_PKiPfP15HIP_vector_typeIfLj2EEffffjfiS5_IjLj3EEiiiiiiiiiiiliiliiiiil
	.p2align	8
	.type	_ZL15flash_attn_tileILi256ELi256ELi2ELi8ELb1EEvPKcS1_S1_S1_S1_PKiPfP15HIP_vector_typeIfLj2EEffffjfiS5_IjLj3EEiiiiiiiiiiiliiliiiiil,@function
_ZL15flash_attn_tileILi256ELi256ELi2ELi8ELb1EEvPKcS1_S1_S1_S1_PKiPfP15HIP_vector_typeIfLj2EEffffjfiS5_IjLj3EEiiiiiiiiiiiliiliiiiil: ; @_ZL15flash_attn_tileILi256ELi256ELi2ELi8ELb1EEvPKcS1_S1_S1_S1_PKiPfP15HIP_vector_typeIfLj2EEffffjfiS5_IjLj3EEiiiiiiiiiiiliiliiiiil
; %bb.0:
	s_clause 0x1
	s_load_b128 s[4:7], s[0:1], 0x5c
	s_load_b64 s[2:3], s[0:1], 0x80
	s_mov_b64 s[34:35], 0
	s_waitcnt lgkmcnt(0)
	s_ashr_i32 s8, s7, 31
	s_delay_alu instid0(SALU_CYCLE_1) | instskip(NEXT) | instid1(SALU_CYCLE_1)
	s_lshr_b32 s8, s8, 29
	s_add_i32 s8, s7, s8
	s_delay_alu instid0(SALU_CYCLE_1) | instskip(NEXT) | instid1(SALU_CYCLE_1)
	s_ashr_i32 s8, s8, 3
	v_cvt_f32_u32_e32 v1, s8
	s_sub_i32 s10, 0, s8
	s_delay_alu instid0(VALU_DEP_1) | instskip(SKIP_2) | instid1(VALU_DEP_1)
	v_rcp_iflag_f32_e32 v1, v1
	s_waitcnt_depctr 0xfff
	v_mul_f32_e32 v1, 0x4f7ffffe, v1
	v_cvt_u32_f32_e32 v1, v1
	s_delay_alu instid0(VALU_DEP_1) | instskip(NEXT) | instid1(VALU_DEP_1)
	v_readfirstlane_b32 s9, v1
	s_mul_i32 s10, s10, s9
	s_delay_alu instid0(SALU_CYCLE_1) | instskip(NEXT) | instid1(SALU_CYCLE_1)
	s_mul_hi_u32 s10, s9, s10
	s_add_i32 s9, s9, s10
	s_delay_alu instid0(SALU_CYCLE_1) | instskip(NEXT) | instid1(SALU_CYCLE_1)
	s_mul_hi_u32 s9, s15, s9
	s_mul_i32 s10, s9, s8
	s_add_i32 s11, s9, 1
	s_sub_i32 s10, s15, s10
	s_delay_alu instid0(SALU_CYCLE_1)
	s_sub_i32 s12, s10, s8
	s_cmp_ge_u32 s10, s8
	s_cselect_b32 s9, s11, s9
	s_cselect_b32 s10, s12, s10
	s_add_i32 s11, s9, 1
	s_cmp_ge_u32 s10, s8
	s_cselect_b32 s12, s11, s9
	s_abs_i32 s8, s3
	s_abs_i32 s16, s7
	v_cvt_f32_u32_e32 v1, s8
	s_sub_i32 s10, 0, s8
	s_lshl_b32 s11, s15, 3
	s_mul_i32 s15, s12, s7
	s_xor_b32 s3, s7, s3
	v_rcp_iflag_f32_e32 v1, v1
	s_sub_i32 s15, s11, s15
	s_ashr_i32 s3, s3, 31
	s_waitcnt_depctr 0xfff
	v_mul_f32_e32 v1, 0x4f7ffffe, v1
	s_delay_alu instid0(VALU_DEP_1) | instskip(NEXT) | instid1(VALU_DEP_1)
	v_cvt_u32_f32_e32 v1, v1
	v_readfirstlane_b32 s9, v1
	s_delay_alu instid0(VALU_DEP_1) | instskip(NEXT) | instid1(SALU_CYCLE_1)
	s_mul_i32 s10, s10, s9
	s_mul_hi_u32 s10, s9, s10
	s_delay_alu instid0(SALU_CYCLE_1) | instskip(NEXT) | instid1(SALU_CYCLE_1)
	s_add_i32 s9, s9, s10
	s_mul_hi_u32 s9, s16, s9
	s_delay_alu instid0(SALU_CYCLE_1) | instskip(SKIP_2) | instid1(SALU_CYCLE_1)
	s_mul_i32 s10, s9, s8
	s_add_i32 s11, s9, 1
	s_sub_i32 s10, s16, s10
	s_sub_i32 s16, s10, s8
	s_cmp_ge_u32 s10, s8
	s_cselect_b32 s9, s11, s9
	s_cselect_b32 s10, s16, s10
	s_add_i32 s11, s9, 1
	s_cmp_ge_u32 s10, s8
	s_clause 0x1
	s_load_b512 s[16:31], s[0:1], 0x0
	s_load_b64 s[36:37], s[0:1], 0xb8
	s_cselect_b32 s8, s11, s9
	s_delay_alu instid0(SALU_CYCLE_1) | instskip(NEXT) | instid1(SALU_CYCLE_1)
	s_xor_b32 s8, s8, s3
	s_sub_i32 s38, s8, s3
	s_delay_alu instid0(SALU_CYCLE_1) | instskip(NEXT) | instid1(SALU_CYCLE_1)
	s_abs_i32 s33, s38
	v_cvt_f32_u32_e32 v1, s33
	s_delay_alu instid0(VALU_DEP_1) | instskip(SKIP_4) | instid1(VALU_DEP_1)
	v_rcp_iflag_f32_e32 v1, v1
	s_waitcnt lgkmcnt(0)
	s_cmp_eq_u64 s[22:23], 0
	s_waitcnt_depctr 0xfff
	v_mul_f32_e32 v1, 0x4f7ffffe, v1
	v_cvt_u32_f32_e32 v1, v1
	s_delay_alu instid0(VALU_DEP_1)
	v_readfirstlane_b32 s39, v1
	s_cbranch_scc1 .LBB59_2
; %bb.1:
	s_abs_i32 s3, s36
	s_abs_i32 s10, s12
	v_cvt_f32_u32_e32 v1, s3
	s_sub_i32 s9, 0, s3
	s_delay_alu instid0(VALU_DEP_1) | instskip(SKIP_2) | instid1(VALU_DEP_1)
	v_rcp_iflag_f32_e32 v1, v1
	s_waitcnt_depctr 0xfff
	v_mul_f32_e32 v1, 0x4f7ffffe, v1
	v_cvt_u32_f32_e32 v1, v1
	s_delay_alu instid0(VALU_DEP_1) | instskip(NEXT) | instid1(VALU_DEP_1)
	v_readfirstlane_b32 s8, v1
	s_mul_i32 s9, s9, s8
	s_delay_alu instid0(SALU_CYCLE_1) | instskip(NEXT) | instid1(SALU_CYCLE_1)
	s_mul_hi_u32 s9, s8, s9
	s_add_i32 s11, s8, s9
	s_load_b64 s[8:9], s[0:1], 0xc8
	s_mul_hi_u32 s11, s10, s11
	s_delay_alu instid0(SALU_CYCLE_1) | instskip(NEXT) | instid1(SALU_CYCLE_1)
	s_mul_i32 s11, s11, s3
	s_sub_i32 s10, s10, s11
	s_ashr_i32 s11, s12, 31
	s_sub_i32 s34, s10, s3
	s_cmp_ge_u32 s10, s3
	s_cselect_b32 s10, s34, s10
	s_delay_alu instid0(SALU_CYCLE_1) | instskip(SKIP_2) | instid1(SALU_CYCLE_1)
	s_sub_i32 s34, s10, s3
	s_cmp_ge_u32 s10, s3
	s_cselect_b32 s3, s34, s10
	s_xor_b32 s3, s3, s11
	s_delay_alu instid0(SALU_CYCLE_1)
	s_sub_i32 s3, s3, s11
	s_waitcnt lgkmcnt(0)
	s_mul_i32 s9, s3, s9
	s_mul_hi_u32 s10, s3, s8
	s_ashr_i32 s11, s3, 31
	s_add_i32 s9, s10, s9
	s_mul_i32 s11, s11, s8
	s_mul_i32 s3, s3, s8
	s_add_i32 s9, s9, s11
	s_add_u32 s34, s22, s3
	s_addc_u32 s35, s23, s9
.LBB59_2:
	v_bfe_u32 v1, v0, 10, 10
	s_load_b128 s[8:11], s[0:1], 0x70
	v_and_b32_e32 v17, 0x3ff, v0
	s_delay_alu instid0(VALU_DEP_2) | instskip(SKIP_2) | instid1(VALU_DEP_4)
	v_lshrrev_b32_e32 v2, 2, v1
	v_lshlrev_b32_e32 v5, 1, v1
	v_lshlrev_b32_e32 v22, 8, v1
	;; [unrolled: 1-line block ×3, first 2 shown]
	s_delay_alu instid0(VALU_DEP_4) | instskip(NEXT) | instid1(VALU_DEP_4)
	v_lshl_add_u32 v16, s13, 1, v2
	v_and_b32_e32 v38, 6, v5
	v_or_b32_e32 v15, 1, v5
	s_delay_alu instid0(VALU_DEP_3) | instskip(NEXT) | instid1(VALU_DEP_2)
	v_mul_hi_u32 v2, s4, v16
	v_and_b32_e32 v12, 7, v15
	v_lshlrev_b32_e32 v15, 7, v15
	s_waitcnt lgkmcnt(0)
	s_mul_i32 s3, s12, s10
	s_mul_i32 s4, s15, s9
	s_delay_alu instid0(VALU_DEP_3) | instskip(NEXT) | instid1(VALU_DEP_1)
	v_add_nc_u32_e32 v2, v16, v2
	v_lshrrev_b32_e32 v2, s5, v2
	s_ashr_i32 s5, s3, 31
	s_add_u32 s3, s16, s3
	s_addc_u32 s5, s17, s5
	s_ashr_i32 s10, s4, 31
	v_mul_lo_u32 v2, v2, s6
	s_add_u32 s3, s3, s4
	s_addc_u32 s4, s5, s10
	s_ashr_i32 s5, s8, 31
	s_delay_alu instid0(SALU_CYCLE_1) | instskip(SKIP_2) | instid1(VALU_DEP_2)
	v_alignbit_b32 v6, s5, s8, 2
	s_ashr_i32 s8, s9, 31
	s_lshr_b32 s5, s5, 2
	v_sub_nc_u32_e32 v2, v16, v2
	v_alignbit_b32 v9, s8, s9, 2
	s_delay_alu instid0(VALU_DEP_2) | instskip(NEXT) | instid1(VALU_DEP_2)
	v_mad_u64_u32 v[3:4], null, v6, v2, 0
	v_mad_u64_u32 v[5:6], null, v9, v38, 0
	;; [unrolled: 1-line block ×3, first 2 shown]
	s_delay_alu instid0(VALU_DEP_2) | instskip(NEXT) | instid1(VALU_DEP_3)
	v_mad_u64_u32 v[9:10], null, s5, v2, v[4:5]
	v_mov_b32_e32 v4, v6
	s_lshr_b32 s5, s8, 2
	s_delay_alu instid0(VALU_DEP_3) | instskip(SKIP_1) | instid1(VALU_DEP_2)
	v_mov_b32_e32 v6, v8
	s_cmp_eq_u64 s[26:27], 0
	v_mad_u64_u32 v[10:11], null, s5, v38, v[4:5]
	s_delay_alu instid0(VALU_DEP_4) | instskip(NEXT) | instid1(VALU_DEP_3)
	v_mov_b32_e32 v4, v9
	v_mad_u64_u32 v[8:9], null, s5, v12, v[6:7]
	s_delay_alu instid0(VALU_DEP_2) | instskip(NEXT) | instid1(VALU_DEP_4)
	v_lshlrev_b64 v[3:4], 2, v[3:4]
	v_mov_b32_e32 v6, v10
	s_delay_alu instid0(VALU_DEP_2) | instskip(NEXT) | instid1(VALU_DEP_3)
	v_add_co_u32 v9, vcc_lo, s3, v3
	v_add_co_ci_u32_e32 v10, vcc_lo, s4, v4, vcc_lo
	s_delay_alu instid0(VALU_DEP_3) | instskip(NEXT) | instid1(VALU_DEP_3)
	v_lshlrev_b64 v[3:4], 2, v[5:6]
	v_add_co_u32 v0, vcc_lo, v9, v0
	s_delay_alu instid0(VALU_DEP_3) | instskip(SKIP_1) | instid1(VALU_DEP_3)
	v_add_co_ci_u32_e32 v9, vcc_lo, 0, v10, vcc_lo
	v_lshlrev_b64 v[5:6], 2, v[7:8]
	v_add_co_u32 v7, vcc_lo, v0, v3
	s_delay_alu instid0(VALU_DEP_3) | instskip(SKIP_1) | instid1(VALU_DEP_3)
	v_add_co_ci_u32_e32 v8, vcc_lo, v9, v4, vcc_lo
	s_load_b32 s3, s[0:1], 0x40
	v_add_co_u32 v18, vcc_lo, v0, v5
	s_delay_alu instid0(VALU_DEP_4)
	v_add_co_ci_u32_e32 v19, vcc_lo, v9, v6, vcc_lo
	s_clause 0x3
	global_load_b128 v[3:6], v[7:8], off
	global_load_b128 v[7:10], v[7:8], off offset:512
	global_load_b128 v[11:14], v[18:19], off
	global_load_b128 v[18:21], v[18:19], off offset:512
	v_lshlrev_b32_e32 v0, 1, v17
	s_delay_alu instid0(VALU_DEP_1) | instskip(SKIP_1) | instid1(VALU_DEP_2)
	v_add_lshl_u32 v22, v22, v0, 2
	v_add_lshl_u32 v15, v15, v0, 2
	v_add_nc_u32_e32 v30, 0x4000, v22
	s_delay_alu instid0(VALU_DEP_2)
	v_add_nc_u32_e32 v15, 0x4000, v15
	s_waitcnt vmcnt(3) lgkmcnt(0)
	v_fma_mixlo_f16 v22, v3, s3, 0
	v_fma_mixlo_f16 v23, v5, s3, 0
	s_waitcnt vmcnt(2)
	v_fma_mixlo_f16 v24, v7, s3, 0
	v_fma_mixlo_f16 v25, v9, s3, 0
	s_waitcnt vmcnt(1)
	v_fma_mixlo_f16 v26, v11, s3, 0
	v_fma_mixlo_f16 v27, v13, s3, 0
	s_waitcnt vmcnt(0)
	v_fma_mixlo_f16 v28, v18, s3, 0
	v_fma_mixlo_f16 v29, v20, s3, 0
	v_fma_mixhi_f16 v23, v6, s3, 0
	v_fma_mixhi_f16 v22, v4, s3, 0
	;; [unrolled: 1-line block ×8, first 2 shown]
	s_mov_b32 s3, 0
	ds_store_2addr_b64 v30, v[22:23], v[24:25] offset0:64 offset1:96
	ds_store_2addr_b64 v15, v[26:27], v[28:29] offset0:64 offset1:96
	s_waitcnt lgkmcnt(0)
	s_barrier
	buffer_gl0_inv
	s_cbranch_scc1 .LBB59_4
; %bb.3:
	s_load_b32 s2, s[0:1], 0xd0
	s_waitcnt lgkmcnt(0)
	s_mul_i32 s2, s2, s12
	s_delay_alu instid0(SALU_CYCLE_1) | instskip(NEXT) | instid1(SALU_CYCLE_1)
	s_add_i32 s2, s2, s13
	s_lshl_b64 s[2:3], s[2:3], 2
	s_delay_alu instid0(SALU_CYCLE_1)
	s_add_u32 s2, s26, s2
	s_addc_u32 s3, s27, s3
	s_load_b32 s2, s[2:3], 0x0
.LBB59_4:
	v_lshlrev_b32_e32 v37, 2, v17
	v_mbcnt_lo_u32_b32 v39, -1, 0
	s_lshl_b32 s3, s14, 5
	s_waitcnt lgkmcnt(0)
	s_cmp_lt_i32 s3, s2
	s_cbranch_scc1 .LBB59_6
; %bb.5:
	v_mbcnt_lo_u32_b32 v3, -1, 0
	v_mov_b32_e32 v44, 32
	s_mov_b32 s4, 0
	s_mov_b32 s5, 0xfeffffff
	s_delay_alu instid0(VALU_DEP_2)
	v_xor_b32_e32 v71, 16, v3
	v_xor_b32_e32 v67, 8, v3
	v_xor_b32_e32 v68, 4, v3
	v_xor_b32_e32 v69, 2, v3
	v_xor_b32_e32 v70, 1, v3
	s_branch .LBB59_7
.LBB59_6:
	s_mov_b32 s4, -1
                                        ; implicit-def: $sgpr5
                                        ; implicit-def: $vgpr3
                                        ; implicit-def: $vgpr44
                                        ; implicit-def: $vgpr71
                                        ; implicit-def: $vgpr67
                                        ; implicit-def: $vgpr68
                                        ; implicit-def: $vgpr69
                                        ; implicit-def: $vgpr70
.LBB59_7:
	s_delay_alu instid0(SALU_CYCLE_1) | instskip(SKIP_2) | instid1(VALU_DEP_3)
	v_cndmask_b32_e64 v4, 0, 1, s4
	v_dual_mov_b32 v36, s5 :: v_dual_mov_b32 v73, s4
	v_dual_mov_b32 v45, s4 :: v_dual_mov_b32 v46, s4
	v_cmp_ne_u32_e32 vcc_lo, 1, v4
	v_dual_mov_b32 v35, s5 :: v_dual_mov_b32 v40, s4
	v_dual_mov_b32 v47, s4 :: v_dual_mov_b32 v42, s4
	v_mov_b32_e32 v49, s4
	v_mov_b32_e32 v51, s4
	;; [unrolled: 1-line block ×4, first 2 shown]
	s_cbranch_vccnz .LBB59_20
; %bb.8:
	s_clause 0x1
	s_load_b128 s[8:11], s[0:1], 0x98
	s_load_b64 s[4:5], s[0:1], 0x8c
	s_sub_i32 s13, 0, s33
	s_abs_i32 s22, s15
	s_mul_i32 s13, s13, s39
	s_ashr_i32 s27, s37, 1
	s_mul_hi_u32 s13, s39, s13
	s_ashr_i32 s37, s12, 31
	s_add_i32 s39, s39, s13
	s_ashr_i32 s23, s15, 31
	s_mul_hi_u32 s36, s22, s39
	s_ashr_i32 s26, s38, 31
	s_load_b64 s[16:17], s[0:1], 0xa8
	s_mul_i32 s38, s36, s33
	v_dual_mov_b32 v41, 0 :: v_dual_lshlrev_b32 v48, 2, v37
	v_lshl_add_u32 v56, v1, 10, 0x4200
	v_lshl_add_u32 v57, v1, 7, 0x6200
	v_mad_u64_u32 v[18:19], null, v2, s27, v[17:18]
	s_waitcnt lgkmcnt(0)
	s_mul_i32 s39, s37, s8
	s_ashr_i32 s13, s4, 2
	s_mul_i32 s4, s12, s9
	s_mul_hi_u32 s9, s12, s8
	s_mul_i32 s8, s12, s8
	s_add_i32 s4, s9, s4
	s_ashr_i32 s10, s10, 2
	s_add_i32 s4, s4, s39
	s_add_u32 s8, s18, s8
	s_addc_u32 s4, s19, s4
	s_sub_i32 s18, s22, s38
	s_xor_b32 s9, s23, s26
	s_add_i32 s19, s36, 1
	s_sub_i32 s22, s18, s33
	s_cmp_ge_u32 s18, s33
	s_mul_i32 s17, s12, s17
	s_cselect_b32 s19, s19, s36
	s_cselect_b32 s18, s22, s18
	s_add_i32 s22, s19, 1
	s_cmp_ge_u32 s18, s33
	s_mul_i32 s37, s37, s16
	s_cselect_b32 s18, s22, s19
	s_mul_hi_u32 s19, s12, s16
	s_xor_b32 s18, s18, s9
	v_mul_lo_u32 v3, s13, v1
	s_sub_i32 s18, s18, s9
	v_mul_lo_u32 v7, s10, v1
	s_mul_i32 s5, s18, s5
	s_mul_i32 s16, s12, s16
	s_ashr_i32 s9, s5, 31
	s_add_u32 s8, s8, s5
	s_addc_u32 s9, s4, s9
	s_add_i32 s4, s19, s17
	s_mul_i32 s18, s18, s11
	s_add_i32 s4, s4, s37
	s_add_u32 s5, s20, s16
	s_addc_u32 s4, s21, s4
	s_ashr_i32 s16, s18, 31
	s_add_u32 s11, s5, s18
	s_addc_u32 s16, s4, s16
	s_lshl_b32 s4, s13, 3
	s_lshl_b32 s5, s10, 3
	v_dual_mov_b32 v66, 0xfeffffff :: v_dual_add_nc_u32 v5, s4, v3
	v_dual_mov_b32 v46, 0 :: v_dual_add_nc_u32 v13, s5, v7
	v_mad_u32_u24 v50, 0x210, v1, v48
	s_delay_alu instid0(VALU_DEP_3) | instskip(SKIP_1) | instid1(VALU_DEP_4)
	v_dual_mov_b32 v44, 32 :: v_dual_add_nc_u32 v9, s4, v5
	v_lshl_add_u32 v58, v1, 9, v48
	v_dual_mov_b32 v64, 0 :: v_dual_add_nc_u32 v1, s5, v13
	s_load_b32 s17, s[0:1], 0x54
	s_delay_alu instid0(VALU_DEP_3) | instskip(NEXT) | instid1(VALU_DEP_2)
	v_dual_mov_b32 v40, 0 :: v_dual_add_nc_u32 v11, s4, v9
	v_add_nc_u32_e32 v33, s5, v1
	v_ashrrev_i32_e32 v4, 31, v3
	v_ashrrev_i32_e32 v6, 31, v5
	;; [unrolled: 1-line block ×8, first 2 shown]
	v_lshlrev_b64 v[19:20], 2, v[3:4]
	v_lshlrev_b64 v[21:22], 2, v[5:6]
	;; [unrolled: 1-line block ×8, first 2 shown]
	v_dual_mov_b32 v47, 0 :: v_dual_add_nc_u32 v52, 0x1080, v50
	v_dual_mov_b32 v42, 0 :: v_dual_add_nc_u32 v53, 0x2100, v50
	;; [unrolled: 1-line block ×3, first 2 shown]
	v_mul_u32_u24_e32 v55, 0x210, v17
	v_lshl_add_u32 v59, v0, 1, v57
	v_dual_mov_b32 v51, 0 :: v_dual_add_nc_u32 v60, 0x1000, v58
	v_add_nc_u32_e32 v61, 0x2000, v58
	v_dual_mov_b32 v49, 0 :: v_dual_add_nc_u32 v62, 0x3000, v58
	v_lshlrev_b32_e32 v63, 2, v0
	v_mov_b32_e32 v45, 0
	v_mov_b32_e32 v65, 0xfeffffff
	s_add_u32 s4, s0, 0xd0
	s_addc_u32 s5, s1, 0
	s_mov_b32 s18, 0xbbbac73d
.LBB59_9:                               ; =>This Inner Loop Header: Depth=1
	s_mul_hi_i32 s21, s3, s13
	s_mul_i32 s20, s3, s13
	v_mov_b32_e32 v35, 0
	s_lshl_b64 s[20:21], s[20:21], 2
	s_delay_alu instid0(SALU_CYCLE_1)
	s_add_u32 s19, s8, s20
	s_addc_u32 s20, s9, s21
	v_add_co_u32 v0, vcc_lo, s19, v19
	v_add_co_ci_u32_e32 v1, vcc_lo, s20, v20, vcc_lo
	v_add_co_u32 v2, vcc_lo, s19, v21
	v_add_co_ci_u32_e32 v3, vcc_lo, s20, v22, vcc_lo
	s_delay_alu instid0(VALU_DEP_4) | instskip(NEXT) | instid1(VALU_DEP_4)
	v_add_co_u32 v0, vcc_lo, v0, v48
	v_add_co_ci_u32_e32 v1, vcc_lo, 0, v1, vcc_lo
	s_delay_alu instid0(VALU_DEP_4) | instskip(NEXT) | instid1(VALU_DEP_4)
	v_add_co_u32 v4, vcc_lo, v2, v48
	v_add_co_ci_u32_e32 v5, vcc_lo, 0, v3, vcc_lo
	v_add_co_u32 v2, vcc_lo, s19, v23
	v_add_co_ci_u32_e32 v3, vcc_lo, s20, v24, vcc_lo
	;; [unrolled: 2-line block ×3, first 2 shown]
	s_delay_alu instid0(VALU_DEP_4) | instskip(NEXT) | instid1(VALU_DEP_4)
	v_add_co_u32 v8, vcc_lo, v2, v48
	v_add_co_ci_u32_e32 v9, vcc_lo, 0, v3, vcc_lo
	s_delay_alu instid0(VALU_DEP_4) | instskip(NEXT) | instid1(VALU_DEP_4)
	v_add_co_u32 v12, vcc_lo, v6, v48
	v_add_co_ci_u32_e32 v13, vcc_lo, 0, v7, vcc_lo
	s_clause 0x3
	global_load_b128 v[0:3], v[0:1], off
	global_load_b128 v[4:7], v[4:5], off
	;; [unrolled: 1-line block ×4, first 2 shown]
	s_waitcnt vmcnt(3)
	ds_store_b128 v50, v[0:3]
	s_waitcnt vmcnt(2)
	ds_store_b128 v52, v[4:7]
	;; [unrolled: 2-line block ×4, first 2 shown]
	s_waitcnt lgkmcnt(0)
	s_barrier
	buffer_gl0_inv
	ds_load_b128 v[1:4], v55
	ds_load_b128 v[5:8], v56
	ds_load_b128 v[9:12], v56 offset:512
	v_dual_mov_b32 v0, 0 :: v_dual_add_nc_u32 v13, s3, v18
	s_waitcnt lgkmcnt(1)
	;;#ASMSTART
	v_dot2_f32_f16 v0, v1, v5, v0
	;;#ASMEND
	;;#ASMSTART
	v_dot2_f32_f16 v0, v2, v6, v0
	;;#ASMEND
	;; [unrolled: 3-line block ×4, first 2 shown]
	s_waitcnt lgkmcnt(0)
	;;#ASMSTART
	v_dot2_f32_f16 v35, v1, v9, v35
	;;#ASMEND
	;;#ASMSTART
	v_dot2_f32_f16 v35, v2, v10, v35
	;;#ASMEND
	;; [unrolled: 3-line block ×4, first 2 shown]
	ds_load_b128 v[1:4], v55 offset:16
	ds_load_b128 v[5:8], v56 offset:16
	ds_load_b128 v[9:12], v56 offset:528
	v_ashrrev_i32_e32 v14, 31, v13
	s_waitcnt lgkmcnt(1)
	;;#ASMSTART
	v_dot2_f32_f16 v0, v1, v5, v0
	;;#ASMEND
	;;#ASMSTART
	v_dot2_f32_f16 v0, v2, v6, v0
	;;#ASMEND
	;; [unrolled: 3-line block ×4, first 2 shown]
	s_waitcnt lgkmcnt(0)
	;;#ASMSTART
	v_dot2_f32_f16 v35, v1, v9, v35
	;;#ASMEND
	;;#ASMSTART
	v_dot2_f32_f16 v35, v2, v10, v35
	;;#ASMEND
	;; [unrolled: 3-line block ×4, first 2 shown]
	ds_load_b128 v[1:4], v55 offset:32
	ds_load_b128 v[5:8], v56 offset:32
	;; [unrolled: 1-line block ×3, first 2 shown]
	v_lshlrev_b64 v[13:14], 1, v[13:14]
	s_waitcnt lgkmcnt(1)
	;;#ASMSTART
	v_dot2_f32_f16 v0, v1, v5, v0
	;;#ASMEND
	;;#ASMSTART
	v_dot2_f32_f16 v0, v2, v6, v0
	;;#ASMEND
	;;#ASMSTART
	v_dot2_f32_f16 v0, v3, v7, v0
	;;#ASMEND
	;;#ASMSTART
	v_dot2_f32_f16 v0, v4, v8, v0
	;;#ASMEND
	s_waitcnt lgkmcnt(0)
	;;#ASMSTART
	v_dot2_f32_f16 v35, v1, v9, v35
	;;#ASMEND
	;;#ASMSTART
	v_dot2_f32_f16 v35, v2, v10, v35
	;;#ASMEND
	;;#ASMSTART
	v_dot2_f32_f16 v35, v3, v11, v35
	;;#ASMEND
	;;#ASMSTART
	v_dot2_f32_f16 v35, v4, v12, v35
	;;#ASMEND
	ds_load_b128 v[1:4], v55 offset:48
	ds_load_b128 v[5:8], v56 offset:48
	ds_load_b128 v[9:12], v56 offset:560
	s_waitcnt lgkmcnt(1)
	;;#ASMSTART
	v_dot2_f32_f16 v0, v1, v5, v0
	;;#ASMEND
	;;#ASMSTART
	v_dot2_f32_f16 v0, v2, v6, v0
	;;#ASMEND
	;;#ASMSTART
	v_dot2_f32_f16 v0, v3, v7, v0
	;;#ASMEND
	;;#ASMSTART
	v_dot2_f32_f16 v0, v4, v8, v0
	;;#ASMEND
	s_waitcnt lgkmcnt(0)
	;;#ASMSTART
	v_dot2_f32_f16 v35, v1, v9, v35
	;;#ASMEND
	;;#ASMSTART
	v_dot2_f32_f16 v35, v2, v10, v35
	;;#ASMEND
	;;#ASMSTART
	v_dot2_f32_f16 v35, v3, v11, v35
	;;#ASMEND
	;;#ASMSTART
	v_dot2_f32_f16 v35, v4, v12, v35
	;;#ASMEND
	ds_load_b128 v[1:4], v55 offset:64
	ds_load_b128 v[5:8], v56 offset:64
	ds_load_b128 v[9:12], v56 offset:576
	;; [unrolled: 29-line block ×28, first 2 shown]
	s_waitcnt lgkmcnt(1)
	;;#ASMSTART
	v_dot2_f32_f16 v0, v1, v5, v0
	;;#ASMEND
	;;#ASMSTART
	v_dot2_f32_f16 v0, v2, v6, v0
	;;#ASMEND
	;; [unrolled: 3-line block ×4, first 2 shown]
	s_waitcnt lgkmcnt(0)
	;;#ASMSTART
	v_dot2_f32_f16 v35, v1, v9, v35
	;;#ASMEND
	;;#ASMSTART
	v_dot2_f32_f16 v35, v2, v10, v35
	;;#ASMEND
	;; [unrolled: 3-line block ×4, first 2 shown]
	ds_load_b128 v[1:4], v55 offset:496
	ds_load_b128 v[5:8], v56 offset:496
	v_add_co_u32 v13, vcc_lo, s34, v13
	ds_load_b128 v[9:12], v56 offset:1008
	s_waitcnt lgkmcnt(1)
	;;#ASMSTART
	v_dot2_f32_f16 v0, v1, v5, v0
	;;#ASMEND
	v_add_co_ci_u32_e32 v14, vcc_lo, s35, v14, vcc_lo
	;;#ASMSTART
	v_dot2_f32_f16 v0, v2, v6, v0
	;;#ASMEND
	;;#ASMSTART
	v_dot2_f32_f16 v0, v3, v7, v0
	;;#ASMEND
	;;#ASMSTART
	v_dot2_f32_f16 v0, v4, v8, v0
	;;#ASMEND
	s_waitcnt lgkmcnt(0)
	;;#ASMSTART
	v_dot2_f32_f16 v35, v1, v9, v35
	;;#ASMEND
	;;#ASMSTART
	v_dot2_f32_f16 v35, v2, v10, v35
	;;#ASMEND
	;;#ASMSTART
	v_dot2_f32_f16 v35, v3, v11, v35
	;;#ASMEND
	;;#ASMSTART
	v_dot2_f32_f16 v35, v4, v12, v35
	;;#ASMEND
	flat_load_u16 v72, v[13:14]
	v_cmp_ngt_f32_e64 s19, 0x3f200000, |v0|
                                        ; implicit-def: $vgpr1
	s_delay_alu instid0(VALU_DEP_1) | instskip(NEXT) | instid1(SALU_CYCLE_1)
	s_and_saveexec_b32 s20, s19
	s_xor_b32 s19, exec_lo, s20
	s_cbranch_execz .LBB59_11
; %bb.10:                               ;   in Loop: Header=BB59_9 Depth=1
	v_add_f32_e64 v1, |v0|, |v0|
	s_delay_alu instid0(VALU_DEP_1) | instskip(SKIP_1) | instid1(VALU_DEP_2)
	v_mul_f32_e32 v2, 0x3fb8aa3b, v1
	v_cmp_ngt_f32_e32 vcc_lo, 0xc2ce8ed0, v1
	v_rndne_f32_e32 v3, v2
	v_fma_f32 v4, 0x3fb8aa3b, v1, -v2
	s_delay_alu instid0(VALU_DEP_2) | instskip(NEXT) | instid1(VALU_DEP_2)
	v_sub_f32_e32 v2, v2, v3
	v_fmac_f32_e32 v4, 0x32a5705f, v1
	v_cvt_i32_f32_e32 v3, v3
	s_delay_alu instid0(VALU_DEP_2) | instskip(NEXT) | instid1(VALU_DEP_1)
	v_add_f32_e32 v2, v2, v4
	v_exp_f32_e32 v2, v2
	s_waitcnt_depctr 0xfff
	v_ldexp_f32 v2, v2, v3
	s_delay_alu instid0(VALU_DEP_1) | instskip(SKIP_1) | instid1(VALU_DEP_2)
	v_cndmask_b32_e32 v2, 0, v2, vcc_lo
	v_cmp_nlt_f32_e32 vcc_lo, 0x42b17218, v1
	v_cndmask_b32_e32 v1, 0x7f800000, v2, vcc_lo
	s_delay_alu instid0(VALU_DEP_1) | instskip(NEXT) | instid1(VALU_DEP_1)
	v_add_f32_e32 v1, 1.0, v1
	v_rcp_f32_e32 v1, v1
	s_waitcnt_depctr 0xfff
	v_fma_f32 v1, v1, -2.0, 1.0
.LBB59_11:                              ;   in Loop: Header=BB59_9 Depth=1
	s_and_not1_saveexec_b32 s19, s19
; %bb.12:                               ;   in Loop: Header=BB59_9 Depth=1
	v_mul_f32_e32 v1, v0, v0
	s_delay_alu instid0(VALU_DEP_1) | instskip(NEXT) | instid1(VALU_DEP_1)
	v_fmaak_f32 v2, s18, v1, 0x3ca908c9
	v_fmaak_f32 v2, v1, v2, 0xbd5c1c4e
	s_delay_alu instid0(VALU_DEP_1) | instskip(NEXT) | instid1(VALU_DEP_1)
	v_fmaak_f32 v2, v1, v2, 0x3e088382
	v_fmaak_f32 v2, v1, v2, 0xbeaaaa99
	s_delay_alu instid0(VALU_DEP_1) | instskip(NEXT) | instid1(VALU_DEP_1)
	v_mul_f32_e64 v2, |v0|, v2
	v_fma_f32 v1, v1, v2, |v0|
; %bb.13:                               ;   in Loop: Header=BB59_9 Depth=1
	s_or_b32 exec_lo, exec_lo, s19
	s_delay_alu instid0(VALU_DEP_1)
	v_bfi_b32 v0, 0x7fffffff, v1, v0
	v_xor_b32_e32 v71, 16, v39
	v_xor_b32_e32 v67, 8, v39
	;; [unrolled: 1-line block ×4, first 2 shown]
	s_waitcnt vmcnt(0) lgkmcnt(0)
	v_fma_mix_f32 v36, v0, s17, v72 op_sel_hi:[0,0,1]
	v_cmp_gt_i32_e32 vcc_lo, 32, v71
	v_xor_b32_e32 v70, 1, v39
	v_cmp_ngt_f32_e64 s19, 0x3f200000, |v35|
                                        ; implicit-def: $vgpr80
	s_delay_alu instid0(VALU_DEP_4) | instskip(SKIP_2) | instid1(VALU_DEP_2)
	v_dual_add_f32 v1, 0x40051340, v36 :: v_dual_cndmask_b32 v0, v39, v71
	v_max_f32_e32 v2, v66, v66
	v_cmp_gt_i32_e32 vcc_lo, 32, v67
	v_dual_max_f32 v0, v2, v1 :: v_dual_lshlrev_b32 v73, 2, v0
	v_cndmask_b32_e32 v2, v39, v67, vcc_lo
	v_cmp_gt_i32_e32 vcc_lo, 32, v68
	s_delay_alu instid0(VALU_DEP_2) | instskip(SKIP_2) | instid1(VALU_DEP_2)
	v_lshlrev_b32_e32 v74, 2, v2
	v_cndmask_b32_e32 v2, v39, v68, vcc_lo
	v_cmp_gt_i32_e32 vcc_lo, 32, v69
	v_lshlrev_b32_e32 v75, 2, v2
	ds_bpermute_b32 v1, v73, v0
	v_cndmask_b32_e32 v2, v39, v69, vcc_lo
	v_cmp_gt_i32_e32 vcc_lo, 32, v70
	s_waitcnt lgkmcnt(0)
	s_delay_alu instid0(VALU_DEP_2) | instskip(NEXT) | instid1(VALU_DEP_1)
	v_dual_max_f32 v1, v1, v1 :: v_dual_lshlrev_b32 v76, 2, v2
	v_max_f32_e32 v0, v0, v1
	ds_bpermute_b32 v1, v74, v0
	s_waitcnt lgkmcnt(0)
	v_max_f32_e32 v1, v1, v1
	s_delay_alu instid0(VALU_DEP_1) | instskip(SKIP_3) | instid1(VALU_DEP_1)
	v_max_f32_e32 v0, v0, v1
	ds_bpermute_b32 v1, v75, v0
	s_waitcnt lgkmcnt(0)
	v_max_f32_e32 v1, v1, v1
	v_max_f32_e32 v0, v0, v1
	ds_bpermute_b32 v1, v76, v0
	s_waitcnt lgkmcnt(0)
	v_dual_max_f32 v1, v1, v1 :: v_dual_cndmask_b32 v2, v39, v70
	s_delay_alu instid0(VALU_DEP_1) | instskip(SKIP_2) | instid1(SALU_CYCLE_1)
	v_dual_max_f32 v77, v0, v1 :: v_dual_lshlrev_b32 v78, 2, v2
	ds_bpermute_b32 v79, v78, v77
	s_and_saveexec_b32 s20, s19
	s_xor_b32 s19, exec_lo, s20
	s_cbranch_execz .LBB59_15
; %bb.14:                               ;   in Loop: Header=BB59_9 Depth=1
	v_add_f32_e64 v0, |v35|, |v35|
	s_delay_alu instid0(VALU_DEP_1) | instskip(SKIP_1) | instid1(VALU_DEP_2)
	v_mul_f32_e32 v1, 0x3fb8aa3b, v0
	v_cmp_ngt_f32_e32 vcc_lo, 0xc2ce8ed0, v0
	v_rndne_f32_e32 v2, v1
	v_fma_f32 v3, 0x3fb8aa3b, v0, -v1
	s_delay_alu instid0(VALU_DEP_2) | instskip(NEXT) | instid1(VALU_DEP_2)
	v_sub_f32_e32 v1, v1, v2
	v_fmac_f32_e32 v3, 0x32a5705f, v0
	v_cvt_i32_f32_e32 v2, v2
	s_delay_alu instid0(VALU_DEP_2) | instskip(NEXT) | instid1(VALU_DEP_1)
	v_add_f32_e32 v1, v1, v3
	v_exp_f32_e32 v1, v1
	s_waitcnt_depctr 0xfff
	v_ldexp_f32 v1, v1, v2
	s_delay_alu instid0(VALU_DEP_1) | instskip(SKIP_1) | instid1(VALU_DEP_2)
	v_cndmask_b32_e32 v1, 0, v1, vcc_lo
	v_cmp_nlt_f32_e32 vcc_lo, 0x42b17218, v0
	v_cndmask_b32_e32 v0, 0x7f800000, v1, vcc_lo
	s_delay_alu instid0(VALU_DEP_1) | instskip(NEXT) | instid1(VALU_DEP_1)
	v_add_f32_e32 v0, 1.0, v0
	v_rcp_f32_e32 v0, v0
	s_waitcnt_depctr 0xfff
	v_fma_f32 v80, v0, -2.0, 1.0
.LBB59_15:                              ;   in Loop: Header=BB59_9 Depth=1
	s_and_not1_saveexec_b32 s19, s19
; %bb.16:                               ;   in Loop: Header=BB59_9 Depth=1
	v_mul_f32_e32 v0, v35, v35
	s_delay_alu instid0(VALU_DEP_1) | instskip(NEXT) | instid1(VALU_DEP_1)
	v_fmaak_f32 v1, s18, v0, 0x3ca908c9
	v_fmaak_f32 v1, v0, v1, 0xbd5c1c4e
	s_delay_alu instid0(VALU_DEP_1) | instskip(NEXT) | instid1(VALU_DEP_1)
	v_fmaak_f32 v1, v0, v1, 0x3e088382
	v_fmaak_f32 v1, v0, v1, 0xbeaaaa99
	s_delay_alu instid0(VALU_DEP_1) | instskip(NEXT) | instid1(VALU_DEP_1)
	v_mul_f32_e64 v1, |v35|, v1
	v_fma_f32 v80, v0, v1, |v35|
; %bb.17:                               ;   in Loop: Header=BB59_9 Depth=1
	s_or_b32 exec_lo, exec_lo, s19
	s_mul_hi_i32 s21, s3, s10
	s_mul_i32 s20, s3, s10
	s_waitcnt lgkmcnt(0)
	s_lshl_b64 s[20:21], s[20:21], 2
	s_barrier
	s_add_u32 s19, s11, s20
	s_addc_u32 s20, s16, s21
	v_add_co_u32 v0, vcc_lo, s19, v27
	v_add_co_ci_u32_e32 v1, vcc_lo, s20, v28, vcc_lo
	v_add_co_u32 v2, vcc_lo, s19, v29
	v_add_co_ci_u32_e32 v3, vcc_lo, s20, v30, vcc_lo
	s_delay_alu instid0(VALU_DEP_4) | instskip(NEXT) | instid1(VALU_DEP_4)
	v_add_co_u32 v0, vcc_lo, v0, v48
	v_add_co_ci_u32_e32 v1, vcc_lo, 0, v1, vcc_lo
	s_delay_alu instid0(VALU_DEP_4) | instskip(NEXT) | instid1(VALU_DEP_4)
	v_add_co_u32 v4, vcc_lo, v2, v48
	v_add_co_ci_u32_e32 v5, vcc_lo, 0, v3, vcc_lo
	v_add_co_u32 v2, vcc_lo, s19, v31
	v_add_co_ci_u32_e32 v3, vcc_lo, s20, v32, vcc_lo
	;; [unrolled: 2-line block ×3, first 2 shown]
	s_delay_alu instid0(VALU_DEP_4) | instskip(NEXT) | instid1(VALU_DEP_4)
	v_add_co_u32 v8, vcc_lo, v2, v48
	v_add_co_ci_u32_e32 v9, vcc_lo, 0, v3, vcc_lo
	s_delay_alu instid0(VALU_DEP_4) | instskip(NEXT) | instid1(VALU_DEP_4)
	v_add_co_u32 v12, vcc_lo, v6, v48
	v_add_co_ci_u32_e32 v13, vcc_lo, 0, v7, vcc_lo
	buffer_gl0_inv
	s_clause 0x3
	global_load_b128 v[0:3], v[0:1], off
	global_load_b128 v[4:7], v[4:5], off
	;; [unrolled: 1-line block ×4, first 2 shown]
	v_cvt_f32_f16_e32 v81, v72
	v_bfi_b32 v35, 0x7fffffff, v80, v35
	v_add_nc_u32_e32 v189, 0x3800, v63
	s_delay_alu instid0(VALU_DEP_2) | instskip(SKIP_1) | instid1(VALU_DEP_2)
	v_fmac_f32_e32 v81, s17, v35
	v_max_f32_e32 v35, v65, v65
	v_add_f32_e32 v72, 0x40051340, v81
	s_delay_alu instid0(VALU_DEP_1) | instskip(SKIP_3) | instid1(VALU_DEP_1)
	v_max_f32_e32 v35, v35, v72
	ds_bpermute_b32 v72, v73, v35
	s_waitcnt lgkmcnt(0)
	v_max_f32_e32 v72, v72, v72
	v_max_f32_e32 v35, v35, v72
	ds_bpermute_b32 v72, v74, v35
	s_waitcnt lgkmcnt(0)
	v_max_f32_e32 v72, v72, v72
	s_delay_alu instid0(VALU_DEP_1) | instskip(SKIP_3) | instid1(VALU_DEP_1)
	v_max_f32_e32 v35, v35, v72
	ds_bpermute_b32 v72, v75, v35
	s_waitcnt lgkmcnt(0)
	v_dual_max_f32 v72, v72, v72 :: v_dual_add_nc_u32 v75, 0x2000, v63
	v_max_f32_e32 v35, v35, v72
	ds_bpermute_b32 v72, v76, v35
	s_waitcnt lgkmcnt(0)
	v_max_f32_e32 v72, v72, v72
	s_delay_alu instid0(VALU_DEP_1) | instskip(SKIP_1) | instid1(VALU_DEP_1)
	v_max_f32_e32 v73, v35, v72
	v_dual_max_f32 v35, v79, v79 :: v_dual_max_f32 v72, v77, v77
	v_max_f32_e32 v35, v72, v35
	v_add_nc_u32_e32 v72, 0x800, v63
	s_delay_alu instid0(VALU_DEP_2) | instskip(SKIP_4) | instid1(VALU_DEP_2)
	v_sub_f32_e32 v76, v66, v35
	ds_bpermute_b32 v74, v78, v73
	v_add_nc_u32_e32 v66, 0x1000, v63
	v_dual_mul_f32 v78, 0x3fb8aa3b, v76 :: v_dual_sub_f32 v77, v36, v35
	v_cmp_ngt_f32_e32 vcc_lo, 0xc2ce8ed0, v76
	v_rndne_f32_e32 v80, v78
	s_waitcnt lgkmcnt(0)
	v_max_f32_e32 v36, v74, v74
	s_delay_alu instid0(VALU_DEP_1) | instskip(SKIP_3) | instid1(VALU_DEP_4)
	v_max_f32_e32 v36, v73, v36
	v_add_nc_u32_e32 v74, 0x1800, v63
	v_mul_f32_e32 v79, 0x3fb8aa3b, v77
	v_fma_f32 v73, 0x3fb8aa3b, v76, -v78
	v_dual_sub_f32 v65, v65, v36 :: v_dual_add_nc_u32 v176, 0x2800, v63
	v_sub_f32_e32 v81, v81, v36
	s_delay_alu instid0(VALU_DEP_4) | instskip(SKIP_3) | instid1(VALU_DEP_3)
	v_fma_f32 v82, 0x3fb8aa3b, v77, -v79
	v_rndne_f32_e32 v83, v79
	v_fmac_f32_e32 v73, 0x32a5705f, v76
	v_dual_sub_f32 v78, v78, v80 :: v_dual_mul_f32 v85, 0x3fb8aa3b, v65
	v_dual_mul_f32 v84, 0x3fb8aa3b, v81 :: v_dual_sub_f32 v79, v79, v83
	v_fmac_f32_e32 v82, 0x32a5705f, v77
	v_cvt_i32_f32_e32 v80, v80
	v_cvt_i32_f32_e32 v83, v83
	s_delay_alu instid0(VALU_DEP_4)
	v_rndne_f32_e32 v86, v84
	v_add_f32_e32 v73, v78, v73
	v_fma_f32 v78, 0x3fb8aa3b, v81, -v84
	v_add_f32_e32 v79, v79, v82
	v_fma_f32 v87, 0x3fb8aa3b, v65, -v85
	v_sub_f32_e32 v82, v84, v86
	v_exp_f32_e32 v73, v73
	v_fmac_f32_e32 v78, 0x32a5705f, v81
	v_exp_f32_e32 v79, v79
	v_rndne_f32_e32 v88, v85
	s_delay_alu instid0(VALU_DEP_2) | instskip(NEXT) | instid1(VALU_DEP_2)
	v_dual_fmac_f32 v87, 0x32a5705f, v65 :: v_dual_add_f32 v78, v82, v78
	v_sub_f32_e32 v84, v85, v88
	s_waitcnt_depctr 0xfff
	v_ldexp_f32 v73, v73, v80
	v_add_nc_u32_e32 v188, 0x3000, v63
	v_exp_f32_e32 v78, v78
	v_ldexp_f32 v79, v79, v83
	v_cvt_i32_f32_e32 v80, v86
	v_cndmask_b32_e32 v73, 0, v73, vcc_lo
	v_cmp_ngt_f32_e32 vcc_lo, 0xc2ce8ed0, v77
	v_cvt_i32_f32_e32 v83, v88
	v_cndmask_b32_e32 v79, 0, v79, vcc_lo
	v_cmp_nlt_f32_e32 vcc_lo, 0x42b17218, v76
	s_delay_alu instid0(TRANS32_DEP_1) | instskip(SKIP_3) | instid1(VALU_DEP_3)
	v_ldexp_f32 v78, v78, v80
	v_cndmask_b32_e32 v76, 0x7f800000, v73, vcc_lo
	v_cmp_ngt_f32_e32 vcc_lo, 0xc2ce8ed0, v81
	v_add_f32_e32 v82, v84, v87
	v_cvt_f16_f32_e64 v190, v76
	v_cndmask_b32_e32 v73, 0, v78, vcc_lo
	s_delay_alu instid0(VALU_DEP_3) | instskip(SKIP_1) | instid1(VALU_DEP_3)
	v_exp_f32_e32 v82, v82
	v_cmp_ngt_f32_e32 vcc_lo, 0xc2ce8ed0, v65
	v_pk_mul_f16 v49, v190, v49 op_sel_hi:[0,1]
	v_pk_mul_f16 v51, v190, v51 op_sel_hi:[0,1]
	s_waitcnt_depctr 0xfff
	v_ldexp_f32 v80, v82, v83
	s_delay_alu instid0(VALU_DEP_1) | instskip(SKIP_3) | instid1(VALU_DEP_2)
	v_cndmask_b32_e32 v78, 0, v80, vcc_lo
	v_cmp_nlt_f32_e32 vcc_lo, 0x42b17218, v77
	v_cndmask_b32_e32 v77, 0x7f800000, v79, vcc_lo
	v_cmp_nlt_f32_e32 vcc_lo, 0x42b17218, v81
	v_fma_f32 v47, v47, v76, v77
	v_cndmask_b32_e32 v73, 0x7f800000, v73, vcc_lo
	v_cmp_nlt_f32_e32 vcc_lo, 0x42b17218, v65
	s_delay_alu instid0(VALU_DEP_2) | instskip(SKIP_2) | instid1(VALU_DEP_2)
	v_cvt_f16_f32_e32 v79, v73
	v_cndmask_b32_e32 v65, 0x7f800000, v78, vcc_lo
	v_cvt_f16_f32_e32 v78, v77
	v_cvt_f16_f32_e64 v191, v65
	s_delay_alu instid0(VALU_DEP_2)
	v_pack_b32_f16 v76, v78, v79
	v_fmac_f32_e32 v73, v64, v65
	ds_store_b32 v59, v76
	s_waitcnt vmcnt(3)
	ds_store_b128 v58, v[0:3]
	s_waitcnt vmcnt(2)
	ds_store_b128 v60, v[4:7]
	;; [unrolled: 2-line block ×4, first 2 shown]
	v_pk_mul_f16 v43, v191, v43 op_sel_hi:[0,1]
	v_pk_mul_f16 v42, v191, v42 op_sel_hi:[0,1]
	;; [unrolled: 1-line block ×3, first 2 shown]
	s_waitcnt lgkmcnt(0)
	s_barrier
	buffer_gl0_inv
	ds_load_2addr_b64 v[0:3], v63 offset1:32
	ds_load_b128 v[4:7], v57
	ds_load_b128 v[8:11], v57 offset:16
	ds_load_b128 v[12:15], v57 offset:32
	;; [unrolled: 1-line block ×3, first 2 shown]
	ds_load_2addr_b64 v[80:83], v63 offset0:64 offset1:96
	ds_load_2addr_b64 v[84:87], v63 offset0:128 offset1:160
	ds_load_2addr_b64 v[88:91], v63 offset0:192 offset1:224
	ds_load_2addr_b64 v[92:95], v72 offset1:32
	ds_load_2addr_b64 v[96:99], v72 offset0:64 offset1:96
	ds_load_2addr_b64 v[100:103], v72 offset0:128 offset1:160
	ds_load_2addr_b64 v[104:107], v72 offset0:192 offset1:224
	ds_load_2addr_b64 v[108:111], v66 offset1:32
	;; [unrolled: 4-line block ×5, first 2 shown]
	ds_load_b128 v[160:163], v57 offset:64
	ds_load_b128 v[164:167], v57 offset:80
	ds_load_2addr_b64 v[168:171], v176 offset0:64 offset1:96
	ds_load_2addr_b64 v[172:175], v176 offset0:128 offset1:160
	;; [unrolled: 1-line block ×3, first 2 shown]
	ds_load_2addr_b64 v[180:183], v188 offset1:32
	ds_load_2addr_b64 v[184:187], v188 offset0:64 offset1:96
	s_waitcnt lgkmcnt(30)
	v_pk_mul_f16 v64, v0, v4 op_sel_hi:[1,0]
	v_pk_mul_f16 v65, v0, v4 op_sel:[0,1]
	v_pk_mul_f16 v66, v1, v4 op_sel_hi:[1,0]
	v_pk_fma_f16 v72, v1, v4, v43 op_sel:[0,1,0]
	v_pk_fma_f16 v49, v2, v4, v49 op_sel_hi:[1,0,1]
	v_pk_fma_f16 v74, v2, v4, v42 op_sel:[0,1,0]
	v_pk_fma_f16 v51, v3, v4, v51 op_sel_hi:[1,0,1]
	;; [unrolled: 2-line block ×3, first 2 shown]
	v_pk_fma_f16 v45, v190, v45, v64 op_sel_hi:[0,1,1]
	v_pk_fma_f16 v46, v190, v46, v66 op_sel_hi:[0,1,1]
	s_waitcnt lgkmcnt(26)
	v_pk_fma_f16 v64, v81, v5, v72 op_sel:[0,1,0]
	v_pk_fma_f16 v49, v82, v5, v49 op_sel_hi:[1,0,1]
	v_pk_fma_f16 v66, v82, v5, v74 op_sel:[0,1,0]
	v_pk_fma_f16 v51, v83, v5, v51 op_sel_hi:[1,0,1]
	v_pk_fma_f16 v4, v83, v5, v4 op_sel:[0,1,0]
	v_pk_fma_f16 v45, v80, v5, v45 op_sel_hi:[1,0,1]
	v_pk_fma_f16 v65, v80, v5, v65 op_sel:[0,1,0]
	v_pk_fma_f16 v5, v81, v5, v46 op_sel_hi:[1,0,1]
	s_waitcnt lgkmcnt(25)
	v_pk_fma_f16 v46, v85, v6, v64 op_sel:[0,1,0]
	v_pk_fma_f16 v49, v86, v6, v49 op_sel_hi:[1,0,1]
	v_pk_fma_f16 v64, v86, v6, v66 op_sel:[0,1,0]
	v_pk_fma_f16 v51, v87, v6, v51 op_sel_hi:[1,0,1]
	v_pk_fma_f16 v4, v87, v6, v4 op_sel:[0,1,0]
	v_pk_fma_f16 v45, v84, v6, v45 op_sel_hi:[1,0,1]
	v_pk_fma_f16 v65, v84, v6, v65 op_sel:[0,1,0]
	;; [unrolled: 9-line block ×16, first 2 shown]
	v_pk_fma_f16 v8, v141, v160, v8 op_sel_hi:[1,0,1]
	v_pk_fma_f16 v9, v145, v161, v9 op_sel:[0,1,0]
	v_pk_fma_f16 v10, v146, v161, v10 op_sel_hi:[1,0,1]
	v_pk_fma_f16 v11, v146, v161, v11 op_sel:[0,1,0]
	;; [unrolled: 2-line block ×12, first 2 shown]
	v_pk_fma_f16 v8, v153, v163, v8 op_sel_hi:[1,0,1]
	s_waitcnt lgkmcnt(5)
	v_pk_fma_f16 v9, v157, v164, v9 op_sel:[0,1,0]
	v_pk_fma_f16 v10, v158, v164, v10 op_sel_hi:[1,0,1]
	v_pk_fma_f16 v11, v158, v164, v11 op_sel:[0,1,0]
	v_pk_fma_f16 v12, v159, v164, v12 op_sel_hi:[1,0,1]
	;; [unrolled: 2-line block ×4, first 2 shown]
	ds_load_2addr_b64 v[0:3], v188 offset0:128 offset1:160
	ds_load_2addr_b64 v[40:43], v188 offset0:192 offset1:224
	ds_load_2addr_b64 v[80:83], v189 offset1:32
	ds_load_b128 v[4:7], v57 offset:96
	ds_load_b128 v[84:87], v57 offset:112
	ds_load_2addr_b64 v[88:91], v189 offset0:64 offset1:96
	s_waitcnt lgkmcnt(10)
	v_pk_fma_f16 v9, v169, v165, v9 op_sel:[0,1,0]
	v_pk_fma_f16 v10, v170, v165, v10 op_sel_hi:[1,0,1]
	v_pk_fma_f16 v11, v170, v165, v11 op_sel:[0,1,0]
	v_pk_fma_f16 v12, v171, v165, v12 op_sel_hi:[1,0,1]
	v_pk_fma_f16 v13, v171, v165, v13 op_sel:[0,1,0]
	v_pk_fma_f16 v14, v168, v165, v14 op_sel_hi:[1,0,1]
	v_pk_fma_f16 v15, v168, v165, v15 op_sel:[0,1,0]
	v_pk_fma_f16 v8, v169, v165, v8 op_sel_hi:[1,0,1]
	s_waitcnt lgkmcnt(9)
	v_pk_fma_f16 v9, v173, v166, v9 op_sel:[0,1,0]
	v_pk_fma_f16 v10, v174, v166, v10 op_sel_hi:[1,0,1]
	v_pk_fma_f16 v11, v174, v166, v11 op_sel:[0,1,0]
	v_pk_fma_f16 v12, v175, v166, v12 op_sel_hi:[1,0,1]
	v_pk_fma_f16 v13, v175, v166, v13 op_sel:[0,1,0]
	v_pk_fma_f16 v14, v172, v166, v14 op_sel_hi:[1,0,1]
	v_pk_fma_f16 v15, v172, v166, v15 op_sel:[0,1,0]
	v_pk_fma_f16 v8, v173, v166, v8 op_sel_hi:[1,0,1]
	;; [unrolled: 9-line block ×4, first 2 shown]
	v_pk_fma_f16 v8, v185, v5, v9 op_sel:[0,1,0]
	v_pk_fma_f16 v9, v186, v5, v10 op_sel_hi:[1,0,1]
	v_pk_fma_f16 v10, v186, v5, v11 op_sel:[0,1,0]
	v_pk_fma_f16 v11, v187, v5, v12 op_sel_hi:[1,0,1]
	;; [unrolled: 2-line block ×8, first 2 shown]
	ds_load_2addr_b64 v[92:95], v189 offset0:128 offset1:160
	ds_load_2addr_b64 v[188:191], v189 offset0:192 offset1:224
	s_waitcnt lgkmcnt(0)
	s_barrier
	buffer_gl0_inv
	s_load_b32 s19, s[4:5], 0x4
	v_pk_fma_f16 v4, v41, v7, v5 op_sel:[0,1,0]
	v_pk_fma_f16 v5, v42, v7, v8 op_sel_hi:[1,0,1]
	v_pk_fma_f16 v2, v42, v7, v2 op_sel:[0,1,0]
	v_pk_fma_f16 v6, v43, v7, v9 op_sel_hi:[1,0,1]
	;; [unrolled: 2-line block ×16, first 2 shown]
	s_waitcnt lgkmcnt(0)
	s_lshl_b32 s19, s19, 5
	v_pk_fma_f16 v43, v189, v87, v4 op_sel:[0,1,0]
	v_pk_fma_f16 v49, v190, v87, v5 op_sel_hi:[1,0,1]
	v_pk_fma_f16 v42, v190, v87, v2 op_sel:[0,1,0]
	v_pk_fma_f16 v51, v191, v87, v6 op_sel_hi:[1,0,1]
	v_pk_fma_f16 v41, v191, v87, v3 op_sel:[0,1,0]
	v_pk_fma_f16 v45, v188, v87, v7 op_sel_hi:[1,0,1]
	v_pk_fma_f16 v40, v188, v87, v0 op_sel:[0,1,0]
	v_pk_fma_f16 v46, v189, v87, v1 op_sel_hi:[1,0,1]
	s_add_i32 s3, s19, s3
	s_delay_alu instid0(SALU_CYCLE_1)
	s_cmp_ge_i32 s3, s2
	s_cbranch_scc1 .LBB59_19
; %bb.18:                               ;   in Loop: Header=BB59_9 Depth=1
	v_dual_mov_b32 v66, v35 :: v_dual_mov_b32 v65, v36
	v_mov_b32_e32 v64, v73
	s_branch .LBB59_9
.LBB59_19:
	v_mov_b32_e32 v3, v39
.LBB59_20:
	v_cmp_lt_i32_e32 vcc_lo, v71, v44
	s_cmp_lg_u64 s[24:25], 0
	s_cselect_b32 s2, -1, 0
	s_cmp_eq_u32 s14, 0
	v_cndmask_b32_e32 v0, v3, v71, vcc_lo
	v_cmp_lt_i32_e32 vcc_lo, v67, v44
	s_cselect_b32 s3, -1, 0
	s_delay_alu instid0(SALU_CYCLE_1) | instskip(SKIP_2) | instid1(VALU_DEP_2)
	s_and_b32 s2, s3, s2
	v_cndmask_b32_e32 v2, v3, v67, vcc_lo
	v_cmp_lt_i32_e32 vcc_lo, v68, v44
	v_dual_cndmask_b32 v5, v3, v68 :: v_dual_lshlrev_b32 v2, 2, v2
	v_cmp_lt_i32_e32 vcc_lo, v69, v44
	s_delay_alu instid0(VALU_DEP_2)
	v_lshlrev_b32_e32 v5, 2, v5
	v_lshlrev_b32_e32 v0, 2, v0
	ds_bpermute_b32 v1, v0, v47
	s_waitcnt lgkmcnt(0)
	v_add_f32_e32 v1, v47, v1
	ds_bpermute_b32 v0, v0, v73
	ds_bpermute_b32 v4, v2, v1
	s_waitcnt lgkmcnt(1)
	v_add_f32_e32 v0, v73, v0
	s_waitcnt lgkmcnt(0)
	v_add_f32_e32 v1, v1, v4
	ds_bpermute_b32 v2, v2, v0
	s_waitcnt lgkmcnt(0)
	v_add_f32_e32 v0, v0, v2
	ds_bpermute_b32 v2, v5, v1
	ds_bpermute_b32 v4, v5, v0
	v_cndmask_b32_e32 v5, v3, v69, vcc_lo
	v_cmp_lt_i32_e32 vcc_lo, v70, v44
	s_delay_alu instid0(VALU_DEP_2)
	v_lshlrev_b32_e32 v5, 2, v5
	s_waitcnt lgkmcnt(0)
	v_dual_add_f32 v1, v1, v2 :: v_dual_add_f32 v0, v0, v4
	ds_bpermute_b32 v2, v5, v1
	ds_bpermute_b32 v4, v5, v0
	v_cndmask_b32_e32 v3, v3, v70, vcc_lo
	s_and_b32 vcc_lo, exec_lo, s2
	s_waitcnt lgkmcnt(0)
	v_dual_add_f32 v1, v1, v2 :: v_dual_add_f32 v2, v0, v4
	s_delay_alu instid0(VALU_DEP_2)
	v_lshlrev_b32_e32 v3, 2, v3
	ds_bpermute_b32 v0, v3, v1
	s_waitcnt lgkmcnt(0)
	v_add_f32_e32 v0, v1, v0
	ds_bpermute_b32 v3, v3, v2
	s_waitcnt lgkmcnt(0)
	v_add_f32_e32 v1, v2, v3
	s_cbranch_vccz .LBB59_23
; %bb.21:
	v_add_nc_u32_e32 v2, s15, v38
	s_delay_alu instid0(VALU_DEP_1) | instskip(NEXT) | instid1(VALU_DEP_1)
	v_ashrrev_i32_e32 v3, 31, v2
	v_lshlrev_b64 v[2:3], 2, v[2:3]
	s_delay_alu instid0(VALU_DEP_1) | instskip(NEXT) | instid1(VALU_DEP_2)
	v_add_co_u32 v2, vcc_lo, s24, v2
	v_add_co_ci_u32_e32 v3, vcc_lo, s25, v3, vcc_lo
	global_load_b64 v[2:3], v[2:3], off
	v_max_f32_e32 v4, v35, v35
	s_waitcnt vmcnt(0)
	v_dual_max_f32 v6, v36, v36 :: v_dual_max_f32 v5, v2, v2
	s_delay_alu instid0(VALU_DEP_1) | instskip(NEXT) | instid1(VALU_DEP_1)
	v_dual_max_f32 v7, v3, v3 :: v_dual_max_f32 v4, v4, v5
	v_dual_max_f32 v5, v6, v7 :: v_dual_sub_f32 v6, v35, v4
	s_delay_alu instid0(VALU_DEP_1) | instskip(SKIP_2) | instid1(VALU_DEP_4)
	v_sub_f32_e32 v7, v36, v5
	v_dual_sub_f32 v3, v3, v5 :: v_dual_sub_f32 v2, v2, v4
	v_mov_b32_e32 v36, v5
	v_cmp_ngt_f32_e32 vcc_lo, 0xc2ce8ed0, v6
	s_delay_alu instid0(VALU_DEP_4) | instskip(NEXT) | instid1(VALU_DEP_4)
	v_mul_f32_e32 v10, 0x3fb8aa3b, v7
	v_mul_f32_e32 v11, 0x3fb8aa3b, v3
	;; [unrolled: 1-line block ×3, first 2 shown]
	v_mov_b32_e32 v35, v4
	s_delay_alu instid0(VALU_DEP_4) | instskip(NEXT) | instid1(VALU_DEP_4)
	v_fma_f32 v18, 0x3fb8aa3b, v7, -v10
	v_fma_f32 v20, 0x3fb8aa3b, v3, -v11
	s_delay_alu instid0(VALU_DEP_4)
	v_rndne_f32_e32 v15, v9
	v_mul_f32_e32 v8, 0x3fb8aa3b, v6
	v_fma_f32 v14, 0x3fb8aa3b, v2, -v9
	v_rndne_f32_e32 v21, v11
	v_fmac_f32_e32 v20, 0x32a5705f, v3
	v_sub_f32_e32 v9, v9, v15
	v_fma_f32 v12, 0x3fb8aa3b, v6, -v8
	v_rndne_f32_e32 v13, v8
	v_dual_sub_f32 v11, v11, v21 :: v_dual_fmac_f32 v14, 0x32a5705f, v2
	v_rndne_f32_e32 v19, v10
	s_delay_alu instid0(VALU_DEP_2) | instskip(NEXT) | instid1(VALU_DEP_3)
	v_dual_fmac_f32 v12, 0x32a5705f, v6 :: v_dual_add_f32 v11, v11, v20
	v_dual_sub_f32 v8, v8, v13 :: v_dual_add_f32 v9, v9, v14
	s_delay_alu instid0(VALU_DEP_3) | instskip(SKIP_1) | instid1(VALU_DEP_4)
	v_sub_f32_e32 v10, v10, v19
	v_cvt_i32_f32_e32 v14, v19
	v_exp_f32_e32 v11, v11
	s_delay_alu instid0(VALU_DEP_3)
	v_add_f32_e32 v8, v8, v12
	v_exp_f32_e32 v9, v9
	v_cvt_i32_f32_e32 v12, v13
	v_cvt_i32_f32_e32 v13, v15
	;; [unrolled: 1-line block ×3, first 2 shown]
	v_exp_f32_e32 v8, v8
	s_delay_alu instid0(TRANS32_DEP_3) | instid1(VALU_DEP_1)
	v_ldexp_f32 v11, v11, v15
	s_waitcnt_depctr 0xfff
	v_ldexp_f32 v9, v9, v13
	v_ldexp_f32 v8, v8, v12
	s_delay_alu instid0(VALU_DEP_1) | instskip(SKIP_1) | instid1(VALU_DEP_4)
	v_cndmask_b32_e32 v8, 0, v8, vcc_lo
	v_cmp_ngt_f32_e32 vcc_lo, 0xc2ce8ed0, v2
	v_dual_fmac_f32 v18, 0x32a5705f, v7 :: v_dual_cndmask_b32 v9, 0, v9
	s_delay_alu instid0(VALU_DEP_1) | instskip(SKIP_1) | instid1(VALU_DEP_2)
	v_add_f32_e32 v10, v10, v18
	v_cmp_ngt_f32_e32 vcc_lo, 0xc2ce8ed0, v7
	v_exp_f32_e32 v10, v10
	s_waitcnt_depctr 0xfff
	v_ldexp_f32 v10, v10, v14
	s_delay_alu instid0(VALU_DEP_1)
	v_cndmask_b32_e32 v10, 0, v10, vcc_lo
	v_cmp_ngt_f32_e32 vcc_lo, 0xc2ce8ed0, v3
	v_cndmask_b32_e32 v11, 0, v11, vcc_lo
	v_cmp_nlt_f32_e32 vcc_lo, 0x42b17218, v6
	v_cndmask_b32_e32 v6, 0x7f800000, v8, vcc_lo
	v_cmp_nlt_f32_e32 vcc_lo, 0x42b17218, v2
	s_delay_alu instid0(VALU_DEP_2) | instskip(SKIP_2) | instid1(VALU_DEP_3)
	v_cvt_f16_f32_e32 v8, v6
	v_cndmask_b32_e32 v2, 0x7f800000, v9, vcc_lo
	v_cmp_nlt_f32_e32 vcc_lo, 0x42b17218, v7
	v_pk_mul_f16 v45, v8, v45 op_sel_hi:[0,1]
	s_delay_alu instid0(VALU_DEP_3)
	v_fmac_f32_e32 v2, v0, v6
	v_cndmask_b32_e32 v7, 0x7f800000, v10, vcc_lo
	v_cmp_nlt_f32_e32 vcc_lo, 0x42b17218, v3
	v_pk_mul_f16 v46, v8, v46 op_sel_hi:[0,1]
	v_pk_mul_f16 v49, v8, v49 op_sel_hi:[0,1]
	;; [unrolled: 1-line block ×3, first 2 shown]
	v_cvt_f16_f32_e32 v0, v7
	v_cndmask_b32_e32 v3, 0x7f800000, v11, vcc_lo
	s_delay_alu instid0(VALU_DEP_2) | instskip(SKIP_4) | instid1(VALU_DEP_1)
	v_pk_mul_f16 v40, v0, v40 op_sel_hi:[0,1]
	v_pk_mul_f16 v43, v0, v43 op_sel_hi:[0,1]
	;; [unrolled: 1-line block ×4, first 2 shown]
	v_dual_mov_b32 v0, v2 :: v_dual_fmac_f32 v3, v1, v7
	v_mov_b32_e32 v1, v3
	s_mov_b32 s2, exec_lo
	v_cmpx_gt_i32_e64 s6, v16
	s_cbranch_execnz .LBB59_24
.LBB59_22:
	s_nop 0
	s_sendmsg sendmsg(MSG_DEALLOC_VGPRS)
	s_endpgm
.LBB59_23:
	s_delay_alu instid0(VALU_DEP_1)
	v_dual_mov_b32 v3, v1 :: v_dual_mov_b32 v2, v0
	s_mov_b32 s2, exec_lo
	v_cmpx_gt_i32_e64 s6, v16
	s_cbranch_execz .LBB59_22
.LBB59_24:
	s_load_b32 s1, s[0:1], 0xd4
	v_mov_b32_e32 v6, 1.0
	s_waitcnt lgkmcnt(0)
	s_cmp_lg_u32 s1, 1
	s_cselect_b32 s3, -1, 0
	s_cmp_eq_u32 s1, 1
	s_cselect_b32 s2, -1, 0
	s_and_b32 vcc_lo, exec_lo, s3
	s_cbranch_vccnz .LBB59_26
; %bb.25:
	v_div_scale_f32 v4, null, v0, v0, 1.0
	s_delay_alu instid0(VALU_DEP_1) | instskip(SKIP_2) | instid1(VALU_DEP_1)
	v_rcp_f32_e32 v5, v4
	s_waitcnt_depctr 0xfff
	v_fma_f32 v6, -v4, v5, 1.0
	v_fmac_f32_e32 v5, v6, v5
	v_div_scale_f32 v6, vcc_lo, 1.0, v0, 1.0
	s_delay_alu instid0(VALU_DEP_1) | instskip(NEXT) | instid1(VALU_DEP_1)
	v_mul_f32_e32 v7, v6, v5
	v_fma_f32 v8, -v4, v7, v6
	s_delay_alu instid0(VALU_DEP_1) | instskip(NEXT) | instid1(VALU_DEP_1)
	v_fmac_f32_e32 v7, v8, v5
	v_fma_f32 v4, -v4, v7, v6
	s_delay_alu instid0(VALU_DEP_1) | instskip(NEXT) | instid1(VALU_DEP_1)
	v_div_fmas_f32 v4, v4, v5, v7
	v_div_fixup_f32 v6, v4, v0, 1.0
.LBB59_26:
	v_mad_u64_u32 v[4:5], null, s12, s6, v[16:17]
	v_lshrrev_b32_e32 v7, 16, v46
	v_cvt_f32_f16_e32 v8, v46
	v_lshrrev_b32_e32 v10, 16, v45
	v_mov_b32_e32 v16, 0
	v_lshrrev_b32_e32 v12, 16, v51
	v_cmp_eq_u32_e32 vcc_lo, 0, v17
	v_mul_f32_e32 v9, v6, v8
	v_mul_lo_u32 v0, v4, s7
	v_cvt_f32_f16_e32 v11, v45
	v_cvt_f32_f16_e32 v14, v49
	;; [unrolled: 1-line block ×5, first 2 shown]
	v_mul_f32_e32 v7, v6, v11
	v_mul_f32_e32 v11, v6, v14
	v_add3_u32 v0, s15, v38, v0
	v_mul_f32_e32 v10, v6, v19
	v_mul_f32_e32 v14, v6, v12
	;; [unrolled: 1-line block ×3, first 2 shown]
	s_delay_alu instid0(VALU_DEP_4) | instskip(SKIP_2) | instid1(VALU_DEP_2)
	v_mad_u64_u32 v[4:5], null, s1, v0, s[14:15]
	v_cvt_f32_f16_e32 v0, v51
	v_lshrrev_b32_e32 v5, 16, v49
	v_mul_f32_e32 v13, v6, v0
	s_delay_alu instid0(VALU_DEP_4) | instskip(NEXT) | instid1(VALU_DEP_3)
	v_lshl_add_u32 v15, v4, 8, v37
	v_cvt_f32_f16_e32 v0, v5
	s_delay_alu instid0(VALU_DEP_2) | instskip(NEXT) | instid1(VALU_DEP_2)
	v_lshlrev_b64 v[17:18], 2, v[15:16]
	v_dual_mul_f32 v12, v6, v0 :: v_dual_add_nc_u32 v15, 0x80, v15
	s_delay_alu instid0(VALU_DEP_1) | instskip(NEXT) | instid1(VALU_DEP_3)
	v_lshlrev_b64 v[5:6], 2, v[15:16]
	v_add_co_u32 v15, s0, s28, v17
	s_delay_alu instid0(VALU_DEP_1) | instskip(NEXT) | instid1(VALU_DEP_3)
	v_add_co_ci_u32_e64 v16, s0, s29, v18, s0
	v_add_co_u32 v5, s0, s28, v5
	s_delay_alu instid0(VALU_DEP_1)
	v_add_co_ci_u32_e64 v6, s0, s29, v6, s0
	s_and_b32 s0, vcc_lo, s3
	s_clause 0x1
	global_store_b128 v[15:16], v[7:10], off
	global_store_b128 v[5:6], v[11:14], off
	s_and_saveexec_b32 s3, s0
	s_cbranch_execz .LBB59_28
; %bb.27:
	v_ashrrev_i32_e32 v5, 31, v4
	v_dual_mov_b32 v7, v35 :: v_dual_mov_b32 v8, v2
	s_delay_alu instid0(VALU_DEP_2) | instskip(NEXT) | instid1(VALU_DEP_1)
	v_lshlrev_b64 v[5:6], 3, v[4:5]
	v_add_co_u32 v5, vcc_lo, s30, v5
	s_delay_alu instid0(VALU_DEP_2)
	v_add_co_ci_u32_e32 v6, vcc_lo, s31, v6, vcc_lo
	global_store_b64 v[5:6], v[7:8], off
.LBB59_28:
	s_or_b32 exec_lo, exec_lo, s3
	v_mov_b32_e32 v2, 1.0
	s_and_not1_b32 vcc_lo, exec_lo, s2
	s_cbranch_vccnz .LBB59_30
; %bb.29:
	v_div_scale_f32 v0, null, v1, v1, 1.0
	s_delay_alu instid0(VALU_DEP_1) | instskip(SKIP_2) | instid1(VALU_DEP_1)
	v_rcp_f32_e32 v2, v0
	s_waitcnt_depctr 0xfff
	v_fma_f32 v5, -v0, v2, 1.0
	v_fmac_f32_e32 v2, v5, v2
	v_div_scale_f32 v5, vcc_lo, 1.0, v1, 1.0
	s_delay_alu instid0(VALU_DEP_1) | instskip(NEXT) | instid1(VALU_DEP_1)
	v_mul_f32_e32 v6, v5, v2
	v_fma_f32 v7, -v0, v6, v5
	s_delay_alu instid0(VALU_DEP_1) | instskip(NEXT) | instid1(VALU_DEP_1)
	v_fmac_f32_e32 v6, v7, v2
	v_fma_f32 v0, -v0, v6, v5
	s_delay_alu instid0(VALU_DEP_1) | instskip(NEXT) | instid1(VALU_DEP_1)
	v_div_fmas_f32 v0, v0, v2, v6
	v_div_fixup_f32 v2, v0, v1, 1.0
.LBB59_30:
	v_lshrrev_b32_e32 v1, 16, v43
	v_dual_mov_b32 v9, 0 :: v_dual_add_nc_u32 v0, s1, v4
	v_lshrrev_b32_e32 v4, 16, v40
	v_lshrrev_b32_e32 v14, 16, v42
	s_delay_alu instid0(VALU_DEP_4) | instskip(NEXT) | instid1(VALU_DEP_4)
	v_cvt_f32_f16_e32 v1, v1
	v_lshl_add_u32 v8, v0, 8, v37
	v_cvt_f32_f16_e32 v5, v43
	v_cvt_f32_f16_e32 v4, v4
	v_cvt_f32_f16_e32 v12, v40
	v_mul_f32_e32 v7, v2, v1
	v_lshlrev_b64 v[10:11], 2, v[8:9]
	v_add_nc_u32_e32 v8, 0x80, v8
	v_lshrrev_b32_e32 v1, 16, v41
	v_cvt_f32_f16_e32 v16, v14
	v_mul_f32_e32 v6, v2, v5
	v_mul_f32_e32 v5, v2, v4
	v_lshlrev_b64 v[14:15], 2, v[8:9]
	v_cvt_f32_f16_e32 v1, v1
	v_mul_f32_e32 v4, v2, v12
	v_add_co_u32 v12, vcc_lo, s28, v10
	v_cvt_f32_f16_e32 v10, v41
	v_cvt_f32_f16_e32 v17, v42
	v_add_co_ci_u32_e32 v13, vcc_lo, s29, v11, vcc_lo
	v_mul_f32_e32 v11, v2, v1
	v_add_co_u32 v1, vcc_lo, s28, v14
	v_mul_f32_e32 v10, v2, v10
	v_mul_f32_e32 v9, v2, v16
	;; [unrolled: 1-line block ×3, first 2 shown]
	v_add_co_ci_u32_e32 v2, vcc_lo, s29, v15, vcc_lo
	s_clause 0x1
	global_store_b128 v[12:13], v[4:7], off
	global_store_b128 v[1:2], v[8:11], off
	s_and_b32 exec_lo, exec_lo, s0
	s_cbranch_execz .LBB59_22
; %bb.31:
	v_ashrrev_i32_e32 v1, 31, v0
	v_mov_b32_e32 v2, v36
	s_delay_alu instid0(VALU_DEP_2) | instskip(NEXT) | instid1(VALU_DEP_1)
	v_lshlrev_b64 v[0:1], 3, v[0:1]
	v_add_co_u32 v0, vcc_lo, s30, v0
	s_delay_alu instid0(VALU_DEP_2)
	v_add_co_ci_u32_e32 v1, vcc_lo, s31, v1, vcc_lo
	global_store_b64 v[0:1], v[2:3], off
	s_nop 0
	s_sendmsg sendmsg(MSG_DEALLOC_VGPRS)
	s_endpgm
	.section	.rodata,"a",@progbits
	.p2align	6, 0x0
	.amdhsa_kernel _ZL15flash_attn_tileILi256ELi256ELi2ELi8ELb1EEvPKcS1_S1_S1_S1_PKiPfP15HIP_vector_typeIfLj2EEffffjfiS5_IjLj3EEiiiiiiiiiiiliiliiiiil
		.amdhsa_group_segment_fixed_size 26112
		.amdhsa_private_segment_fixed_size 0
		.amdhsa_kernarg_size 464
		.amdhsa_user_sgpr_count 13
		.amdhsa_user_sgpr_dispatch_ptr 0
		.amdhsa_user_sgpr_queue_ptr 0
		.amdhsa_user_sgpr_kernarg_segment_ptr 1
		.amdhsa_user_sgpr_dispatch_id 0
		.amdhsa_user_sgpr_private_segment_size 0
		.amdhsa_wavefront_size32 1
		.amdhsa_uses_dynamic_stack 0
		.amdhsa_enable_private_segment 0
		.amdhsa_system_sgpr_workgroup_id_x 1
		.amdhsa_system_sgpr_workgroup_id_y 1
		.amdhsa_system_sgpr_workgroup_id_z 1
		.amdhsa_system_sgpr_workgroup_info 0
		.amdhsa_system_vgpr_workitem_id 1
		.amdhsa_next_free_vgpr 192
		.amdhsa_next_free_sgpr 40
		.amdhsa_reserve_vcc 1
		.amdhsa_float_round_mode_32 0
		.amdhsa_float_round_mode_16_64 0
		.amdhsa_float_denorm_mode_32 3
		.amdhsa_float_denorm_mode_16_64 3
		.amdhsa_dx10_clamp 1
		.amdhsa_ieee_mode 1
		.amdhsa_fp16_overflow 0
		.amdhsa_workgroup_processor_mode 1
		.amdhsa_memory_ordered 1
		.amdhsa_forward_progress 0
		.amdhsa_shared_vgpr_count 0
		.amdhsa_exception_fp_ieee_invalid_op 0
		.amdhsa_exception_fp_denorm_src 0
		.amdhsa_exception_fp_ieee_div_zero 0
		.amdhsa_exception_fp_ieee_overflow 0
		.amdhsa_exception_fp_ieee_underflow 0
		.amdhsa_exception_fp_ieee_inexact 0
		.amdhsa_exception_int_div_zero 0
	.end_amdhsa_kernel
	.section	.text._ZL15flash_attn_tileILi256ELi256ELi2ELi8ELb1EEvPKcS1_S1_S1_S1_PKiPfP15HIP_vector_typeIfLj2EEffffjfiS5_IjLj3EEiiiiiiiiiiiliiliiiiil,"axG",@progbits,_ZL15flash_attn_tileILi256ELi256ELi2ELi8ELb1EEvPKcS1_S1_S1_S1_PKiPfP15HIP_vector_typeIfLj2EEffffjfiS5_IjLj3EEiiiiiiiiiiiliiliiiiil,comdat
.Lfunc_end59:
	.size	_ZL15flash_attn_tileILi256ELi256ELi2ELi8ELb1EEvPKcS1_S1_S1_S1_PKiPfP15HIP_vector_typeIfLj2EEffffjfiS5_IjLj3EEiiiiiiiiiiiliiliiiiil, .Lfunc_end59-_ZL15flash_attn_tileILi256ELi256ELi2ELi8ELb1EEvPKcS1_S1_S1_S1_PKiPfP15HIP_vector_typeIfLj2EEffffjfiS5_IjLj3EEiiiiiiiiiiiliiliiiiil
                                        ; -- End function
	.section	.AMDGPU.csdata,"",@progbits
; Kernel info:
; codeLenInByte = 14268
; NumSgprs: 42
; NumVgprs: 192
; ScratchSize: 0
; MemoryBound: 0
; FloatMode: 240
; IeeeMode: 1
; LDSByteSize: 26112 bytes/workgroup (compile time only)
; SGPRBlocks: 5
; VGPRBlocks: 23
; NumSGPRsForWavesPerEU: 42
; NumVGPRsForWavesPerEU: 192
; Occupancy: 8
; WaveLimiterHint : 1
; COMPUTE_PGM_RSRC2:SCRATCH_EN: 0
; COMPUTE_PGM_RSRC2:USER_SGPR: 13
; COMPUTE_PGM_RSRC2:TRAP_HANDLER: 0
; COMPUTE_PGM_RSRC2:TGID_X_EN: 1
; COMPUTE_PGM_RSRC2:TGID_Y_EN: 1
; COMPUTE_PGM_RSRC2:TGID_Z_EN: 1
; COMPUTE_PGM_RSRC2:TIDIG_COMP_CNT: 1
	.section	.text._ZL15flash_attn_tileILi256ELi256ELi1ELi8ELb1EEvPKcS1_S1_S1_S1_PKiPfP15HIP_vector_typeIfLj2EEffffjfiS5_IjLj3EEiiiiiiiiiiiliiliiiiil,"axG",@progbits,_ZL15flash_attn_tileILi256ELi256ELi1ELi8ELb1EEvPKcS1_S1_S1_S1_PKiPfP15HIP_vector_typeIfLj2EEffffjfiS5_IjLj3EEiiiiiiiiiiiliiliiiiil,comdat
	.globl	_ZL15flash_attn_tileILi256ELi256ELi1ELi8ELb1EEvPKcS1_S1_S1_S1_PKiPfP15HIP_vector_typeIfLj2EEffffjfiS5_IjLj3EEiiiiiiiiiiiliiliiiiil ; -- Begin function _ZL15flash_attn_tileILi256ELi256ELi1ELi8ELb1EEvPKcS1_S1_S1_S1_PKiPfP15HIP_vector_typeIfLj2EEffffjfiS5_IjLj3EEiiiiiiiiiiiliiliiiiil
	.p2align	8
	.type	_ZL15flash_attn_tileILi256ELi256ELi1ELi8ELb1EEvPKcS1_S1_S1_S1_PKiPfP15HIP_vector_typeIfLj2EEffffjfiS5_IjLj3EEiiiiiiiiiiiliiliiiiil,@function
_ZL15flash_attn_tileILi256ELi256ELi1ELi8ELb1EEvPKcS1_S1_S1_S1_PKiPfP15HIP_vector_typeIfLj2EEffffjfiS5_IjLj3EEiiiiiiiiiiiliiliiiiil: ; @_ZL15flash_attn_tileILi256ELi256ELi1ELi8ELb1EEvPKcS1_S1_S1_S1_PKiPfP15HIP_vector_typeIfLj2EEffffjfiS5_IjLj3EEiiiiiiiiiiiliiliiiiil
; %bb.0:
	s_clause 0x1
	s_load_b128 s[4:7], s[0:1], 0x5c
	s_load_b64 s[34:35], s[0:1], 0x80
	s_mov_b64 s[36:37], 0
	s_waitcnt lgkmcnt(0)
	s_ashr_i32 s2, s7, 31
	s_delay_alu instid0(SALU_CYCLE_1) | instskip(NEXT) | instid1(SALU_CYCLE_1)
	s_lshr_b32 s2, s2, 29
	s_add_i32 s2, s7, s2
	s_delay_alu instid0(SALU_CYCLE_1) | instskip(NEXT) | instid1(SALU_CYCLE_1)
	s_ashr_i32 s2, s2, 3
	v_cvt_f32_u32_e32 v1, s2
	s_sub_i32 s8, 0, s2
	s_delay_alu instid0(VALU_DEP_1) | instskip(SKIP_2) | instid1(VALU_DEP_1)
	v_rcp_iflag_f32_e32 v1, v1
	s_waitcnt_depctr 0xfff
	v_mul_f32_e32 v1, 0x4f7ffffe, v1
	v_cvt_u32_f32_e32 v1, v1
	s_delay_alu instid0(VALU_DEP_1) | instskip(NEXT) | instid1(VALU_DEP_1)
	v_readfirstlane_b32 s3, v1
	s_mul_i32 s8, s8, s3
	s_delay_alu instid0(SALU_CYCLE_1) | instskip(NEXT) | instid1(SALU_CYCLE_1)
	s_mul_hi_u32 s8, s3, s8
	s_add_i32 s3, s3, s8
	s_delay_alu instid0(SALU_CYCLE_1) | instskip(NEXT) | instid1(SALU_CYCLE_1)
	s_mul_hi_u32 s3, s15, s3
	s_mul_i32 s8, s3, s2
	s_add_i32 s9, s3, 1
	s_sub_i32 s8, s15, s8
	s_delay_alu instid0(SALU_CYCLE_1)
	s_sub_i32 s10, s8, s2
	s_cmp_ge_u32 s8, s2
	s_cselect_b32 s3, s9, s3
	s_cselect_b32 s8, s10, s8
	s_add_i32 s9, s3, 1
	s_cmp_ge_u32 s8, s2
	s_cselect_b32 s12, s9, s3
	s_abs_i32 s2, s35
	s_abs_i32 s11, s7
	v_cvt_f32_u32_e32 v1, s2
	s_sub_i32 s8, 0, s2
	s_lshl_b32 s9, s15, 3
	s_mul_i32 s10, s12, s7
	s_delay_alu instid0(VALU_DEP_1) | instskip(SKIP_3) | instid1(VALU_DEP_1)
	v_rcp_iflag_f32_e32 v1, v1
	s_sub_i32 s15, s9, s10
	s_waitcnt_depctr 0xfff
	v_mul_f32_e32 v1, 0x4f7ffffe, v1
	v_cvt_u32_f32_e32 v1, v1
	s_delay_alu instid0(VALU_DEP_1) | instskip(NEXT) | instid1(VALU_DEP_1)
	v_readfirstlane_b32 s3, v1
	s_mul_i32 s8, s8, s3
	s_delay_alu instid0(SALU_CYCLE_1) | instskip(NEXT) | instid1(SALU_CYCLE_1)
	s_mul_hi_u32 s8, s3, s8
	s_add_i32 s3, s3, s8
	s_xor_b32 s8, s7, s35
	s_mul_hi_u32 s3, s11, s3
	s_ashr_i32 s8, s8, 31
	s_mul_i32 s9, s3, s2
	s_add_i32 s10, s3, 1
	s_sub_i32 s9, s11, s9
	s_delay_alu instid0(SALU_CYCLE_1)
	s_sub_i32 s11, s9, s2
	s_cmp_ge_u32 s9, s2
	s_cselect_b32 s3, s10, s3
	s_cselect_b32 s9, s11, s9
	s_add_i32 s10, s3, 1
	s_cmp_ge_u32 s9, s2
	s_cselect_b32 s2, s10, s3
	s_delay_alu instid0(SALU_CYCLE_1) | instskip(NEXT) | instid1(SALU_CYCLE_1)
	s_xor_b32 s2, s2, s8
	s_sub_i32 s35, s2, s8
	s_clause 0x1
	s_load_b512 s[16:31], s[0:1], 0x0
	s_load_b64 s[2:3], s[0:1], 0xb8
	s_abs_i32 s33, s35
	s_delay_alu instid0(SALU_CYCLE_1) | instskip(NEXT) | instid1(VALU_DEP_1)
	v_cvt_f32_u32_e32 v1, s33
	v_rcp_iflag_f32_e32 v1, v1
	s_waitcnt_depctr 0xfff
	v_mul_f32_e32 v1, 0x4f7ffffe, v1
	s_waitcnt lgkmcnt(0)
	s_cmp_eq_u64 s[22:23], 0
	s_delay_alu instid0(VALU_DEP_1) | instskip(NEXT) | instid1(VALU_DEP_1)
	v_cvt_u32_f32_e32 v1, v1
	v_readfirstlane_b32 s38, v1
	s_cbranch_scc1 .LBB60_2
; %bb.1:
	s_abs_i32 s2, s2
	s_abs_i32 s10, s12
	v_cvt_f32_u32_e32 v1, s2
	s_sub_i32 s9, 0, s2
	s_delay_alu instid0(VALU_DEP_1) | instskip(SKIP_2) | instid1(VALU_DEP_1)
	v_rcp_iflag_f32_e32 v1, v1
	s_waitcnt_depctr 0xfff
	v_mul_f32_e32 v1, 0x4f7ffffe, v1
	v_cvt_u32_f32_e32 v1, v1
	s_delay_alu instid0(VALU_DEP_1) | instskip(NEXT) | instid1(VALU_DEP_1)
	v_readfirstlane_b32 s8, v1
	s_mul_i32 s9, s9, s8
	s_delay_alu instid0(SALU_CYCLE_1) | instskip(NEXT) | instid1(SALU_CYCLE_1)
	s_mul_hi_u32 s9, s8, s9
	s_add_i32 s11, s8, s9
	s_load_b64 s[8:9], s[0:1], 0xc8
	s_mul_hi_u32 s11, s10, s11
	s_delay_alu instid0(SALU_CYCLE_1) | instskip(NEXT) | instid1(SALU_CYCLE_1)
	s_mul_i32 s11, s11, s2
	s_sub_i32 s10, s10, s11
	s_ashr_i32 s11, s12, 31
	s_sub_i32 s36, s10, s2
	s_cmp_ge_u32 s10, s2
	s_cselect_b32 s10, s36, s10
	s_delay_alu instid0(SALU_CYCLE_1) | instskip(SKIP_2) | instid1(SALU_CYCLE_1)
	s_sub_i32 s36, s10, s2
	s_cmp_ge_u32 s10, s2
	s_cselect_b32 s2, s36, s10
	s_xor_b32 s2, s2, s11
	s_delay_alu instid0(SALU_CYCLE_1)
	s_sub_i32 s2, s2, s11
	s_waitcnt lgkmcnt(0)
	s_mul_i32 s9, s2, s9
	s_mul_hi_u32 s10, s2, s8
	s_ashr_i32 s11, s2, 31
	s_add_i32 s9, s10, s9
	s_mul_i32 s11, s11, s8
	s_mul_i32 s2, s2, s8
	s_add_i32 s9, s9, s11
	s_add_u32 s36, s22, s2
	s_addc_u32 s37, s23, s9
.LBB60_2:
	v_bfe_u32 v2, v0, 10, 10
	s_load_b128 s[8:11], s[0:1], 0x70
	v_and_b32_e32 v0, 0x3ff, v0
	s_delay_alu instid0(VALU_DEP_2) | instskip(SKIP_1) | instid1(VALU_DEP_2)
	v_lshrrev_b32_e32 v1, 2, v2
	v_lshlrev_b32_e32 v7, 1, v2
	v_add_nc_u32_e32 v1, s13, v1
	s_delay_alu instid0(VALU_DEP_2) | instskip(NEXT) | instid1(VALU_DEP_2)
	v_or_b32_e32 v22, 1, v7
	v_mul_hi_u32 v3, s4, v1
	s_waitcnt lgkmcnt(0)
	s_mul_i32 s2, s12, s10
	s_mul_i32 s4, s15, s9
	s_delay_alu instid0(VALU_DEP_1) | instskip(NEXT) | instid1(VALU_DEP_1)
	v_add_nc_u32_e32 v3, v1, v3
	v_lshrrev_b32_e32 v3, s5, v3
	s_ashr_i32 s5, s2, 31
	s_add_u32 s2, s16, s2
	s_addc_u32 s5, s17, s5
	s_ashr_i32 s10, s4, 31
	v_mul_lo_u32 v3, v3, s6
	s_add_u32 s2, s2, s4
	s_addc_u32 s4, s5, s10
	s_ashr_i32 s5, s8, 31
	s_delay_alu instid0(SALU_CYCLE_1) | instskip(SKIP_2) | instid1(VALU_DEP_2)
	v_alignbit_b32 v8, s5, s8, 2
	s_ashr_i32 s8, s9, 31
	s_lshr_b32 s5, s5, 2
	v_sub_nc_u32_e32 v4, v1, v3
	v_alignbit_b32 v11, s8, s9, 2
	s_delay_alu instid0(VALU_DEP_2) | instskip(NEXT) | instid1(VALU_DEP_1)
	v_mad_u64_u32 v[5:6], null, v8, v4, 0
	v_dual_mov_b32 v3, v6 :: v_dual_and_b32 v38, 6, v7
	s_delay_alu instid0(VALU_DEP_1) | instskip(SKIP_2) | instid1(VALU_DEP_2)
	v_mad_u64_u32 v[7:8], null, v11, v38, 0
	v_and_b32_e32 v14, 7, v22
	v_lshlrev_b32_e32 v22, 7, v22
	v_mad_u64_u32 v[9:10], null, v11, v14, 0
	v_mad_u64_u32 v[11:12], null, s5, v4, v[3:4]
	v_mov_b32_e32 v3, v8
	s_lshr_b32 s5, s8, 2
	s_cmp_eq_u64 s[26:27], 0
	s_delay_alu instid0(VALU_DEP_3) | instskip(NEXT) | instid1(VALU_DEP_2)
	v_mov_b32_e32 v8, v10
	v_mad_u64_u32 v[12:13], null, s5, v38, v[3:4]
	s_delay_alu instid0(VALU_DEP_4) | instskip(NEXT) | instid1(VALU_DEP_3)
	v_dual_mov_b32 v6, v11 :: v_dual_lshlrev_b32 v3, 4, v0
	v_mad_u64_u32 v[10:11], null, s5, v14, v[8:9]
	s_mov_b32 s5, 0
	s_delay_alu instid0(VALU_DEP_2) | instskip(NEXT) | instid1(VALU_DEP_4)
	v_lshlrev_b64 v[5:6], 2, v[5:6]
	v_mov_b32_e32 v8, v12
	s_delay_alu instid0(VALU_DEP_2) | instskip(NEXT) | instid1(VALU_DEP_3)
	v_add_co_u32 v11, vcc_lo, s2, v5
	v_add_co_ci_u32_e32 v12, vcc_lo, s4, v6, vcc_lo
	s_delay_alu instid0(VALU_DEP_3) | instskip(NEXT) | instid1(VALU_DEP_3)
	v_lshlrev_b64 v[5:6], 2, v[7:8]
	v_add_co_u32 v3, vcc_lo, v11, v3
	s_delay_alu instid0(VALU_DEP_3) | instskip(SKIP_1) | instid1(VALU_DEP_3)
	v_add_co_ci_u32_e32 v12, vcc_lo, 0, v12, vcc_lo
	v_lshlrev_b64 v[7:8], 2, v[9:10]
	v_add_co_u32 v10, vcc_lo, v3, v5
	s_delay_alu instid0(VALU_DEP_3) | instskip(SKIP_1) | instid1(VALU_DEP_3)
	v_add_co_ci_u32_e32 v11, vcc_lo, v12, v6, vcc_lo
	s_load_b32 s2, s[0:1], 0x40
	v_add_co_u32 v18, vcc_lo, v3, v7
	s_delay_alu instid0(VALU_DEP_4)
	v_add_co_ci_u32_e32 v19, vcc_lo, v12, v8, vcc_lo
	s_clause 0x3
	global_load_b128 v[6:9], v[10:11], off
	global_load_b128 v[10:13], v[10:11], off offset:512
	global_load_b128 v[14:17], v[18:19], off
	global_load_b128 v[18:21], v[18:19], off offset:512
	v_lshlrev_b32_e32 v5, 1, v0
	v_lshlrev_b32_e32 v3, 3, v0
	s_delay_alu instid0(VALU_DEP_2) | instskip(NEXT) | instid1(VALU_DEP_2)
	v_add_lshl_u32 v22, v22, v5, 2
	v_lshl_or_b32 v3, v2, 10, v3
	s_delay_alu instid0(VALU_DEP_2) | instskip(NEXT) | instid1(VALU_DEP_2)
	v_add_nc_u32_e32 v30, 0x4000, v22
	v_add_nc_u32_e32 v3, 0x4000, v3
	s_waitcnt vmcnt(3) lgkmcnt(0)
	v_fma_mixlo_f16 v22, v6, s2, 0
	v_fma_mixlo_f16 v23, v8, s2, 0
	s_waitcnt vmcnt(2)
	v_fma_mixlo_f16 v24, v10, s2, 0
	v_fma_mixlo_f16 v25, v12, s2, 0
	s_waitcnt vmcnt(1)
	;; [unrolled: 3-line block ×3, first 2 shown]
	v_fma_mixlo_f16 v28, v18, s2, 0
	v_fma_mixlo_f16 v29, v20, s2, 0
	v_fma_mixhi_f16 v23, v9, s2, 0
	v_fma_mixhi_f16 v22, v7, s2, 0
	;; [unrolled: 1-line block ×8, first 2 shown]
	ds_store_2addr_b64 v3, v[22:23], v[24:25] offset0:64 offset1:96
	ds_store_2addr_b64 v30, v[26:27], v[28:29] offset0:64 offset1:96
	s_waitcnt lgkmcnt(0)
	s_barrier
	buffer_gl0_inv
	s_cbranch_scc1 .LBB60_4
; %bb.3:
	s_load_b32 s2, s[0:1], 0xd0
	s_waitcnt lgkmcnt(0)
	s_mul_i32 s2, s2, s12
	s_delay_alu instid0(SALU_CYCLE_1) | instskip(NEXT) | instid1(SALU_CYCLE_1)
	s_add_i32 s4, s2, s13
	s_lshl_b64 s[4:5], s[4:5], 2
	s_delay_alu instid0(SALU_CYCLE_1)
	s_add_u32 s4, s26, s4
	s_addc_u32 s5, s27, s5
	s_load_b32 s34, s[4:5], 0x0
.LBB60_4:
	v_lshlrev_b32_e32 v37, 2, v0
	v_mbcnt_lo_u32_b32 v39, -1, 0
	s_lshl_b32 s5, s14, 5
	s_waitcnt lgkmcnt(0)
	s_cmp_lt_i32 s5, s34
	s_cbranch_scc1 .LBB60_6
; %bb.5:
	v_mbcnt_lo_u32_b32 v3, -1, 0
	v_mov_b32_e32 v40, 32
	s_mov_b32 s2, 0
	s_mov_b32 s4, 0xfeffffff
	s_delay_alu instid0(VALU_DEP_2)
	v_xor_b32_e32 v79, 16, v3
	v_xor_b32_e32 v74, 8, v3
	;; [unrolled: 1-line block ×5, first 2 shown]
	s_branch .LBB60_7
.LBB60_6:
	s_mov_b32 s2, -1
                                        ; implicit-def: $sgpr4
                                        ; implicit-def: $vgpr3
                                        ; implicit-def: $vgpr40
                                        ; implicit-def: $vgpr79
                                        ; implicit-def: $vgpr74
                                        ; implicit-def: $vgpr76
                                        ; implicit-def: $vgpr77
                                        ; implicit-def: $vgpr78
.LBB60_7:
	s_delay_alu instid0(SALU_CYCLE_1) | instskip(SKIP_2) | instid1(VALU_DEP_3)
	v_cndmask_b32_e64 v6, 0, 1, s2
	v_dual_mov_b32 v36, s4 :: v_dual_mov_b32 v69, s2
	v_dual_mov_b32 v80, s2 :: v_dual_mov_b32 v35, s4
	v_cmp_ne_u32_e32 vcc_lo, 1, v6
	v_dual_mov_b32 v43, s2 :: v_dual_mov_b32 v70, s2
	v_dual_mov_b32 v71, s2 :: v_dual_mov_b32 v72, s2
	;; [unrolled: 1-line block ×4, first 2 shown]
	s_cbranch_vccnz .LBB60_20
; %bb.8:
	s_clause 0x1
	s_load_b128 s[8:11], s[0:1], 0x98
	s_load_b64 s[22:23], s[0:1], 0x8c
	s_sub_i32 s2, 0, s33
	s_abs_i32 s4, s15
	s_mul_i32 s2, s2, s38
	s_ashr_i32 s26, s35, 31
	s_mul_hi_u32 s2, s38, s2
	s_ashr_i32 s17, s15, 31
	s_add_i32 s38, s38, s2
	s_ashr_i32 s27, s3, 1
	s_mul_hi_u32 s35, s4, s38
	s_ashr_i32 s38, s12, 31
	s_load_b64 s[2:3], s[0:1], 0xa8
	s_mul_i32 s39, s35, s33
	v_dual_mov_b32 v64, 0 :: v_dual_lshlrev_b32 v41, 2, v37
	v_lshl_add_u32 v46, v2, 7, 0x5200
	v_lshl_add_u32 v44, v2, 10, 0x4200
	v_lshlrev_b32_e32 v63, 2, v5
	s_delay_alu instid0(VALU_DEP_4)
	v_mad_u32_u24 v45, 0x210, v2, v41
	s_waitcnt lgkmcnt(0)
	s_mul_i32 s9, s12, s9
	s_mul_hi_u32 s40, s12, s8
	s_mul_i32 s41, s38, s8
	s_add_i32 s9, s40, s9
	s_mul_i32 s8, s12, s8
	s_ashr_i32 s13, s10, 2
	s_ashr_i32 s16, s22, 2
	s_add_i32 s9, s9, s41
	s_add_u32 s8, s18, s8
	s_addc_u32 s9, s19, s9
	s_sub_i32 s4, s4, s39
	s_xor_b32 s17, s17, s26
	s_add_i32 s18, s35, 1
	s_sub_i32 s19, s4, s33
	s_cmp_ge_u32 s4, s33
	s_mul_i32 s3, s12, s3
	s_cselect_b32 s18, s18, s35
	s_cselect_b32 s4, s19, s4
	s_add_i32 s19, s18, 1
	s_cmp_ge_u32 s4, s33
	s_mul_i32 s38, s38, s2
	s_cselect_b32 s4, s19, s18
	s_mul_hi_u32 s19, s12, s2
	s_xor_b32 s4, s4, s17
	v_mul_lo_u32 v6, s16, v2
	s_sub_i32 s4, s4, s17
	v_mul_lo_u32 v19, s13, v2
	s_mul_i32 s17, s4, s23
	s_mul_i32 s2, s12, s2
	s_ashr_i32 s18, s17, 31
	s_add_u32 s17, s8, s17
	s_addc_u32 s18, s9, s18
	s_add_i32 s3, s19, s3
	s_mul_i32 s4, s4, s11
	s_add_i32 s3, s3, s38
	s_add_u32 s2, s20, s2
	s_addc_u32 s3, s21, s3
	s_ashr_i32 s8, s4, 31
	s_add_u32 s11, s2, s4
	s_addc_u32 s19, s3, s8
	s_and_b32 s2, s22, -4
	s_and_b32 s3, s10, -4
	v_dual_mov_b32 v73, 0xfeffffff :: v_dual_add_nc_u32 v8, s2, v6
	v_dual_mov_b32 v68, 0 :: v_dual_add_nc_u32 v21, s3, v19
	s_delay_alu instid0(VALU_DEP_2) | instskip(NEXT) | instid1(VALU_DEP_2)
	v_dual_mov_b32 v43, 0 :: v_dual_add_nc_u32 v10, s2, v8
	v_dual_mov_b32 v70, 0 :: v_dual_add_nc_u32 v23, s3, v21
	v_mov_b32_e32 v71, 0
	s_load_b32 s20, s[0:1], 0x54
	s_delay_alu instid0(VALU_DEP_3)
	v_add_nc_u32_e32 v12, s2, v10
	v_ashrrev_i32_e32 v7, 31, v6
	v_add_nc_u32_e32 v27, s3, v23
	v_mov_b32_e32 v75, 0xfeffffff
	v_ashrrev_i32_e32 v9, 31, v8
	v_add_nc_u32_e32 v14, s2, v12
	v_ashrrev_i32_e32 v11, 31, v10
	v_add_nc_u32_e32 v31, s3, v27
	v_ashrrev_i32_e32 v13, 31, v12
	v_ashrrev_i32_e32 v20, 31, v19
	v_add_nc_u32_e32 v16, s2, v14
	v_ashrrev_i32_e32 v15, 31, v14
	v_add_nc_u32_e32 v33, s3, v31
	v_ashrrev_i32_e32 v22, 31, v21
	;; [unrolled: 5-line block ×4, first 2 shown]
	v_ashrrev_i32_e32 v36, 31, v35
	v_ashrrev_i32_e32 v30, 31, v29
	v_lshl_add_u32 v47, v2, 9, v41
	v_ashrrev_i32_e32 v66, 31, v65
	v_mad_u64_u32 v[2:3], null, v4, s27, v[0:1]
	v_lshl_add_u32 v55, v5, 1, v46
	v_lshlrev_b64 v[3:4], 2, v[6:7]
	v_lshlrev_b64 v[5:6], 2, v[8:9]
	v_lshlrev_b64 v[7:8], 2, v[10:11]
	v_lshlrev_b64 v[9:10], 2, v[12:13]
	v_lshlrev_b64 v[11:12], 2, v[14:15]
	v_lshlrev_b64 v[13:14], 2, v[16:17]
	v_lshlrev_b64 v[15:16], 2, v[25:26]
	v_lshlrev_b64 v[17:18], 2, v[29:30]
	v_lshlrev_b64 v[19:20], 2, v[19:20]
	v_lshlrev_b64 v[21:22], 2, v[21:22]
	v_lshlrev_b64 v[23:24], 2, v[23:24]
	v_lshlrev_b64 v[25:26], 2, v[27:28]
	v_lshlrev_b64 v[27:28], 2, v[31:32]
	v_lshlrev_b64 v[29:30], 2, v[33:34]
	v_lshlrev_b64 v[31:32], 2, v[35:36]
	v_lshlrev_b64 v[33:34], 2, v[65:66]
	v_mul_u32_u24_e32 v42, 0x210, v0
	v_dual_mov_b32 v67, 0 :: v_dual_add_nc_u32 v48, 0x840, v45
	v_dual_mov_b32 v40, 32 :: v_dual_add_nc_u32 v49, 0x1080, v45
	;; [unrolled: 1-line block ×4, first 2 shown]
	v_add_nc_u32_e32 v52, 0x2940, v45
	v_dual_mov_b32 v66, 0 :: v_dual_add_nc_u32 v53, 0x3180, v45
	v_add_nc_u32_e32 v54, 0x39c0, v45
	v_add_nc_u32_e32 v56, 0x800, v47
	;; [unrolled: 1-line block ×7, first 2 shown]
	v_dual_mov_b32 v65, 0 :: v_dual_add_nc_u32 v62, 0x3800, v47
	s_add_u32 s8, s0, 0xd0
	s_addc_u32 s9, s1, 0
	s_mov_b32 s10, 0xbbbac73d
.LBB60_9:                               ; =>This Inner Loop Header: Depth=1
	s_mul_hi_i32 s3, s5, s16
	s_mul_i32 s2, s5, s16
	s_delay_alu instid0(SALU_CYCLE_1) | instskip(NEXT) | instid1(SALU_CYCLE_1)
	s_lshl_b64 s[2:3], s[2:3], 2
	s_add_u32 s2, s17, s2
	s_addc_u32 s3, s18, s3
	v_add_co_u32 v35, vcc_lo, s2, v3
	v_add_co_ci_u32_e32 v36, vcc_lo, s3, v4, vcc_lo
	v_add_co_u32 v74, vcc_lo, s2, v5
	v_add_co_ci_u32_e32 v76, vcc_lo, s3, v6, vcc_lo
	s_delay_alu instid0(VALU_DEP_4) | instskip(NEXT) | instid1(VALU_DEP_4)
	v_add_co_u32 v35, vcc_lo, v35, v41
	v_add_co_ci_u32_e32 v36, vcc_lo, 0, v36, vcc_lo
	s_delay_alu instid0(VALU_DEP_4) | instskip(NEXT) | instid1(VALU_DEP_4)
	v_add_co_u32 v80, vcc_lo, v74, v41
	v_add_co_ci_u32_e32 v81, vcc_lo, 0, v76, vcc_lo
	s_clause 0x1
	global_load_b128 v[76:79], v[35:36], off
	global_load_b128 v[80:83], v[80:81], off
	v_add_co_u32 v35, vcc_lo, s2, v7
	v_add_co_ci_u32_e32 v36, vcc_lo, s3, v8, vcc_lo
	v_add_co_u32 v74, vcc_lo, s2, v9
	v_add_co_ci_u32_e32 v84, vcc_lo, s3, v10, vcc_lo
	s_delay_alu instid0(VALU_DEP_4) | instskip(NEXT) | instid1(VALU_DEP_4)
	v_add_co_u32 v35, vcc_lo, v35, v41
	v_add_co_ci_u32_e32 v36, vcc_lo, 0, v36, vcc_lo
	s_delay_alu instid0(VALU_DEP_4) | instskip(NEXT) | instid1(VALU_DEP_4)
	v_add_co_u32 v88, vcc_lo, v74, v41
	v_add_co_ci_u32_e32 v89, vcc_lo, 0, v84, vcc_lo
	v_add_co_u32 v74, vcc_lo, s2, v11
	v_add_co_ci_u32_e32 v84, vcc_lo, s3, v12, vcc_lo
	v_add_co_u32 v85, vcc_lo, s2, v13
	v_add_co_ci_u32_e32 v86, vcc_lo, s3, v14, vcc_lo
	s_delay_alu instid0(VALU_DEP_4) | instskip(NEXT) | instid1(VALU_DEP_4)
	v_add_co_u32 v92, vcc_lo, v74, v41
	v_add_co_ci_u32_e32 v93, vcc_lo, 0, v84, vcc_lo
	s_delay_alu instid0(VALU_DEP_4) | instskip(NEXT) | instid1(VALU_DEP_4)
	v_add_co_u32 v96, vcc_lo, v85, v41
	v_add_co_ci_u32_e32 v97, vcc_lo, 0, v86, vcc_lo
	;; [unrolled: 10-line block ×3, first 2 shown]
	s_clause 0x5
	global_load_b128 v[84:87], v[35:36], off
	global_load_b128 v[88:91], v[88:89], off
	global_load_b128 v[92:95], v[92:93], off
	global_load_b128 v[96:99], v[96:97], off
	global_load_b128 v[100:103], v[100:101], off
	global_load_b128 v[104:107], v[104:105], off
	v_dual_mov_b32 v36, 0 :: v_dual_mov_b32 v35, 0
                                        ; implicit-def: $vgpr74
	s_waitcnt vmcnt(7)
	ds_store_b128 v45, v[76:79]
	s_waitcnt vmcnt(6)
	ds_store_b128 v48, v[80:83]
	;; [unrolled: 2-line block ×8, first 2 shown]
	s_waitcnt lgkmcnt(0)
	s_barrier
	buffer_gl0_inv
	ds_load_b128 v[76:79], v42
	ds_load_b128 v[80:83], v44
	ds_load_b128 v[84:87], v44 offset:512
	s_waitcnt lgkmcnt(1)
	;;#ASMSTART
	v_dot2_f32_f16 v36, v76, v80, v36
	;;#ASMEND
	;;#ASMSTART
	v_dot2_f32_f16 v36, v77, v81, v36
	;;#ASMEND
	;;#ASMSTART
	v_dot2_f32_f16 v36, v78, v82, v36
	;;#ASMEND
	;;#ASMSTART
	v_dot2_f32_f16 v36, v79, v83, v36
	;;#ASMEND
	s_waitcnt lgkmcnt(0)
	;;#ASMSTART
	v_dot2_f32_f16 v35, v76, v84, v35
	;;#ASMEND
	;;#ASMSTART
	v_dot2_f32_f16 v35, v77, v85, v35
	;;#ASMEND
	;;#ASMSTART
	v_dot2_f32_f16 v35, v78, v86, v35
	;;#ASMEND
	;;#ASMSTART
	v_dot2_f32_f16 v35, v79, v87, v35
	;;#ASMEND
	ds_load_b128 v[76:79], v42 offset:16
	ds_load_b128 v[80:83], v44 offset:16
	ds_load_b128 v[84:87], v44 offset:528
	s_waitcnt lgkmcnt(1)
	;;#ASMSTART
	v_dot2_f32_f16 v36, v76, v80, v36
	;;#ASMEND
	;;#ASMSTART
	v_dot2_f32_f16 v36, v77, v81, v36
	;;#ASMEND
	;;#ASMSTART
	v_dot2_f32_f16 v36, v78, v82, v36
	;;#ASMEND
	;;#ASMSTART
	v_dot2_f32_f16 v36, v79, v83, v36
	;;#ASMEND
	s_waitcnt lgkmcnt(0)
	;;#ASMSTART
	v_dot2_f32_f16 v35, v76, v84, v35
	;;#ASMEND
	;;#ASMSTART
	v_dot2_f32_f16 v35, v77, v85, v35
	;;#ASMEND
	;;#ASMSTART
	v_dot2_f32_f16 v35, v78, v86, v35
	;;#ASMEND
	;;#ASMSTART
	v_dot2_f32_f16 v35, v79, v87, v35
	;;#ASMEND
	ds_load_b128 v[76:79], v42 offset:32
	ds_load_b128 v[80:83], v44 offset:32
	;; [unrolled: 29-line block ×31, first 2 shown]
	v_add_nc_u32_e32 v88, s5, v2
	ds_load_b128 v[84:87], v44 offset:1008
	s_waitcnt lgkmcnt(1)
	;;#ASMSTART
	v_dot2_f32_f16 v36, v76, v80, v36
	;;#ASMEND
	v_ashrrev_i32_e32 v89, 31, v88
	;;#ASMSTART
	v_dot2_f32_f16 v36, v77, v81, v36
	;;#ASMEND
	;;#ASMSTART
	v_dot2_f32_f16 v36, v78, v82, v36
	;;#ASMEND
	;; [unrolled: 3-line block ×3, first 2 shown]
	s_waitcnt lgkmcnt(0)
	;;#ASMSTART
	v_dot2_f32_f16 v35, v76, v84, v35
	;;#ASMEND
	v_lshlrev_b64 v[88:89], 1, v[88:89]
	;;#ASMSTART
	v_dot2_f32_f16 v35, v77, v85, v35
	;;#ASMEND
	;;#ASMSTART
	v_dot2_f32_f16 v35, v78, v86, v35
	;;#ASMEND
	;; [unrolled: 3-line block ×3, first 2 shown]
	v_cmp_ngt_f32_e64 s2, 0x3f200000, |v36|
	s_delay_alu instid0(VALU_DEP_2) | instskip(SKIP_3) | instid1(SALU_CYCLE_1)
	v_add_co_u32 v88, vcc_lo, s36, v88
	v_add_co_ci_u32_e32 v89, vcc_lo, s37, v89, vcc_lo
	flat_load_u16 v80, v[88:89]
	s_and_saveexec_b32 s3, s2
	s_xor_b32 s2, exec_lo, s3
	s_cbranch_execz .LBB60_11
; %bb.10:                               ;   in Loop: Header=BB60_9 Depth=1
	v_add_f32_e64 v74, |v36|, |v36|
	s_delay_alu instid0(VALU_DEP_1) | instskip(SKIP_1) | instid1(VALU_DEP_2)
	v_mul_f32_e32 v76, 0x3fb8aa3b, v74
	v_cmp_ngt_f32_e32 vcc_lo, 0xc2ce8ed0, v74
	v_rndne_f32_e32 v77, v76
	v_fma_f32 v78, 0x3fb8aa3b, v74, -v76
	s_delay_alu instid0(VALU_DEP_2) | instskip(NEXT) | instid1(VALU_DEP_2)
	v_sub_f32_e32 v76, v76, v77
	v_fmac_f32_e32 v78, 0x32a5705f, v74
	v_cvt_i32_f32_e32 v77, v77
	s_delay_alu instid0(VALU_DEP_2) | instskip(NEXT) | instid1(VALU_DEP_1)
	v_add_f32_e32 v76, v76, v78
	v_exp_f32_e32 v76, v76
	s_waitcnt_depctr 0xfff
	v_ldexp_f32 v76, v76, v77
	s_delay_alu instid0(VALU_DEP_1) | instskip(SKIP_1) | instid1(VALU_DEP_2)
	v_cndmask_b32_e32 v76, 0, v76, vcc_lo
	v_cmp_nlt_f32_e32 vcc_lo, 0x42b17218, v74
	v_cndmask_b32_e32 v74, 0x7f800000, v76, vcc_lo
	s_delay_alu instid0(VALU_DEP_1) | instskip(NEXT) | instid1(VALU_DEP_1)
	v_add_f32_e32 v74, 1.0, v74
	v_rcp_f32_e32 v74, v74
	s_waitcnt_depctr 0xfff
	v_fma_f32 v74, v74, -2.0, 1.0
.LBB60_11:                              ;   in Loop: Header=BB60_9 Depth=1
	s_and_not1_saveexec_b32 s2, s2
; %bb.12:                               ;   in Loop: Header=BB60_9 Depth=1
	v_mul_f32_e32 v74, v36, v36
	s_delay_alu instid0(VALU_DEP_1) | instskip(NEXT) | instid1(VALU_DEP_1)
	v_fmaak_f32 v76, s10, v74, 0x3ca908c9
	v_fmaak_f32 v76, v74, v76, 0xbd5c1c4e
	s_delay_alu instid0(VALU_DEP_1) | instskip(NEXT) | instid1(VALU_DEP_1)
	v_fmaak_f32 v76, v74, v76, 0x3e088382
	v_fmaak_f32 v76, v74, v76, 0xbeaaaa99
	s_delay_alu instid0(VALU_DEP_1) | instskip(NEXT) | instid1(VALU_DEP_1)
	v_mul_f32_e64 v76, |v36|, v76
	v_fma_f32 v74, v74, v76, |v36|
; %bb.13:                               ;   in Loop: Header=BB60_9 Depth=1
	s_or_b32 exec_lo, exec_lo, s2
	s_delay_alu instid0(VALU_DEP_1)
	v_bfi_b32 v36, 0x7fffffff, v74, v36
	v_xor_b32_e32 v79, 16, v39
	v_max_f32_e32 v76, v73, v73
	v_cmp_ngt_f32_e64 s2, 0x3f200000, |v35|
                                        ; implicit-def: $vgpr88
	s_waitcnt vmcnt(0) lgkmcnt(0)
	v_fma_mix_f32 v81, v36, s20, v80 op_sel_hi:[0,0,1]
	v_cmp_gt_i32_e32 vcc_lo, 32, v79
	s_delay_alu instid0(VALU_DEP_2) | instskip(SKIP_1) | instid1(VALU_DEP_2)
	v_add_f32_e32 v74, 0x40051340, v81
	v_cndmask_b32_e32 v36, v39, v79, vcc_lo
	v_max_f32_e32 v76, v76, v74
	s_delay_alu instid0(VALU_DEP_2)
	v_lshlrev_b32_e32 v36, 2, v36
	v_xor_b32_e32 v74, 8, v39
	ds_bpermute_b32 v77, v36, v76
	v_cmp_gt_i32_e32 vcc_lo, 32, v74
	v_cndmask_b32_e32 v78, v39, v74, vcc_lo
	s_waitcnt lgkmcnt(0)
	s_delay_alu instid0(VALU_DEP_1) | instskip(NEXT) | instid1(VALU_DEP_1)
	v_dual_max_f32 v77, v77, v77 :: v_dual_lshlrev_b32 v82, 2, v78
	v_max_f32_e32 v77, v76, v77
	v_xor_b32_e32 v76, 4, v39
	ds_bpermute_b32 v78, v82, v77
	v_cmp_gt_i32_e32 vcc_lo, 32, v76
	v_cndmask_b32_e32 v83, v39, v76, vcc_lo
	s_waitcnt lgkmcnt(0)
	s_delay_alu instid0(VALU_DEP_1) | instskip(NEXT) | instid1(VALU_DEP_1)
	v_dual_max_f32 v78, v78, v78 :: v_dual_lshlrev_b32 v83, 2, v83
	v_max_f32_e32 v78, v77, v78
	;; [unrolled: 8-line block ×4, first 2 shown]
	ds_bpermute_b32 v86, v87, v84
	s_and_saveexec_b32 s3, s2
	s_delay_alu instid0(SALU_CYCLE_1)
	s_xor_b32 s2, exec_lo, s3
	s_cbranch_execz .LBB60_15
; %bb.14:                               ;   in Loop: Header=BB60_9 Depth=1
	v_add_f32_e64 v88, |v35|, |v35|
	s_delay_alu instid0(VALU_DEP_1) | instskip(SKIP_1) | instid1(VALU_DEP_2)
	v_mul_f32_e32 v89, 0x3fb8aa3b, v88
	v_cmp_ngt_f32_e32 vcc_lo, 0xc2ce8ed0, v88
	v_rndne_f32_e32 v90, v89
	v_fma_f32 v91, 0x3fb8aa3b, v88, -v89
	s_delay_alu instid0(VALU_DEP_2) | instskip(NEXT) | instid1(VALU_DEP_2)
	v_sub_f32_e32 v89, v89, v90
	v_fmac_f32_e32 v91, 0x32a5705f, v88
	v_cvt_i32_f32_e32 v90, v90
	s_delay_alu instid0(VALU_DEP_2) | instskip(NEXT) | instid1(VALU_DEP_1)
	v_add_f32_e32 v89, v89, v91
	v_exp_f32_e32 v89, v89
	s_waitcnt_depctr 0xfff
	v_ldexp_f32 v89, v89, v90
	s_delay_alu instid0(VALU_DEP_1) | instskip(SKIP_1) | instid1(VALU_DEP_2)
	v_cndmask_b32_e32 v89, 0, v89, vcc_lo
	v_cmp_nlt_f32_e32 vcc_lo, 0x42b17218, v88
	v_cndmask_b32_e32 v88, 0x7f800000, v89, vcc_lo
	s_delay_alu instid0(VALU_DEP_1) | instskip(NEXT) | instid1(VALU_DEP_1)
	v_add_f32_e32 v88, 1.0, v88
	v_rcp_f32_e32 v88, v88
	s_waitcnt_depctr 0xfff
	v_fma_f32 v88, v88, -2.0, 1.0
.LBB60_15:                              ;   in Loop: Header=BB60_9 Depth=1
	s_and_not1_saveexec_b32 s2, s2
; %bb.16:                               ;   in Loop: Header=BB60_9 Depth=1
	v_mul_f32_e32 v88, v35, v35
	s_delay_alu instid0(VALU_DEP_1) | instskip(NEXT) | instid1(VALU_DEP_1)
	v_fmaak_f32 v89, s10, v88, 0x3ca908c9
	v_fmaak_f32 v89, v88, v89, 0xbd5c1c4e
	s_delay_alu instid0(VALU_DEP_1) | instskip(NEXT) | instid1(VALU_DEP_1)
	v_fmaak_f32 v89, v88, v89, 0x3e088382
	v_fmaak_f32 v89, v88, v89, 0xbeaaaa99
	s_delay_alu instid0(VALU_DEP_1) | instskip(NEXT) | instid1(VALU_DEP_1)
	v_mul_f32_e64 v89, |v35|, v89
	v_fma_f32 v88, v88, v89, |v35|
; %bb.17:                               ;   in Loop: Header=BB60_9 Depth=1
	s_or_b32 exec_lo, exec_lo, s2
	s_delay_alu instid0(VALU_DEP_1)
	v_bfi_b32 v35, 0x7fffffff, v88, v35
	v_cvt_f32_f16_e32 v80, v80
	s_waitcnt lgkmcnt(0)
	s_barrier
	buffer_gl0_inv
	v_fmac_f32_e32 v80, s20, v35
	s_delay_alu instid0(VALU_DEP_1) | instskip(NEXT) | instid1(VALU_DEP_1)
	v_dual_max_f32 v35, v75, v75 :: v_dual_add_f32 v88, 0x40051340, v80
	v_max_f32_e32 v35, v35, v88
	ds_bpermute_b32 v36, v36, v35
	s_waitcnt lgkmcnt(0)
	v_max_f32_e32 v36, v36, v36
	s_delay_alu instid0(VALU_DEP_1) | instskip(SKIP_4) | instid1(VALU_DEP_1)
	v_max_f32_e32 v35, v35, v36
	ds_bpermute_b32 v36, v82, v35
	v_max_f32_e32 v82, v86, v86
	s_waitcnt lgkmcnt(0)
	v_max_f32_e32 v36, v36, v36
	v_max_f32_e32 v35, v35, v36
	ds_bpermute_b32 v36, v83, v35
	s_waitcnt lgkmcnt(0)
	v_max_f32_e32 v36, v36, v36
	s_delay_alu instid0(VALU_DEP_1) | instskip(SKIP_3) | instid1(VALU_DEP_1)
	v_max_f32_e32 v35, v35, v36
	ds_bpermute_b32 v36, v85, v35
	s_waitcnt lgkmcnt(0)
	v_max_f32_e32 v36, v36, v36
	v_max_f32_e32 v36, v35, v36
	ds_bpermute_b32 v35, v87, v36
	s_waitcnt lgkmcnt(0)
	v_dual_max_f32 v83, v84, v84 :: v_dual_max_f32 v84, v35, v35
	s_delay_alu instid0(VALU_DEP_1) | instskip(NEXT) | instid1(VALU_DEP_1)
	v_max_f32_e32 v35, v83, v82
	v_sub_f32_e32 v81, v81, v35
	s_delay_alu instid0(VALU_DEP_3) | instskip(NEXT) | instid1(VALU_DEP_2)
	v_dual_sub_f32 v73, v73, v35 :: v_dual_max_f32 v36, v36, v84
	v_mul_f32_e32 v82, 0x3fb8aa3b, v81
	v_cmp_ngt_f32_e32 vcc_lo, 0xc2ce8ed0, v81
	v_cmp_nlt_f32_e64 s2, 0x42b17218, v81
	s_delay_alu instid0(VALU_DEP_4) | instskip(NEXT) | instid1(VALU_DEP_4)
	v_sub_f32_e32 v80, v80, v36
	v_fma_f32 v83, 0x3fb8aa3b, v81, -v82
	s_delay_alu instid0(VALU_DEP_2) | instskip(SKIP_1) | instid1(VALU_DEP_3)
	v_cmp_ngt_f32_e64 s3, 0xc2ce8ed0, v80
	v_cmp_nlt_f32_e64 s4, 0x42b17218, v80
	v_fmac_f32_e32 v83, 0x32a5705f, v81
	v_rndne_f32_e32 v81, v82
	s_delay_alu instid0(VALU_DEP_1) | instskip(SKIP_1) | instid1(VALU_DEP_2)
	v_sub_f32_e32 v82, v82, v81
	v_cvt_i32_f32_e32 v81, v81
	v_dual_add_f32 v82, v82, v83 :: v_dual_mul_f32 v83, 0x3fb8aa3b, v80
	s_delay_alu instid0(VALU_DEP_1) | instskip(NEXT) | instid1(VALU_DEP_1)
	v_exp_f32_e32 v82, v82
	v_fma_f32 v84, 0x3fb8aa3b, v80, -v83
	v_rndne_f32_e32 v85, v83
	s_delay_alu instid0(VALU_DEP_1) | instskip(SKIP_2) | instid1(VALU_DEP_1)
	v_dual_fmac_f32 v84, 0x32a5705f, v80 :: v_dual_sub_f32 v83, v83, v85
	s_waitcnt_depctr 0xfff
	v_ldexp_f32 v81, v82, v81
	v_dual_add_f32 v83, v83, v84 :: v_dual_cndmask_b32 v80, 0, v81
	s_delay_alu instid0(VALU_DEP_1) | instskip(SKIP_1) | instid1(VALU_DEP_2)
	v_exp_f32_e32 v82, v83
	v_cvt_i32_f32_e32 v83, v85
	v_cndmask_b32_e64 v81, 0x7f800000, v80, s2
	s_mul_i32 s2, s5, s13
	s_waitcnt_depctr 0xfff
	v_ldexp_f32 v82, v82, v83
	s_delay_alu instid0(VALU_DEP_1) | instskip(SKIP_1) | instid1(SALU_CYCLE_1)
	v_cndmask_b32_e64 v82, 0, v82, s3
	s_mul_hi_i32 s3, s5, s13
	s_lshl_b64 s[2:3], s[2:3], 2
	s_delay_alu instid0(VALU_DEP_1) | instskip(SKIP_3) | instid1(VALU_DEP_2)
	v_cndmask_b32_e64 v80, 0x7f800000, v82, s4
	v_cvt_f16_f32_e32 v82, v81
	s_add_u32 s2, s11, s2
	s_addc_u32 s3, s19, s3
	v_cvt_f16_f32_e32 v83, v80
	s_delay_alu instid0(VALU_DEP_1)
	v_pack_b32_f16 v84, v82, v83
	v_add_co_u32 v82, vcc_lo, s2, v19
	v_add_co_ci_u32_e32 v83, vcc_lo, s3, v20, vcc_lo
	ds_store_b32 v55, v84
	v_add_co_u32 v82, vcc_lo, v82, v41
	v_add_co_ci_u32_e32 v83, vcc_lo, 0, v83, vcc_lo
	global_load_b128 v[82:85], v[82:83], off
	s_waitcnt vmcnt(0)
	ds_store_b128 v47, v[82:85]
	v_add_co_u32 v82, vcc_lo, s2, v21
	v_add_co_ci_u32_e32 v83, vcc_lo, s3, v22, vcc_lo
	s_delay_alu instid0(VALU_DEP_2) | instskip(NEXT) | instid1(VALU_DEP_2)
	v_add_co_u32 v82, vcc_lo, v82, v41
	v_add_co_ci_u32_e32 v83, vcc_lo, 0, v83, vcc_lo
	global_load_b128 v[82:85], v[82:83], off
	s_waitcnt vmcnt(0)
	ds_store_b128 v56, v[82:85]
	v_add_co_u32 v82, vcc_lo, s2, v23
	v_add_co_ci_u32_e32 v83, vcc_lo, s3, v24, vcc_lo
	s_delay_alu instid0(VALU_DEP_2) | instskip(NEXT) | instid1(VALU_DEP_2)
	;; [unrolled: 8-line block ×6, first 2 shown]
	v_add_co_u32 v82, vcc_lo, v82, v41
	v_add_co_ci_u32_e32 v83, vcc_lo, 0, v83, vcc_lo
	global_load_b128 v[82:85], v[82:83], off
	s_waitcnt vmcnt(0)
	ds_store_b128 v61, v[82:85]
	v_add_co_u32 v82, vcc_lo, s2, v33
	v_add_co_ci_u32_e32 v83, vcc_lo, s3, v34, vcc_lo
	v_cmp_nlt_f32_e64 s2, 0x42b17218, v73
	s_delay_alu instid0(VALU_DEP_3) | instskip(NEXT) | instid1(VALU_DEP_3)
	v_add_co_u32 v82, vcc_lo, v82, v41
	v_add_co_ci_u32_e32 v83, vcc_lo, 0, v83, vcc_lo
	v_cmp_ngt_f32_e32 vcc_lo, 0xc2ce8ed0, v73
	global_load_b128 v[82:85], v[82:83], off
	s_waitcnt vmcnt(0)
	ds_store_b128 v62, v[82:85]
	v_mul_f32_e32 v82, 0x3fb8aa3b, v73
	s_waitcnt lgkmcnt(0)
	s_barrier
	buffer_gl0_inv
	v_fma_f32 v83, 0x3fb8aa3b, v73, -v82
	s_delay_alu instid0(VALU_DEP_1) | instskip(SKIP_2) | instid1(VALU_DEP_2)
	v_fmac_f32_e32 v83, 0x32a5705f, v73
	v_sub_f32_e32 v75, v75, v36
	v_rndne_f32_e32 v73, v82
	v_cmp_ngt_f32_e64 s3, 0xc2ce8ed0, v75
	s_delay_alu instid0(VALU_DEP_2) | instskip(SKIP_2) | instid1(VALU_DEP_3)
	v_sub_f32_e32 v82, v82, v73
	v_cvt_i32_f32_e32 v73, v73
	v_cmp_nlt_f32_e64 s4, 0x42b17218, v75
	v_add_f32_e32 v82, v82, v83
	v_mul_f32_e32 v83, 0x3fb8aa3b, v75
	s_delay_alu instid0(VALU_DEP_2) | instskip(NEXT) | instid1(VALU_DEP_1)
	v_exp_f32_e32 v82, v82
	v_fma_f32 v84, 0x3fb8aa3b, v75, -v83
	v_rndne_f32_e32 v85, v83
	s_delay_alu instid0(VALU_DEP_1) | instskip(SKIP_4) | instid1(VALU_DEP_3)
	v_dual_fmac_f32 v84, 0x32a5705f, v75 :: v_dual_sub_f32 v83, v83, v85
	s_waitcnt_depctr 0xfff
	v_ldexp_f32 v73, v82, v73
	v_cvt_i32_f32_e32 v82, v85
	v_add_f32_e32 v83, v83, v84
	v_cndmask_b32_e32 v73, 0, v73, vcc_lo
	s_delay_alu instid0(VALU_DEP_2) | instskip(NEXT) | instid1(VALU_DEP_1)
	v_exp_f32_e32 v75, v83
	v_cndmask_b32_e64 v73, 0x7f800000, v73, s2
	s_delay_alu instid0(VALU_DEP_1)
	v_cvt_f16_f32_e32 v90, v73
	v_fma_f32 v43, v43, v73, v81
	s_waitcnt_depctr 0xfff
	v_ldexp_f32 v75, v75, v82
	ds_load_2addr_b64 v[82:85], v63 offset1:32
	ds_load_b128 v[86:89], v46
	v_pk_mul_f16 v70, v90, v70 op_sel_hi:[0,1]
	v_pk_mul_f16 v72, v90, v72 op_sel_hi:[0,1]
	v_cndmask_b32_e64 v75, 0, v75, s3
	s_delay_alu instid0(VALU_DEP_1) | instskip(NEXT) | instid1(VALU_DEP_1)
	v_cndmask_b32_e64 v75, 0x7f800000, v75, s4
	v_cvt_f16_f32_e32 v91, v75
	v_fmac_f32_e32 v80, v66, v75
	s_delay_alu instid0(VALU_DEP_2)
	v_pk_mul_f16 v68, v91, v68 op_sel_hi:[0,1]
	v_pk_mul_f16 v65, v91, v65 op_sel_hi:[0,1]
	s_waitcnt lgkmcnt(0)
	v_pk_fma_f16 v93, v84, v86, v70 op_sel_hi:[1,0,1]
	v_pk_mul_f16 v70, v82, v86 op_sel_hi:[1,0]
	v_pk_mul_f16 v64, v91, v64 op_sel_hi:[0,1]
	v_pk_fma_f16 v92, v83, v86, v68 op_sel:[0,1,0]
	v_pk_mul_f16 v68, v82, v86 op_sel:[0,1]
	v_pk_fma_f16 v65, v84, v86, v65 op_sel:[0,1,0]
	v_pk_mul_f16 v82, v83, v86 op_sel_hi:[1,0]
	v_pk_fma_f16 v84, v90, v69, v70 op_sel_hi:[0,1,1]
	v_pk_fma_f16 v72, v85, v86, v72 op_sel_hi:[1,0,1]
	v_pk_fma_f16 v83, v91, v67, v68 op_sel_hi:[0,1,1]
	ds_load_2addr_b64 v[67:70], v63 offset0:64 offset1:96
	v_pk_fma_f16 v64, v85, v86, v64 op_sel:[0,1,0]
	v_pk_fma_f16 v71, v90, v71, v82 op_sel_hi:[0,1,1]
	s_waitcnt lgkmcnt(0)
	v_pk_fma_f16 v82, v68, v87, v92 op_sel:[0,1,0]
	v_pk_fma_f16 v85, v69, v87, v93 op_sel_hi:[1,0,1]
	v_pk_fma_f16 v65, v69, v87, v65 op_sel:[0,1,0]
	v_pk_fma_f16 v72, v70, v87, v72 op_sel_hi:[1,0,1]
	;; [unrolled: 2-line block ×4, first 2 shown]
	ds_load_2addr_b64 v[67:70], v63 offset0:128 offset1:160
	s_waitcnt lgkmcnt(0)
	v_pk_fma_f16 v82, v68, v88, v82 op_sel:[0,1,0]
	v_pk_fma_f16 v85, v69, v88, v85 op_sel_hi:[1,0,1]
	v_pk_fma_f16 v65, v69, v88, v65 op_sel:[0,1,0]
	v_pk_fma_f16 v72, v70, v88, v72 op_sel_hi:[1,0,1]
	;; [unrolled: 2-line block ×4, first 2 shown]
	ds_load_2addr_b64 v[67:70], v63 offset0:192 offset1:224
	s_waitcnt lgkmcnt(0)
	v_pk_fma_f16 v86, v68, v89, v82 op_sel:[0,1,0]
	v_pk_fma_f16 v87, v69, v89, v85 op_sel_hi:[1,0,1]
	v_pk_fma_f16 v65, v69, v89, v65 op_sel:[0,1,0]
	v_pk_fma_f16 v72, v70, v89, v72 op_sel_hi:[1,0,1]
	v_pk_fma_f16 v64, v70, v89, v64 op_sel:[0,1,0]
	v_pk_fma_f16 v88, v67, v89, v84 op_sel_hi:[1,0,1]
	v_pk_fma_f16 v90, v67, v89, v83 op_sel:[0,1,0]
	v_pk_fma_f16 v71, v68, v89, v71 op_sel_hi:[1,0,1]
	v_add_nc_u32_e32 v89, 0x800, v63
	ds_load_b128 v[67:70], v46 offset:16
	ds_load_2addr_b64 v[82:85], v89 offset1:32
	s_waitcnt lgkmcnt(0)
	v_pk_fma_f16 v86, v83, v67, v86 op_sel:[0,1,0]
	v_pk_fma_f16 v87, v84, v67, v87 op_sel_hi:[1,0,1]
	v_pk_fma_f16 v65, v84, v67, v65 op_sel:[0,1,0]
	v_pk_fma_f16 v72, v85, v67, v72 op_sel_hi:[1,0,1]
	;; [unrolled: 2-line block ×4, first 2 shown]
	ds_load_2addr_b64 v[82:85], v89 offset0:64 offset1:96
	s_waitcnt lgkmcnt(0)
	v_pk_fma_f16 v71, v83, v68, v86 op_sel:[0,1,0]
	v_pk_fma_f16 v86, v84, v68, v87 op_sel_hi:[1,0,1]
	v_pk_fma_f16 v65, v84, v68, v65 op_sel:[0,1,0]
	v_pk_fma_f16 v72, v85, v68, v72 op_sel_hi:[1,0,1]
	;; [unrolled: 2-line block ×4, first 2 shown]
	ds_load_2addr_b64 v[82:85], v89 offset0:128 offset1:160
	v_add_nc_u32_e32 v90, 0x1000, v63
	s_waitcnt lgkmcnt(0)
	v_pk_fma_f16 v68, v83, v69, v71 op_sel:[0,1,0]
	v_pk_fma_f16 v71, v84, v69, v86 op_sel_hi:[1,0,1]
	v_pk_fma_f16 v65, v84, v69, v65 op_sel:[0,1,0]
	v_pk_fma_f16 v72, v85, v69, v72 op_sel_hi:[1,0,1]
	;; [unrolled: 2-line block ×4, first 2 shown]
	ds_load_2addr_b64 v[82:85], v89 offset0:192 offset1:224
	s_waitcnt lgkmcnt(0)
	v_pk_fma_f16 v88, v83, v70, v68 op_sel:[0,1,0]
	v_pk_fma_f16 v71, v84, v70, v71 op_sel_hi:[1,0,1]
	v_pk_fma_f16 v65, v84, v70, v65 op_sel:[0,1,0]
	v_pk_fma_f16 v72, v85, v70, v72 op_sel_hi:[1,0,1]
	;; [unrolled: 2-line block ×4, first 2 shown]
	ds_load_b128 v[67:70], v46 offset:32
	ds_load_2addr_b64 v[82:85], v90 offset1:32
	s_waitcnt lgkmcnt(0)
	v_pk_fma_f16 v88, v83, v67, v88 op_sel:[0,1,0]
	v_pk_fma_f16 v71, v84, v67, v71 op_sel_hi:[1,0,1]
	v_pk_fma_f16 v65, v84, v67, v65 op_sel:[0,1,0]
	v_pk_fma_f16 v72, v85, v67, v72 op_sel_hi:[1,0,1]
	v_pk_fma_f16 v64, v85, v67, v64 op_sel:[0,1,0]
	v_pk_fma_f16 v86, v82, v67, v86 op_sel_hi:[1,0,1]
	v_pk_fma_f16 v87, v82, v67, v87 op_sel:[0,1,0]
	v_pk_fma_f16 v67, v83, v67, v89 op_sel_hi:[1,0,1]
	ds_load_2addr_b64 v[82:85], v90 offset0:64 offset1:96
	s_waitcnt lgkmcnt(0)
	v_pk_fma_f16 v88, v83, v68, v88 op_sel:[0,1,0]
	v_pk_fma_f16 v71, v84, v68, v71 op_sel_hi:[1,0,1]
	v_pk_fma_f16 v65, v84, v68, v65 op_sel:[0,1,0]
	v_pk_fma_f16 v72, v85, v68, v72 op_sel_hi:[1,0,1]
	v_pk_fma_f16 v64, v85, v68, v64 op_sel:[0,1,0]
	v_pk_fma_f16 v86, v82, v68, v86 op_sel_hi:[1,0,1]
	v_pk_fma_f16 v87, v82, v68, v87 op_sel:[0,1,0]
	v_pk_fma_f16 v67, v83, v68, v67 op_sel_hi:[1,0,1]
	ds_load_2addr_b64 v[82:85], v90 offset0:128 offset1:160
	;; [unrolled: 10-line block ×3, first 2 shown]
	v_add_nc_u32_e32 v90, 0x1800, v63
	s_waitcnt lgkmcnt(0)
	v_pk_fma_f16 v88, v83, v70, v68 op_sel:[0,1,0]
	v_pk_fma_f16 v71, v84, v70, v71 op_sel_hi:[1,0,1]
	v_pk_fma_f16 v65, v84, v70, v65 op_sel:[0,1,0]
	v_pk_fma_f16 v72, v85, v70, v72 op_sel_hi:[1,0,1]
	;; [unrolled: 2-line block ×4, first 2 shown]
	ds_load_b128 v[67:70], v46 offset:48
	ds_load_2addr_b64 v[82:85], v90 offset1:32
	s_waitcnt lgkmcnt(0)
	v_pk_fma_f16 v88, v83, v67, v88 op_sel:[0,1,0]
	v_pk_fma_f16 v71, v84, v67, v71 op_sel_hi:[1,0,1]
	v_pk_fma_f16 v65, v84, v67, v65 op_sel:[0,1,0]
	v_pk_fma_f16 v72, v85, v67, v72 op_sel_hi:[1,0,1]
	v_pk_fma_f16 v64, v85, v67, v64 op_sel:[0,1,0]
	v_pk_fma_f16 v86, v82, v67, v86 op_sel_hi:[1,0,1]
	v_pk_fma_f16 v87, v82, v67, v87 op_sel:[0,1,0]
	v_pk_fma_f16 v67, v83, v67, v89 op_sel_hi:[1,0,1]
	ds_load_2addr_b64 v[82:85], v90 offset0:64 offset1:96
	s_waitcnt lgkmcnt(0)
	v_pk_fma_f16 v88, v83, v68, v88 op_sel:[0,1,0]
	v_pk_fma_f16 v71, v84, v68, v71 op_sel_hi:[1,0,1]
	v_pk_fma_f16 v65, v84, v68, v65 op_sel:[0,1,0]
	v_pk_fma_f16 v72, v85, v68, v72 op_sel_hi:[1,0,1]
	v_pk_fma_f16 v64, v85, v68, v64 op_sel:[0,1,0]
	v_pk_fma_f16 v86, v82, v68, v86 op_sel_hi:[1,0,1]
	v_pk_fma_f16 v87, v82, v68, v87 op_sel:[0,1,0]
	v_pk_fma_f16 v67, v83, v68, v67 op_sel_hi:[1,0,1]
	ds_load_2addr_b64 v[82:85], v90 offset0:128 offset1:160
	s_waitcnt lgkmcnt(0)
	v_pk_fma_f16 v68, v83, v69, v88 op_sel:[0,1,0]
	v_pk_fma_f16 v71, v84, v69, v71 op_sel_hi:[1,0,1]
	v_pk_fma_f16 v65, v84, v69, v65 op_sel:[0,1,0]
	v_pk_fma_f16 v72, v85, v69, v72 op_sel_hi:[1,0,1]
	v_pk_fma_f16 v64, v85, v69, v64 op_sel:[0,1,0]
	v_pk_fma_f16 v86, v82, v69, v86 op_sel_hi:[1,0,1]
	v_pk_fma_f16 v87, v82, v69, v87 op_sel:[0,1,0]
	v_pk_fma_f16 v67, v83, v69, v67 op_sel_hi:[1,0,1]
	ds_load_2addr_b64 v[82:85], v90 offset0:192 offset1:224
	v_add_nc_u32_e32 v90, 0x2000, v63
	s_waitcnt lgkmcnt(0)
	v_pk_fma_f16 v88, v83, v70, v68 op_sel:[0,1,0]
	v_pk_fma_f16 v71, v84, v70, v71 op_sel_hi:[1,0,1]
	v_pk_fma_f16 v65, v84, v70, v65 op_sel:[0,1,0]
	v_pk_fma_f16 v72, v85, v70, v72 op_sel_hi:[1,0,1]
	v_pk_fma_f16 v64, v85, v70, v64 op_sel:[0,1,0]
	v_pk_fma_f16 v86, v82, v70, v86 op_sel_hi:[1,0,1]
	v_pk_fma_f16 v87, v82, v70, v87 op_sel:[0,1,0]
	v_pk_fma_f16 v89, v83, v70, v67 op_sel_hi:[1,0,1]
	ds_load_2addr_b64 v[67:70], v90 offset1:32
	ds_load_b128 v[82:85], v46 offset:64
	s_waitcnt lgkmcnt(0)
	v_pk_fma_f16 v88, v68, v82, v88 op_sel:[0,1,0]
	v_pk_fma_f16 v71, v69, v82, v71 op_sel_hi:[1,0,1]
	v_pk_fma_f16 v65, v69, v82, v65 op_sel:[0,1,0]
	v_pk_fma_f16 v72, v70, v82, v72 op_sel_hi:[1,0,1]
	v_pk_fma_f16 v64, v70, v82, v64 op_sel:[0,1,0]
	v_pk_fma_f16 v86, v67, v82, v86 op_sel_hi:[1,0,1]
	v_pk_fma_f16 v87, v67, v82, v87 op_sel:[0,1,0]
	v_pk_fma_f16 v82, v68, v82, v89 op_sel_hi:[1,0,1]
	ds_load_2addr_b64 v[67:70], v90 offset0:64 offset1:96
	s_waitcnt lgkmcnt(0)
	v_pk_fma_f16 v88, v68, v83, v88 op_sel:[0,1,0]
	v_pk_fma_f16 v71, v69, v83, v71 op_sel_hi:[1,0,1]
	v_pk_fma_f16 v65, v69, v83, v65 op_sel:[0,1,0]
	v_pk_fma_f16 v72, v70, v83, v72 op_sel_hi:[1,0,1]
	v_pk_fma_f16 v64, v70, v83, v64 op_sel:[0,1,0]
	v_pk_fma_f16 v86, v67, v83, v86 op_sel_hi:[1,0,1]
	v_pk_fma_f16 v87, v67, v83, v87 op_sel:[0,1,0]
	v_pk_fma_f16 v82, v68, v83, v82 op_sel_hi:[1,0,1]
	ds_load_2addr_b64 v[67:70], v90 offset0:128 offset1:160
	s_waitcnt lgkmcnt(0)
	v_pk_fma_f16 v83, v68, v84, v88 op_sel:[0,1,0]
	v_pk_fma_f16 v71, v69, v84, v71 op_sel_hi:[1,0,1]
	v_pk_fma_f16 v65, v69, v84, v65 op_sel:[0,1,0]
	v_pk_fma_f16 v72, v70, v84, v72 op_sel_hi:[1,0,1]
	v_pk_fma_f16 v64, v70, v84, v64 op_sel:[0,1,0]
	v_pk_fma_f16 v86, v67, v84, v86 op_sel_hi:[1,0,1]
	v_pk_fma_f16 v87, v67, v84, v87 op_sel:[0,1,0]
	v_pk_fma_f16 v82, v68, v84, v82 op_sel_hi:[1,0,1]
	ds_load_2addr_b64 v[67:70], v90 offset0:192 offset1:224
	v_add_nc_u32_e32 v90, 0x2800, v63
	s_waitcnt lgkmcnt(0)
	v_pk_fma_f16 v88, v68, v85, v83 op_sel:[0,1,0]
	v_pk_fma_f16 v71, v69, v85, v71 op_sel_hi:[1,0,1]
	v_pk_fma_f16 v65, v69, v85, v65 op_sel:[0,1,0]
	v_pk_fma_f16 v72, v70, v85, v72 op_sel_hi:[1,0,1]
	v_pk_fma_f16 v64, v70, v85, v64 op_sel:[0,1,0]
	v_pk_fma_f16 v86, v67, v85, v86 op_sel_hi:[1,0,1]
	v_pk_fma_f16 v87, v67, v85, v87 op_sel:[0,1,0]
	v_pk_fma_f16 v89, v68, v85, v82 op_sel_hi:[1,0,1]
	ds_load_2addr_b64 v[67:70], v90 offset1:32
	ds_load_b128 v[82:85], v46 offset:80
	;; [unrolled: 42-line block ×4, first 2 shown]
	s_waitcnt lgkmcnt(0)
	v_pk_fma_f16 v88, v68, v82, v88 op_sel:[0,1,0]
	v_pk_fma_f16 v71, v69, v82, v71 op_sel_hi:[1,0,1]
	v_pk_fma_f16 v65, v69, v82, v65 op_sel:[0,1,0]
	v_pk_fma_f16 v72, v70, v82, v72 op_sel_hi:[1,0,1]
	;; [unrolled: 2-line block ×4, first 2 shown]
	ds_load_2addr_b64 v[67:70], v90 offset0:64 offset1:96
	s_waitcnt lgkmcnt(0)
	v_pk_fma_f16 v88, v68, v83, v88 op_sel:[0,1,0]
	v_pk_fma_f16 v71, v69, v83, v71 op_sel_hi:[1,0,1]
	v_pk_fma_f16 v65, v69, v83, v65 op_sel:[0,1,0]
	v_pk_fma_f16 v72, v70, v83, v72 op_sel_hi:[1,0,1]
	;; [unrolled: 2-line block ×4, first 2 shown]
	ds_load_2addr_b64 v[67:70], v90 offset0:128 offset1:160
	s_waitcnt lgkmcnt(0)
	v_pk_fma_f16 v83, v68, v84, v88 op_sel:[0,1,0]
	v_pk_fma_f16 v91, v67, v84, v86 op_sel_hi:[1,0,1]
	v_pk_fma_f16 v67, v67, v84, v87 op_sel:[0,1,0]
	ds_load_2addr_b64 v[86:89], v90 offset0:192 offset1:224
	s_waitcnt lgkmcnt(0)
	s_barrier
	buffer_gl0_inv
	s_load_b32 s2, s[8:9], 0x4
	v_pk_fma_f16 v71, v69, v84, v71 op_sel_hi:[1,0,1]
	v_pk_fma_f16 v65, v69, v84, v65 op_sel:[0,1,0]
	v_pk_fma_f16 v69, v70, v84, v72 op_sel_hi:[1,0,1]
	v_pk_fma_f16 v64, v70, v84, v64 op_sel:[0,1,0]
	;; [unrolled: 2-line block ×4, first 2 shown]
	v_pk_fma_f16 v72, v89, v85, v69 op_sel_hi:[1,0,1]
	s_waitcnt lgkmcnt(0)
	s_lshl_b32 s2, s2, 5
	v_pk_fma_f16 v64, v89, v85, v64 op_sel:[0,1,0]
	v_pk_fma_f16 v69, v86, v85, v91 op_sel_hi:[1,0,1]
	v_pk_fma_f16 v67, v86, v85, v67 op_sel:[0,1,0]
	v_pk_fma_f16 v71, v87, v85, v82 op_sel_hi:[1,0,1]
	s_add_i32 s5, s2, s5
	s_delay_alu instid0(SALU_CYCLE_1)
	s_cmp_ge_i32 s5, s34
	s_cbranch_scc1 .LBB60_19
; %bb.18:                               ;   in Loop: Header=BB60_9 Depth=1
	v_dual_mov_b32 v73, v35 :: v_dual_mov_b32 v66, v80
	v_mov_b32_e32 v75, v36
	s_branch .LBB60_9
.LBB60_19:
	v_mov_b32_e32 v3, v39
.LBB60_20:
	v_cmp_lt_i32_e32 vcc_lo, v79, v40
	s_cmp_lg_u64 s[24:25], 0
	s_cselect_b32 s2, -1, 0
	s_cmp_eq_u32 s14, 0
	v_cndmask_b32_e32 v2, v3, v79, vcc_lo
	v_cmp_lt_i32_e32 vcc_lo, v74, v40
	s_cselect_b32 s3, -1, 0
	s_delay_alu instid0(SALU_CYCLE_1) | instskip(SKIP_2) | instid1(VALU_DEP_2)
	s_and_b32 s2, s3, s2
	v_cndmask_b32_e32 v5, v3, v74, vcc_lo
	v_cmp_lt_i32_e32 vcc_lo, v76, v40
	v_lshlrev_b32_e32 v5, 2, v5
	v_dual_cndmask_b32 v7, v3, v76 :: v_dual_lshlrev_b32 v2, 2, v2
	v_cmp_lt_i32_e32 vcc_lo, v77, v40
	ds_bpermute_b32 v4, v2, v43
	ds_bpermute_b32 v2, v2, v80
	s_waitcnt lgkmcnt(1)
	v_dual_add_f32 v4, v43, v4 :: v_dual_lshlrev_b32 v7, 2, v7
	s_waitcnt lgkmcnt(0)
	v_add_f32_e32 v2, v80, v2
	ds_bpermute_b32 v6, v5, v4
	ds_bpermute_b32 v5, v5, v2
	s_waitcnt lgkmcnt(1)
	v_add_f32_e32 v4, v4, v6
	s_waitcnt lgkmcnt(0)
	v_add_f32_e32 v2, v2, v5
	ds_bpermute_b32 v5, v7, v4
	ds_bpermute_b32 v6, v7, v2
	v_cndmask_b32_e32 v7, v3, v77, vcc_lo
	v_cmp_lt_i32_e32 vcc_lo, v78, v40
	s_delay_alu instid0(VALU_DEP_2) | instskip(SKIP_4) | instid1(VALU_DEP_1)
	v_lshlrev_b32_e32 v7, 2, v7
	v_cndmask_b32_e32 v3, v3, v78, vcc_lo
	s_and_b32 vcc_lo, exec_lo, s2
	s_mov_b32 s2, 0
	s_waitcnt lgkmcnt(1)
	v_dual_add_f32 v4, v4, v5 :: v_dual_lshlrev_b32 v3, 2, v3
	s_waitcnt lgkmcnt(0)
	v_add_f32_e32 v2, v2, v6
	ds_bpermute_b32 v5, v7, v4
	ds_bpermute_b32 v6, v7, v2
	s_waitcnt lgkmcnt(0)
	v_dual_add_f32 v4, v4, v5 :: v_dual_add_f32 v5, v2, v6
	v_add_nc_u32_e32 v6, s15, v38
	ds_bpermute_b32 v2, v3, v4
	ds_bpermute_b32 v3, v3, v5
	s_waitcnt lgkmcnt(0)
	v_dual_add_f32 v2, v4, v2 :: v_dual_add_f32 v3, v5, v3
	s_cbranch_vccnz .LBB60_22
; %bb.21:
	s_delay_alu instid0(VALU_DEP_1) | instskip(NEXT) | instid1(VALU_DEP_2)
	v_mov_b32_e32 v5, v3
	v_dual_mov_b32 v4, v2 :: v_dual_add_nc_u32 v7, s15, v38
	s_and_not1_b32 vcc_lo, exec_lo, s2
	s_cbranch_vccz .LBB60_23
	s_branch .LBB60_24
.LBB60_22:
                                        ; implicit-def: $vgpr7
                                        ; implicit-def: $vgpr4_vgpr5
.LBB60_23:
	v_ashrrev_i32_e32 v7, 31, v6
	s_delay_alu instid0(VALU_DEP_1) | instskip(NEXT) | instid1(VALU_DEP_1)
	v_lshlrev_b64 v[4:5], 2, v[6:7]
	v_add_co_u32 v4, vcc_lo, s24, v4
	s_delay_alu instid0(VALU_DEP_2) | instskip(SKIP_4) | instid1(VALU_DEP_1)
	v_add_co_ci_u32_e32 v5, vcc_lo, s25, v5, vcc_lo
	global_load_b64 v[4:5], v[4:5], off
	v_max_f32_e32 v7, v35, v35
	s_waitcnt vmcnt(0)
	v_dual_max_f32 v9, v36, v36 :: v_dual_max_f32 v10, v5, v5
	v_dual_max_f32 v8, v4, v4 :: v_dual_max_f32 v9, v9, v10
	s_delay_alu instid0(VALU_DEP_1) | instskip(NEXT) | instid1(VALU_DEP_1)
	v_max_f32_e32 v8, v7, v8
	v_dual_sub_f32 v10, v36, v9 :: v_dual_sub_f32 v7, v35, v8
	v_dual_sub_f32 v4, v4, v8 :: v_dual_sub_f32 v5, v5, v9
	s_delay_alu instid0(VALU_DEP_2) | instskip(NEXT) | instid1(VALU_DEP_2)
	v_dual_mov_b32 v36, v9 :: v_dual_mul_f32 v13, 0x3fb8aa3b, v10
	v_dual_mul_f32 v11, 0x3fb8aa3b, v7 :: v_dual_mul_f32 v12, 0x3fb8aa3b, v4
	s_delay_alu instid0(VALU_DEP_3) | instskip(SKIP_1) | instid1(VALU_DEP_4)
	v_mul_f32_e32 v14, 0x3fb8aa3b, v5
	v_cmp_ngt_f32_e32 vcc_lo, 0xc2ce8ed0, v7
	v_fma_f32 v19, 0x3fb8aa3b, v10, -v13
	s_delay_alu instid0(VALU_DEP_4)
	v_fma_f32 v15, 0x3fb8aa3b, v7, -v11
	v_rndne_f32_e32 v16, v11
	v_rndne_f32_e32 v18, v12
	;; [unrolled: 1-line block ×3, first 2 shown]
	v_fma_f32 v17, 0x3fb8aa3b, v4, -v12
	v_fmac_f32_e32 v15, 0x32a5705f, v7
	v_sub_f32_e32 v11, v11, v16
	v_fma_f32 v21, 0x3fb8aa3b, v5, -v14
	v_sub_f32_e32 v14, v14, v22
	v_sub_f32_e32 v12, v12, v18
	v_rndne_f32_e32 v20, v13
	v_add_f32_e32 v11, v11, v15
	v_cvt_i32_f32_e32 v15, v16
	v_cvt_i32_f32_e32 v16, v18
	v_cvt_i32_f32_e32 v18, v22
	v_mov_b32_e32 v35, v8
	v_exp_f32_e32 v11, v11
	s_waitcnt_depctr 0xfff
	v_ldexp_f32 v11, v11, v15
	s_delay_alu instid0(VALU_DEP_1) | instskip(SKIP_2) | instid1(VALU_DEP_1)
	v_cndmask_b32_e32 v11, 0, v11, vcc_lo
	v_cmp_ngt_f32_e32 vcc_lo, 0xc2ce8ed0, v4
	v_fmac_f32_e32 v21, 0x32a5705f, v5
	v_dual_fmac_f32 v17, 0x32a5705f, v4 :: v_dual_add_f32 v14, v14, v21
	s_delay_alu instid0(VALU_DEP_1) | instskip(SKIP_1) | instid1(VALU_DEP_3)
	v_dual_fmac_f32 v19, 0x32a5705f, v10 :: v_dual_add_f32 v12, v12, v17
	v_cvt_i32_f32_e32 v17, v20
	v_exp_f32_e32 v14, v14
	s_delay_alu instid0(VALU_DEP_2) | instskip(SKIP_4) | instid1(VALU_DEP_1)
	v_exp_f32_e32 v12, v12
	s_waitcnt_depctr 0xfff
	v_ldexp_f32 v14, v14, v18
	v_sub_f32_e32 v13, v13, v20
	v_ldexp_f32 v12, v12, v16
	v_dual_add_f32 v13, v13, v19 :: v_dual_cndmask_b32 v12, 0, v12
	v_cmp_ngt_f32_e32 vcc_lo, 0xc2ce8ed0, v10
	s_delay_alu instid0(VALU_DEP_2) | instskip(SKIP_2) | instid1(VALU_DEP_1)
	v_exp_f32_e32 v13, v13
	s_waitcnt_depctr 0xfff
	v_ldexp_f32 v13, v13, v17
	v_cndmask_b32_e32 v13, 0, v13, vcc_lo
	v_cmp_ngt_f32_e32 vcc_lo, 0xc2ce8ed0, v5
	v_cndmask_b32_e32 v14, 0, v14, vcc_lo
	v_cmp_nlt_f32_e32 vcc_lo, 0x42b17218, v7
	v_mov_b32_e32 v7, v6
	v_cndmask_b32_e32 v11, 0x7f800000, v11, vcc_lo
	v_cmp_nlt_f32_e32 vcc_lo, 0x42b17218, v4
	s_delay_alu instid0(VALU_DEP_2) | instskip(SKIP_2) | instid1(VALU_DEP_3)
	v_cvt_f16_f32_e32 v6, v11
	v_cndmask_b32_e32 v4, 0x7f800000, v12, vcc_lo
	v_cmp_nlt_f32_e32 vcc_lo, 0x42b17218, v10
	v_pk_mul_f16 v69, v6, v69 op_sel_hi:[0,1]
	s_delay_alu instid0(VALU_DEP_3)
	v_fmac_f32_e32 v4, v2, v11
	v_cndmask_b32_e32 v10, 0x7f800000, v13, vcc_lo
	v_cmp_nlt_f32_e32 vcc_lo, 0x42b17218, v5
	v_pk_mul_f16 v71, v6, v71 op_sel_hi:[0,1]
	v_pk_mul_f16 v70, v6, v70 op_sel_hi:[0,1]
	v_pk_mul_f16 v72, v6, v72 op_sel_hi:[0,1]
	v_cvt_f16_f32_e32 v2, v10
	v_cndmask_b32_e32 v5, 0x7f800000, v14, vcc_lo
	s_delay_alu instid0(VALU_DEP_2) | instskip(NEXT) | instid1(VALU_DEP_2)
	v_pk_mul_f16 v67, v2, v67 op_sel_hi:[0,1]
	v_fmac_f32_e32 v5, v3, v10
	v_pk_mul_f16 v68, v2, v68 op_sel_hi:[0,1]
	v_pk_mul_f16 v65, v2, v65 op_sel_hi:[0,1]
	;; [unrolled: 1-line block ×3, first 2 shown]
	s_delay_alu instid0(VALU_DEP_4)
	v_dual_mov_b32 v2, v4 :: v_dual_mov_b32 v3, v5
.LBB60_24:
	s_load_b32 s1, s[0:1], 0xd4
	v_mov_b32_e32 v6, 1.0
	s_waitcnt lgkmcnt(0)
	s_cmp_lg_u32 s1, 1
	s_cselect_b32 s3, -1, 0
	s_cmp_eq_u32 s1, 1
	s_cselect_b32 s2, -1, 0
	s_and_b32 vcc_lo, exec_lo, s3
	s_cbranch_vccnz .LBB60_26
; %bb.25:
	v_div_scale_f32 v6, null, v2, v2, 1.0
	s_delay_alu instid0(VALU_DEP_1) | instskip(SKIP_2) | instid1(VALU_DEP_1)
	v_rcp_f32_e32 v8, v6
	s_waitcnt_depctr 0xfff
	v_fma_f32 v9, -v6, v8, 1.0
	v_fmac_f32_e32 v8, v9, v8
	v_div_scale_f32 v9, vcc_lo, 1.0, v2, 1.0
	s_delay_alu instid0(VALU_DEP_1) | instskip(NEXT) | instid1(VALU_DEP_1)
	v_mul_f32_e32 v10, v9, v8
	v_fma_f32 v11, -v6, v10, v9
	s_delay_alu instid0(VALU_DEP_1) | instskip(NEXT) | instid1(VALU_DEP_1)
	v_fmac_f32_e32 v10, v11, v8
	v_fma_f32 v6, -v6, v10, v9
	s_delay_alu instid0(VALU_DEP_1) | instskip(NEXT) | instid1(VALU_DEP_1)
	v_div_fmas_f32 v6, v6, v8, v10
	v_div_fixup_f32 v6, v6, v2, 1.0
.LBB60_26:
	v_mad_u64_u32 v[8:9], null, s12, s6, v[1:2]
	v_cmp_eq_u32_e32 vcc_lo, 0, v0
	v_cvt_f32_f16_e32 v11, v69
	v_cvt_f32_f16_e32 v15, v70
	v_lshrrev_b32_e32 v12, 16, v72
	v_lshrrev_b32_e32 v14, 16, v70
	v_cvt_f32_f16_e32 v13, v72
	v_mad_u64_u32 v[9:10], null, v8, s7, v[7:8]
	v_lshrrev_b32_e32 v7, 16, v71
	v_cvt_f32_f16_e32 v8, v71
	v_lshrrev_b32_e32 v10, 16, v69
	v_mov_b32_e32 v2, 0
	v_cvt_f32_f16_e32 v12, v12
	v_cvt_f32_f16_e32 v17, v7
	v_mad_u64_u32 v[0:1], null, s1, v9, s[14:15]
	v_mul_f32_e32 v9, v6, v8
	v_cvt_f32_f16_e32 v8, v10
	v_mul_f32_e32 v7, v6, v11
	v_mul_f32_e32 v11, v6, v15
	v_cvt_f32_f16_e32 v18, v14
	v_mul_f32_e32 v10, v6, v17
	v_lshl_add_u32 v1, v0, 8, v37
	v_mul_f32_e32 v13, v6, v13
	v_mul_f32_e32 v14, v6, v12
	;; [unrolled: 1-line block ×4, first 2 shown]
	v_lshlrev_b64 v[15:16], 2, v[1:2]
	v_add_nc_u32_e32 v1, 0x80, v1
	s_delay_alu instid0(VALU_DEP_1) | instskip(NEXT) | instid1(VALU_DEP_3)
	v_lshlrev_b64 v[1:2], 2, v[1:2]
	v_add_co_u32 v15, s0, s28, v15
	s_delay_alu instid0(VALU_DEP_1) | instskip(NEXT) | instid1(VALU_DEP_3)
	v_add_co_ci_u32_e64 v16, s0, s29, v16, s0
	v_add_co_u32 v1, s0, s28, v1
	s_delay_alu instid0(VALU_DEP_1)
	v_add_co_ci_u32_e64 v2, s0, s29, v2, s0
	s_and_b32 s0, vcc_lo, s3
	s_clause 0x1
	global_store_b128 v[15:16], v[7:10], off
	global_store_b128 v[1:2], v[11:14], off
	s_and_saveexec_b32 s3, s0
	s_cbranch_execz .LBB60_28
; %bb.27:
	v_ashrrev_i32_e32 v1, 31, v0
	v_dual_mov_b32 v6, v35 :: v_dual_mov_b32 v7, v4
	s_delay_alu instid0(VALU_DEP_2) | instskip(NEXT) | instid1(VALU_DEP_1)
	v_lshlrev_b64 v[1:2], 3, v[0:1]
	v_add_co_u32 v1, vcc_lo, s30, v1
	s_delay_alu instid0(VALU_DEP_2)
	v_add_co_ci_u32_e32 v2, vcc_lo, s31, v2, vcc_lo
	global_store_b64 v[1:2], v[6:7], off
.LBB60_28:
	s_or_b32 exec_lo, exec_lo, s3
	v_mov_b32_e32 v1, 1.0
	s_and_not1_b32 vcc_lo, exec_lo, s2
	s_cbranch_vccnz .LBB60_30
; %bb.29:
	v_div_scale_f32 v1, null, v3, v3, 1.0
	s_delay_alu instid0(VALU_DEP_1) | instskip(SKIP_2) | instid1(VALU_DEP_1)
	v_rcp_f32_e32 v2, v1
	s_waitcnt_depctr 0xfff
	v_fma_f32 v4, -v1, v2, 1.0
	v_fmac_f32_e32 v2, v4, v2
	v_div_scale_f32 v4, vcc_lo, 1.0, v3, 1.0
	s_delay_alu instid0(VALU_DEP_1) | instskip(NEXT) | instid1(VALU_DEP_1)
	v_mul_f32_e32 v6, v4, v2
	v_fma_f32 v7, -v1, v6, v4
	s_delay_alu instid0(VALU_DEP_1) | instskip(NEXT) | instid1(VALU_DEP_1)
	v_fmac_f32_e32 v6, v7, v2
	v_fma_f32 v1, -v1, v6, v4
	s_delay_alu instid0(VALU_DEP_1) | instskip(NEXT) | instid1(VALU_DEP_1)
	v_div_fmas_f32 v1, v1, v2, v6
	v_div_fixup_f32 v1, v1, v3, 1.0
.LBB60_30:
	v_lshrrev_b32_e32 v2, 16, v68
	v_dual_mov_b32 v3, 0 :: v_dual_add_nc_u32 v0, s1, v0
	v_lshrrev_b32_e32 v4, 16, v67
	v_cvt_f32_f16_e32 v6, v68
	s_delay_alu instid0(VALU_DEP_4) | instskip(NEXT) | instid1(VALU_DEP_4)
	v_cvt_f32_f16_e32 v7, v2
	v_lshl_add_u32 v2, v0, 8, v37
	v_cvt_f32_f16_e32 v12, v67
	v_cvt_f32_f16_e32 v4, v4
	v_mul_f32_e32 v8, v1, v6
	v_mul_f32_e32 v9, v1, v7
	v_lshlrev_b64 v[10:11], 2, v[2:3]
	v_add_nc_u32_e32 v2, 0x80, v2
	v_mul_f32_e32 v6, v1, v12
	v_lshrrev_b32_e32 v12, 16, v65
	v_mul_f32_e32 v7, v1, v4
	v_lshrrev_b32_e32 v4, 16, v64
	v_add_co_u32 v10, vcc_lo, s28, v10
	s_delay_alu instid0(VALU_DEP_4) | instskip(SKIP_1) | instid1(VALU_DEP_4)
	v_cvt_f32_f16_e32 v15, v12
	v_lshlrev_b64 v[12:13], 2, v[2:3]
	v_cvt_f32_f16_e32 v4, v4
	v_cvt_f32_f16_e32 v14, v64
	;; [unrolled: 1-line block ×3, first 2 shown]
	v_add_co_ci_u32_e32 v11, vcc_lo, s29, v11, vcc_lo
	v_add_co_u32 v12, vcc_lo, s28, v12
	v_mul_f32_e32 v4, v1, v4
	v_mul_f32_e32 v3, v1, v14
	;; [unrolled: 1-line block ×4, first 2 shown]
	v_add_co_ci_u32_e32 v13, vcc_lo, s29, v13, vcc_lo
	s_clause 0x1
	global_store_b128 v[10:11], v[6:9], off
	global_store_b128 v[12:13], v[1:4], off
	s_and_saveexec_b32 s1, s0
	s_cbranch_execz .LBB60_32
; %bb.31:
	v_ashrrev_i32_e32 v1, 31, v0
	v_mov_b32_e32 v4, v36
	s_delay_alu instid0(VALU_DEP_2) | instskip(NEXT) | instid1(VALU_DEP_1)
	v_lshlrev_b64 v[0:1], 3, v[0:1]
	v_add_co_u32 v0, vcc_lo, s30, v0
	s_delay_alu instid0(VALU_DEP_2)
	v_add_co_ci_u32_e32 v1, vcc_lo, s31, v1, vcc_lo
	global_store_b64 v[0:1], v[4:5], off
.LBB60_32:
	s_nop 0
	s_sendmsg sendmsg(MSG_DEALLOC_VGPRS)
	s_endpgm
	.section	.rodata,"a",@progbits
	.p2align	6, 0x0
	.amdhsa_kernel _ZL15flash_attn_tileILi256ELi256ELi1ELi8ELb1EEvPKcS1_S1_S1_S1_PKiPfP15HIP_vector_typeIfLj2EEffffjfiS5_IjLj3EEiiiiiiiiiiiliiliiiiil
		.amdhsa_group_segment_fixed_size 21504
		.amdhsa_private_segment_fixed_size 0
		.amdhsa_kernarg_size 464
		.amdhsa_user_sgpr_count 13
		.amdhsa_user_sgpr_dispatch_ptr 0
		.amdhsa_user_sgpr_queue_ptr 0
		.amdhsa_user_sgpr_kernarg_segment_ptr 1
		.amdhsa_user_sgpr_dispatch_id 0
		.amdhsa_user_sgpr_private_segment_size 0
		.amdhsa_wavefront_size32 1
		.amdhsa_uses_dynamic_stack 0
		.amdhsa_enable_private_segment 0
		.amdhsa_system_sgpr_workgroup_id_x 1
		.amdhsa_system_sgpr_workgroup_id_y 1
		.amdhsa_system_sgpr_workgroup_id_z 1
		.amdhsa_system_sgpr_workgroup_info 0
		.amdhsa_system_vgpr_workitem_id 1
		.amdhsa_next_free_vgpr 108
		.amdhsa_next_free_sgpr 42
		.amdhsa_reserve_vcc 1
		.amdhsa_float_round_mode_32 0
		.amdhsa_float_round_mode_16_64 0
		.amdhsa_float_denorm_mode_32 3
		.amdhsa_float_denorm_mode_16_64 3
		.amdhsa_dx10_clamp 1
		.amdhsa_ieee_mode 1
		.amdhsa_fp16_overflow 0
		.amdhsa_workgroup_processor_mode 1
		.amdhsa_memory_ordered 1
		.amdhsa_forward_progress 0
		.amdhsa_shared_vgpr_count 0
		.amdhsa_exception_fp_ieee_invalid_op 0
		.amdhsa_exception_fp_denorm_src 0
		.amdhsa_exception_fp_ieee_div_zero 0
		.amdhsa_exception_fp_ieee_overflow 0
		.amdhsa_exception_fp_ieee_underflow 0
		.amdhsa_exception_fp_ieee_inexact 0
		.amdhsa_exception_int_div_zero 0
	.end_amdhsa_kernel
	.section	.text._ZL15flash_attn_tileILi256ELi256ELi1ELi8ELb1EEvPKcS1_S1_S1_S1_PKiPfP15HIP_vector_typeIfLj2EEffffjfiS5_IjLj3EEiiiiiiiiiiiliiliiiiil,"axG",@progbits,_ZL15flash_attn_tileILi256ELi256ELi1ELi8ELb1EEvPKcS1_S1_S1_S1_PKiPfP15HIP_vector_typeIfLj2EEffffjfiS5_IjLj3EEiiiiiiiiiiiliiliiiiil,comdat
.Lfunc_end60:
	.size	_ZL15flash_attn_tileILi256ELi256ELi1ELi8ELb1EEvPKcS1_S1_S1_S1_PKiPfP15HIP_vector_typeIfLj2EEffffjfiS5_IjLj3EEiiiiiiiiiiiliiliiiiil, .Lfunc_end60-_ZL15flash_attn_tileILi256ELi256ELi1ELi8ELb1EEvPKcS1_S1_S1_S1_PKiPfP15HIP_vector_typeIfLj2EEffffjfiS5_IjLj3EEiiiiiiiiiiiliiliiiiil
                                        ; -- End function
	.section	.AMDGPU.csdata,"",@progbits
; Kernel info:
; codeLenInByte = 14908
; NumSgprs: 44
; NumVgprs: 108
; ScratchSize: 0
; MemoryBound: 0
; FloatMode: 240
; IeeeMode: 1
; LDSByteSize: 21504 bytes/workgroup (compile time only)
; SGPRBlocks: 5
; VGPRBlocks: 13
; NumSGPRsForWavesPerEU: 44
; NumVGPRsForWavesPerEU: 108
; Occupancy: 6
; WaveLimiterHint : 1
; COMPUTE_PGM_RSRC2:SCRATCH_EN: 0
; COMPUTE_PGM_RSRC2:USER_SGPR: 13
; COMPUTE_PGM_RSRC2:TRAP_HANDLER: 0
; COMPUTE_PGM_RSRC2:TGID_X_EN: 1
; COMPUTE_PGM_RSRC2:TGID_Y_EN: 1
; COMPUTE_PGM_RSRC2:TGID_Z_EN: 1
; COMPUTE_PGM_RSRC2:TIDIG_COMP_CNT: 1
	.section	.text._ZL15flash_attn_tileILi256ELi256ELi8ELi4ELb1EEvPKcS1_S1_S1_S1_PKiPfP15HIP_vector_typeIfLj2EEffffjfiS5_IjLj3EEiiiiiiiiiiiliiliiiiil,"axG",@progbits,_ZL15flash_attn_tileILi256ELi256ELi8ELi4ELb1EEvPKcS1_S1_S1_S1_PKiPfP15HIP_vector_typeIfLj2EEffffjfiS5_IjLj3EEiiiiiiiiiiiliiliiiiil,comdat
	.globl	_ZL15flash_attn_tileILi256ELi256ELi8ELi4ELb1EEvPKcS1_S1_S1_S1_PKiPfP15HIP_vector_typeIfLj2EEffffjfiS5_IjLj3EEiiiiiiiiiiiliiliiiiil ; -- Begin function _ZL15flash_attn_tileILi256ELi256ELi8ELi4ELb1EEvPKcS1_S1_S1_S1_PKiPfP15HIP_vector_typeIfLj2EEffffjfiS5_IjLj3EEiiiiiiiiiiiliiliiiiil
	.p2align	8
	.type	_ZL15flash_attn_tileILi256ELi256ELi8ELi4ELb1EEvPKcS1_S1_S1_S1_PKiPfP15HIP_vector_typeIfLj2EEffffjfiS5_IjLj3EEiiiiiiiiiiiliiliiiiil,@function
_ZL15flash_attn_tileILi256ELi256ELi8ELi4ELb1EEvPKcS1_S1_S1_S1_PKiPfP15HIP_vector_typeIfLj2EEffffjfiS5_IjLj3EEiiiiiiiiiiiliiliiiiil: ; @_ZL15flash_attn_tileILi256ELi256ELi8ELi4ELb1EEvPKcS1_S1_S1_S1_PKiPfP15HIP_vector_typeIfLj2EEffffjfiS5_IjLj3EEiiiiiiiiiiiliiliiiiil
; %bb.0:
	s_clause 0x3
	s_load_b128 s[4:7], s[0:1], 0x5c
	s_load_b64 s[34:35], s[0:1], 0x80
	s_load_b512 s[16:31], s[0:1], 0x0
	s_load_b64 s[38:39], s[0:1], 0xb8
	s_mov_b64 s[36:37], 0
	s_waitcnt lgkmcnt(0)
	s_ashr_i32 s2, s7, 31
	s_delay_alu instid0(SALU_CYCLE_1) | instskip(NEXT) | instid1(SALU_CYCLE_1)
	s_lshr_b32 s2, s2, 30
	s_add_i32 s2, s7, s2
	s_delay_alu instid0(SALU_CYCLE_1) | instskip(NEXT) | instid1(SALU_CYCLE_1)
	s_ashr_i32 s2, s2, 2
	v_cvt_f32_u32_e32 v1, s2
	s_sub_i32 s8, 0, s2
	s_delay_alu instid0(VALU_DEP_1) | instskip(SKIP_2) | instid1(VALU_DEP_1)
	v_rcp_iflag_f32_e32 v1, v1
	s_waitcnt_depctr 0xfff
	v_mul_f32_e32 v1, 0x4f7ffffe, v1
	v_cvt_u32_f32_e32 v1, v1
	s_delay_alu instid0(VALU_DEP_1) | instskip(NEXT) | instid1(VALU_DEP_1)
	v_readfirstlane_b32 s3, v1
	s_mul_i32 s8, s8, s3
	s_delay_alu instid0(SALU_CYCLE_1) | instskip(NEXT) | instid1(SALU_CYCLE_1)
	s_mul_hi_u32 s8, s3, s8
	s_add_i32 s3, s3, s8
	s_delay_alu instid0(SALU_CYCLE_1) | instskip(NEXT) | instid1(SALU_CYCLE_1)
	s_mul_hi_u32 s3, s15, s3
	s_mul_i32 s8, s3, s2
	s_add_i32 s9, s3, 1
	s_sub_i32 s8, s15, s8
	s_delay_alu instid0(SALU_CYCLE_1)
	s_sub_i32 s10, s8, s2
	s_cmp_ge_u32 s8, s2
	s_cselect_b32 s3, s9, s3
	s_cselect_b32 s8, s10, s8
	s_add_i32 s9, s3, 1
	s_cmp_ge_u32 s8, s2
	s_cselect_b32 s12, s9, s3
	s_abs_i32 s3, s35
	s_abs_i32 s11, s7
	v_cvt_f32_u32_e32 v1, s3
	s_sub_i32 s8, 0, s3
	s_lshl_b32 s9, s15, 2
	s_mul_i32 s10, s12, s7
	s_delay_alu instid0(VALU_DEP_1) | instskip(SKIP_2) | instid1(VALU_DEP_1)
	v_rcp_iflag_f32_e32 v1, v1
	s_waitcnt_depctr 0xfff
	v_mul_f32_e32 v1, 0x4f7ffffe, v1
	v_cvt_u32_f32_e32 v1, v1
	s_delay_alu instid0(VALU_DEP_1) | instskip(NEXT) | instid1(VALU_DEP_1)
	v_readfirstlane_b32 s2, v1
	s_mul_i32 s8, s8, s2
	s_delay_alu instid0(SALU_CYCLE_1) | instskip(NEXT) | instid1(SALU_CYCLE_1)
	s_mul_hi_u32 s8, s2, s8
	s_add_i32 s8, s2, s8
	s_sub_i32 s2, s9, s10
	s_mul_hi_u32 s8, s11, s8
	s_xor_b32 s9, s7, s35
	s_mul_i32 s10, s8, s3
	s_ashr_i32 s9, s9, 31
	s_sub_i32 s10, s11, s10
	s_add_i32 s11, s8, 1
	s_sub_i32 s15, s10, s3
	s_cmp_ge_u32 s10, s3
	s_cselect_b32 s8, s11, s8
	s_cselect_b32 s10, s15, s10
	s_add_i32 s11, s8, 1
	s_cmp_ge_u32 s10, s3
	s_cselect_b32 s3, s11, s8
	s_delay_alu instid0(SALU_CYCLE_1) | instskip(NEXT) | instid1(SALU_CYCLE_1)
	s_xor_b32 s3, s3, s9
	s_sub_i32 s33, s3, s9
	s_delay_alu instid0(SALU_CYCLE_1) | instskip(SKIP_2) | instid1(VALU_DEP_1)
	s_abs_i32 s15, s33
	s_cmp_eq_u64 s[22:23], 0
	v_cvt_f32_u32_e32 v1, s15
	v_rcp_iflag_f32_e32 v1, v1
	s_waitcnt_depctr 0xfff
	v_mul_f32_e32 v1, 0x4f7ffffe, v1
	s_delay_alu instid0(VALU_DEP_1) | instskip(NEXT) | instid1(VALU_DEP_1)
	v_cvt_u32_f32_e32 v1, v1
	v_readfirstlane_b32 s35, v1
	s_cbranch_scc1 .LBB61_2
; %bb.1:
	s_abs_i32 s3, s38
	s_abs_i32 s10, s12
	v_cvt_f32_u32_e32 v1, s3
	s_sub_i32 s9, 0, s3
	s_delay_alu instid0(VALU_DEP_1) | instskip(SKIP_2) | instid1(VALU_DEP_1)
	v_rcp_iflag_f32_e32 v1, v1
	s_waitcnt_depctr 0xfff
	v_mul_f32_e32 v1, 0x4f7ffffe, v1
	v_cvt_u32_f32_e32 v1, v1
	s_delay_alu instid0(VALU_DEP_1) | instskip(NEXT) | instid1(VALU_DEP_1)
	v_readfirstlane_b32 s8, v1
	s_mul_i32 s9, s9, s8
	s_delay_alu instid0(SALU_CYCLE_1) | instskip(NEXT) | instid1(SALU_CYCLE_1)
	s_mul_hi_u32 s9, s8, s9
	s_add_i32 s11, s8, s9
	s_load_b64 s[8:9], s[0:1], 0xc8
	s_mul_hi_u32 s11, s10, s11
	s_delay_alu instid0(SALU_CYCLE_1) | instskip(NEXT) | instid1(SALU_CYCLE_1)
	s_mul_i32 s11, s11, s3
	s_sub_i32 s10, s10, s11
	s_ashr_i32 s11, s12, 31
	s_sub_i32 s36, s10, s3
	s_cmp_ge_u32 s10, s3
	s_cselect_b32 s10, s36, s10
	s_delay_alu instid0(SALU_CYCLE_1) | instskip(SKIP_2) | instid1(SALU_CYCLE_1)
	s_sub_i32 s36, s10, s3
	s_cmp_ge_u32 s10, s3
	s_cselect_b32 s3, s36, s10
	s_xor_b32 s3, s3, s11
	s_delay_alu instid0(SALU_CYCLE_1)
	s_sub_i32 s3, s3, s11
	s_waitcnt lgkmcnt(0)
	s_mul_i32 s9, s3, s9
	s_mul_hi_u32 s10, s3, s8
	s_ashr_i32 s11, s3, 31
	s_add_i32 s9, s10, s9
	s_mul_i32 s11, s11, s8
	s_mul_i32 s3, s3, s8
	s_add_i32 s9, s9, s11
	s_add_u32 s36, s22, s3
	s_addc_u32 s37, s23, s9
.LBB61_2:
	v_bfe_u32 v4, v0, 10, 10
	s_load_b128 s[8:11], s[0:1], 0x70
	v_and_b32_e32 v13, 0x3ff, v0
	s_delay_alu instid0(VALU_DEP_2) | instskip(NEXT) | instid1(VALU_DEP_1)
	v_lshl_add_u32 v12, s13, 3, v4
	v_mul_hi_u32 v1, s4, v12
	s_delay_alu instid0(VALU_DEP_1) | instskip(SKIP_3) | instid1(VALU_DEP_1)
	v_add_nc_u32_e32 v1, v12, v1
	s_waitcnt lgkmcnt(0)
	s_mul_i32 s3, s12, s10
	s_mul_i32 s4, s2, s9
	v_lshrrev_b32_e32 v1, s5, v1
	s_ashr_i32 s5, s3, 31
	s_add_u32 s3, s16, s3
	s_addc_u32 s5, s17, s5
	s_ashr_i32 s10, s4, 31
	v_mul_lo_u32 v1, v1, s6
	s_add_u32 s3, s3, s4
	s_addc_u32 s10, s5, s10
	s_ashr_i32 s4, s8, 31
	s_ashr_i32 s5, s9, 31
	v_alignbit_b32 v3, s4, s8, 2
	s_lshr_b32 s4, s4, 2
	s_delay_alu instid0(VALU_DEP_2) | instskip(NEXT) | instid1(VALU_DEP_1)
	v_sub_nc_u32_e32 v5, v12, v1
	v_mad_u64_u32 v[1:2], null, v3, v5, 0
	s_delay_alu instid0(VALU_DEP_1) | instskip(SKIP_2) | instid1(VALU_DEP_2)
	v_mad_u64_u32 v[6:7], null, s4, v5, v[2:3]
	v_alignbit_b32 v3, s5, s9, 2
	s_mov_b32 s4, s9
	v_mov_b32_e32 v2, v6
	s_delay_alu instid0(VALU_DEP_1) | instskip(SKIP_1) | instid1(VALU_DEP_2)
	v_lshlrev_b64 v[0:1], 2, v[1:2]
	v_lshlrev_b32_e32 v2, 4, v13
	v_add_co_u32 v0, vcc_lo, s3, v0
	s_delay_alu instid0(VALU_DEP_3) | instskip(SKIP_1) | instid1(VALU_DEP_2)
	v_add_co_ci_u32_e32 v1, vcc_lo, s10, v1, vcc_lo
	s_and_b32 s3, s9, -4
	v_add_co_u32 v10, vcc_lo, v0, v2
	s_delay_alu instid0(VALU_DEP_2) | instskip(SKIP_2) | instid1(VALU_DEP_2)
	v_add_co_ci_u32_e32 v11, vcc_lo, 0, v1, vcc_lo
	s_lshr_b64 s[8:9], s[4:5], 2
	s_lshr_b32 s4, s5, 2
	v_add_co_u32 v18, vcc_lo, v10, s3
	s_delay_alu instid0(VALU_DEP_2)
	v_mad_u64_u32 v[34:35], null, v3, 12, v[10:11]
	s_lshl_b64 s[8:9], s[8:9], 3
	s_clause 0x1
	global_load_b128 v[0:3], v[10:11], off
	global_load_b128 v[6:9], v[10:11], off offset:512
	v_add_co_ci_u32_e32 v19, vcc_lo, s5, v11, vcc_lo
	v_add_co_u32 v10, vcc_lo, v10, s8
	v_mov_b32_e32 v22, v35
	v_add_co_ci_u32_e32 v11, vcc_lo, s9, v11, vcc_lo
	s_clause 0x1
	global_load_b128 v[14:17], v[18:19], off
	global_load_b128 v[18:21], v[18:19], off offset:512
	s_load_b32 s3, s[0:1], 0x40
	v_mad_u64_u32 v[30:31], null, s4, 12, v[22:23]
	s_clause 0x1
	global_load_b128 v[22:25], v[10:11], off
	global_load_b128 v[26:29], v[10:11], off offset:512
	v_lshlrev_b32_e32 v10, 11, v4
	s_mov_b32 s5, 0
	s_cmp_eq_u64 s[26:27], 0
	v_mov_b32_e32 v35, v30
	s_delay_alu instid0(VALU_DEP_2)
	v_lshl_or_b32 v40, v13, 3, v10
	s_clause 0x1
	global_load_b128 v[30:33], v[34:35], off
	global_load_b128 v[34:37], v[34:35], off offset:512
	v_add_nc_u32_e32 v41, 0x4000, v40
	v_add_nc_u32_e32 v40, 0x4800, v40
	s_waitcnt vmcnt(7) lgkmcnt(0)
	v_fma_mixlo_f16 v10, v0, s3, 0
	v_fma_mixlo_f16 v11, v2, s3, 0
	s_waitcnt vmcnt(6)
	v_fma_mixlo_f16 v39, v8, s3, 0
	v_fma_mixlo_f16 v38, v6, s3, 0
	v_fma_mixhi_f16 v10, v1, s3, 0
	v_fma_mixhi_f16 v11, v3, s3, 0
	s_delay_alu instid0(VALU_DEP_4)
	v_fma_mixhi_f16 v39, v9, s3, 0
	s_waitcnt vmcnt(5)
	v_fma_mixlo_f16 v0, v14, s3, 0
	v_fma_mixlo_f16 v1, v16, s3, 0
	s_waitcnt vmcnt(4)
	v_fma_mixlo_f16 v2, v18, s3, 0
	v_fma_mixlo_f16 v3, v20, s3, 0
	v_fma_mixhi_f16 v38, v7, s3, 0
	s_waitcnt vmcnt(3)
	v_fma_mixlo_f16 v6, v22, s3, 0
	v_fma_mixlo_f16 v7, v24, s3, 0
	s_waitcnt vmcnt(2)
	v_fma_mixlo_f16 v8, v26, s3, 0
	v_fma_mixlo_f16 v9, v28, s3, 0
	v_fma_mixhi_f16 v1, v17, s3, 0
	v_fma_mixhi_f16 v0, v15, s3, 0
	;; [unrolled: 1-line block ×6, first 2 shown]
	s_waitcnt vmcnt(1)
	v_fma_mixlo_f16 v15, v32, s3, 0
	v_fma_mixlo_f16 v14, v30, s3, 0
	s_waitcnt vmcnt(0)
	v_fma_mixlo_f16 v17, v36, s3, 0
	v_fma_mixlo_f16 v16, v34, s3, 0
	v_fma_mixhi_f16 v9, v29, s3, 0
	v_fma_mixhi_f16 v8, v27, s3, 0
	;; [unrolled: 1-line block ×6, first 2 shown]
	ds_store_2addr_b64 v41, v[10:11], v[38:39] offset0:128 offset1:160
	ds_store_2addr_b64 v41, v[0:1], v[2:3] offset0:192 offset1:224
	ds_store_2addr_b64 v40, v[6:7], v[8:9] offset1:32
	ds_store_2addr_b64 v40, v[14:15], v[16:17] offset0:64 offset1:96
	s_waitcnt lgkmcnt(0)
	s_barrier
	buffer_gl0_inv
	s_cbranch_scc1 .LBB61_4
; %bb.3:
	s_load_b32 s3, s[0:1], 0xd0
	s_waitcnt lgkmcnt(0)
	s_mul_i32 s3, s3, s12
	s_delay_alu instid0(SALU_CYCLE_1) | instskip(NEXT) | instid1(SALU_CYCLE_1)
	s_add_i32 s4, s3, s13
	s_lshl_b64 s[4:5], s[4:5], 2
	s_delay_alu instid0(SALU_CYCLE_1)
	s_add_u32 s4, s26, s4
	s_addc_u32 s5, s27, s5
	s_load_b32 s34, s[4:5], 0x0
.LBB61_4:
	v_lshlrev_b32_e32 v31, 2, v13
	v_mbcnt_lo_u32_b32 v32, -1, 0
	s_lshl_b32 s3, s14, 6
	s_waitcnt lgkmcnt(0)
	s_cmp_lt_i32 s3, s34
	s_cbranch_scc1 .LBB61_6
; %bb.5:
	v_mbcnt_lo_u32_b32 v6, -1, 0
	v_mov_b32_e32 v33, 32
	s_mov_b32 s4, 0
	s_mov_b32 s5, 0xfeffffff
	s_delay_alu instid0(VALU_DEP_2)
	v_xor_b32_e32 v78, 16, v6
	v_xor_b32_e32 v77, 8, v6
	;; [unrolled: 1-line block ×5, first 2 shown]
	s_branch .LBB61_7
.LBB61_6:
	s_mov_b32 s4, -1
                                        ; implicit-def: $sgpr5
                                        ; implicit-def: $vgpr6
                                        ; implicit-def: $vgpr33
                                        ; implicit-def: $vgpr78
                                        ; implicit-def: $vgpr77
                                        ; implicit-def: $vgpr76
                                        ; implicit-def: $vgpr75
                                        ; implicit-def: $vgpr74
.LBB61_7:
	s_delay_alu instid0(SALU_CYCLE_1) | instskip(SKIP_3) | instid1(VALU_DEP_4)
	v_cndmask_b32_e64 v0, 0, 1, s4
	v_dual_mov_b32 v3, s5 :: v_dual_mov_b32 v2, s5
	v_mov_b32_e32 v71, s4
	v_dual_mov_b32 v59, s4 :: v_dual_mov_b32 v70, s4
	v_cmp_ne_u32_e32 vcc_lo, 1, v0
	v_dual_mov_b32 v1, s5 :: v_dual_mov_b32 v68, s4
	v_dual_mov_b32 v0, s5 :: v_dual_mov_b32 v69, s4
	;; [unrolled: 1-line block ×4, first 2 shown]
	v_mov_b32_e32 v60, s4
	v_dual_mov_b32 v58, s4 :: v_dual_mov_b32 v57, s4
	v_dual_mov_b32 v52, s4 :: v_dual_mov_b32 v55, s4
	;; [unrolled: 1-line block ×5, first 2 shown]
	s_cbranch_vccnz .LBB61_44
; %bb.8:
	s_clause 0x1
	s_load_b128 s[8:11], s[0:1], 0x98
	s_load_b64 s[4:5], s[0:1], 0x8c
	s_sub_i32 s13, 0, s15
	s_abs_i32 s22, s2
	s_mul_i32 s13, s13, s35
	s_ashr_i32 s26, s33, 31
	s_mul_hi_u32 s13, s35, s13
	s_ashr_i32 s27, s39, 1
	s_add_i32 s35, s35, s13
	s_ashr_i32 s23, s2, 31
	s_mul_hi_u32 s33, s22, s35
	s_ashr_i32 s35, s12, 31
	s_load_b64 s[16:17], s[0:1], 0xa8
	s_mul_i32 s38, s33, s15
	v_lshrrev_b32_e32 v0, 4, v13
	v_dual_mov_b32 v53, 0 :: v_dual_lshlrev_b32 v40, 2, v31
	v_mad_u64_u32 v[14:15], null, v5, s27, v[13:14]
	s_delay_alu instid0(VALU_DEP_3)
	v_lshl_add_u32 v1, v4, 1, v0
	s_waitcnt lgkmcnt(0)
	s_mul_i32 s39, s35, s8
	s_ashr_i32 s13, s4, 2
	s_mul_i32 s4, s12, s9
	s_mul_hi_u32 s9, s12, s8
	s_mul_i32 s8, s12, s8
	s_add_i32 s4, s9, s4
	s_ashr_i32 s10, s10, 2
	s_add_i32 s4, s4, s39
	s_add_u32 s8, s18, s8
	s_addc_u32 s4, s19, s4
	s_sub_i32 s18, s22, s38
	s_xor_b32 s9, s23, s26
	s_add_i32 s19, s33, 1
	s_sub_i32 s22, s18, s15
	s_cmp_ge_u32 s18, s15
	s_mul_i32 s17, s12, s17
	s_cselect_b32 s19, s19, s33
	s_cselect_b32 s18, s22, s18
	s_add_i32 s22, s19, 1
	s_cmp_ge_u32 s18, s15
	s_mul_hi_u32 s18, s12, s16
	s_cselect_b32 s15, s22, s19
	s_mul_i32 s35, s35, s16
	s_xor_b32 s15, s15, s9
	v_mul_lo_u32 v0, s13, v1
	s_sub_i32 s15, s15, s9
	s_mul_i32 s16, s12, s16
	s_mul_i32 s5, s15, s5
	;; [unrolled: 1-line block ×3, first 2 shown]
	s_ashr_i32 s9, s5, 31
	s_add_u32 s8, s8, s5
	s_addc_u32 s9, s4, s9
	s_add_i32 s4, s18, s17
	v_mul_lo_u32 v10, s10, v4
	s_add_i32 s4, s4, s35
	s_add_u32 s5, s20, s16
	s_addc_u32 s4, s21, s4
	s_ashr_i32 s16, s15, 31
	s_add_u32 s11, s5, s15
	s_addc_u32 s15, s4, s16
	s_lshl_b32 s4, s13, 4
	s_delay_alu instid0(SALU_CYCLE_1) | instskip(SKIP_3) | instid1(VALU_DEP_4)
	v_dual_mov_b32 v65, 0xfeffffff :: v_dual_add_nc_u32 v2, s4, v0
	v_mov_b32_e32 v33, 32
	v_dual_mov_b32 v48, 0 :: v_dual_and_b32 v17, 60, v31
	v_dual_mov_b32 v54, 0 :: v_dual_lshlrev_b32 v11, 9, v4
	v_add_nc_u32_e32 v6, s4, v2
	v_lshl_add_u32 v39, v4, 11, 0x4400
	v_lshl_add_u32 v15, v4, 9, v40
	v_mov_b32_e32 v60, 0
	s_load_b32 s16, s[0:1], 0x54
	v_dual_mov_b32 v49, 0 :: v_dual_add_nc_u32 v8, s4, v6
	s_lshl_b32 s4, s10, 3
	v_dual_mov_b32 v50, 0 :: v_dual_lshlrev_b32 v3, 2, v17
	v_add_nc_u32_e32 v25, s4, v10
	v_mov_b32_e32 v55, 0
	v_ashrrev_i32_e32 v7, 31, v6
	s_delay_alu instid0(VALU_DEP_4)
	v_mad_u32_u24 v34, 0x110, v1, v3
	v_ashrrev_i32_e32 v1, 31, v0
	v_add_nc_u32_e32 v4, s4, v25
	v_ashrrev_i32_e32 v3, 31, v2
	v_ashrrev_i32_e32 v9, 31, v8
	v_dual_mov_b32 v56, 0 :: v_dual_add_nc_u32 v41, 0x8400, v11
	s_delay_alu instid0(VALU_DEP_4)
	v_dual_mov_b32 v66, 0xfeffffff :: v_dual_add_nc_u32 v29, s4, v4
	v_dual_mov_b32 v62, 0 :: v_dual_add_nc_u32 v43, v11, v40
	v_ashrrev_i32_e32 v11, 31, v10
	v_ashrrev_i32_e32 v26, 31, v25
	;; [unrolled: 1-line block ×4, first 2 shown]
	v_dual_mov_b32 v61, 0 :: v_dual_add_nc_u32 v44, 0x1000, v15
	v_add_nc_u32_e32 v45, 0x2000, v15
	v_dual_mov_b32 v63, 0 :: v_dual_add_nc_u32 v46, 0x3000, v15
	v_lshlrev_b64 v[15:16], 2, v[0:1]
	v_dual_mov_b32 v64, 0xfeffffff :: v_dual_lshlrev_b32 v47, 2, v17
	v_lshlrev_b64 v[17:18], 2, v[2:3]
	v_lshlrev_b64 v[19:20], 2, v[6:7]
	;; [unrolled: 1-line block ×7, first 2 shown]
	v_dual_mov_b32 v52, 0 :: v_dual_add_nc_u32 v35, 0x1100, v34
	v_dual_mov_b32 v51, 0 :: v_dual_add_nc_u32 v36, 0x2200, v34
	;; [unrolled: 1-line block ×3, first 2 shown]
	v_mul_u32_u24_e32 v38, 0x110, v13
	v_dual_mov_b32 v57, 0 :: v_dual_lshlrev_b32 v42, 3, v13
	v_dual_mov_b32 v59, 0 :: v_dual_mov_b32 v8, 0
	v_mov_b32_e32 v67, 0xfeffffff
	v_dual_mov_b32 v11, 0 :: v_dual_mov_b32 v10, 0
	v_mov_b32_e32 v9, 0
	s_add_u32 s4, s0, 0xd0
	s_addc_u32 s5, s1, 0
	s_mov_b32 s17, 0xbbbac73d
.LBB61_9:                               ; =>This Inner Loop Header: Depth=1
	s_mul_hi_i32 s19, s3, s13
	s_mul_i32 s18, s3, s13
	s_delay_alu instid0(SALU_CYCLE_1) | instskip(NEXT) | instid1(SALU_CYCLE_1)
	s_lshl_b64 s[18:19], s[18:19], 2
	s_add_u32 s18, s8, s18
	s_addc_u32 s19, s9, s19
	v_add_co_u32 v0, vcc_lo, s18, v15
	v_add_co_ci_u32_e32 v1, vcc_lo, s19, v16, vcc_lo
	v_add_co_u32 v2, vcc_lo, s18, v17
	v_add_co_ci_u32_e32 v3, vcc_lo, s19, v18, vcc_lo
	s_delay_alu instid0(VALU_DEP_4) | instskip(NEXT) | instid1(VALU_DEP_4)
	v_add_co_u32 v0, vcc_lo, v0, v47
	v_add_co_ci_u32_e32 v1, vcc_lo, 0, v1, vcc_lo
	s_delay_alu instid0(VALU_DEP_4) | instskip(NEXT) | instid1(VALU_DEP_4)
	v_add_co_u32 v2, vcc_lo, v2, v47
	v_add_co_ci_u32_e32 v3, vcc_lo, 0, v3, vcc_lo
	v_add_co_u32 v4, vcc_lo, s18, v19
	v_add_co_ci_u32_e32 v5, vcc_lo, s19, v20, vcc_lo
	;; [unrolled: 2-line block ×3, first 2 shown]
	s_delay_alu instid0(VALU_DEP_4) | instskip(NEXT) | instid1(VALU_DEP_4)
	v_add_co_u32 v4, vcc_lo, v4, v47
	v_add_co_ci_u32_e32 v5, vcc_lo, 0, v5, vcc_lo
	s_delay_alu instid0(VALU_DEP_4) | instskip(NEXT) | instid1(VALU_DEP_4)
	v_add_co_u32 v6, vcc_lo, v6, v47
	v_add_co_ci_u32_e32 v7, vcc_lo, 0, v7, vcc_lo
	s_clause 0x3
	global_load_b128 v[68:71], v[0:1], off
	global_load_b128 v[72:75], v[2:3], off
	;; [unrolled: 1-line block ×4, first 2 shown]
	s_waitcnt vmcnt(3)
	ds_store_b128 v34, v[68:71]
	s_waitcnt vmcnt(2)
	ds_store_b128 v35, v[72:75]
	;; [unrolled: 2-line block ×4, first 2 shown]
	s_waitcnt lgkmcnt(0)
	s_barrier
	buffer_gl0_inv
	ds_load_b128 v[76:79], v38
	ds_load_b128 v[80:83], v39
	ds_load_b128 v[84:87], v39 offset:512
	ds_load_b128 v[88:91], v39 offset:1024
	v_dual_mov_b32 v74, 0 :: v_dual_mov_b32 v75, 0
	ds_load_b128 v[92:95], v39 offset:1536
	ds_load_b128 v[96:99], v38 offset:8704
	v_dual_mov_b32 v72, 0 :: v_dual_mov_b32 v73, 0
	s_waitcnt lgkmcnt(4)
	;;#ASMSTART
	v_dot2_f32_f16 v74, v76, v80, v74
	;;#ASMEND
	;;#ASMSTART
	v_dot2_f32_f16 v74, v77, v81, v74
	;;#ASMEND
	;; [unrolled: 3-line block ×4, first 2 shown]
	s_waitcnt lgkmcnt(3)
	;;#ASMSTART
	v_dot2_f32_f16 v72, v76, v84, v72
	;;#ASMEND
	;;#ASMSTART
	v_dot2_f32_f16 v72, v77, v85, v72
	;;#ASMEND
	v_dual_mov_b32 v70, 0 :: v_dual_mov_b32 v71, 0
	;;#ASMSTART
	v_dot2_f32_f16 v72, v78, v86, v72
	;;#ASMEND
	;;#ASMSTART
	v_dot2_f32_f16 v72, v79, v87, v72
	;;#ASMEND
	s_waitcnt lgkmcnt(2)
	;;#ASMSTART
	v_dot2_f32_f16 v70, v76, v88, v70
	;;#ASMEND
	;;#ASMSTART
	v_dot2_f32_f16 v70, v77, v89, v70
	;;#ASMEND
	v_dual_mov_b32 v68, 0 :: v_dual_mov_b32 v69, 0
	;;#ASMSTART
	v_dot2_f32_f16 v70, v78, v90, v70
	;;#ASMEND
	;;#ASMSTART
	v_dot2_f32_f16 v70, v79, v91, v70
	;;#ASMEND
	s_waitcnt lgkmcnt(1)
	;;#ASMSTART
	v_dot2_f32_f16 v68, v76, v92, v68
	;;#ASMEND
	;;#ASMSTART
	v_dot2_f32_f16 v68, v77, v93, v68
	;;#ASMEND
	;;#ASMSTART
	v_dot2_f32_f16 v68, v78, v94, v68
	;;#ASMEND
	;;#ASMSTART
	v_dot2_f32_f16 v68, v79, v95, v68
	;;#ASMEND
	s_waitcnt lgkmcnt(0)
	;;#ASMSTART
	v_dot2_f32_f16 v75, v96, v80, v75
	;;#ASMEND
	;;#ASMSTART
	v_dot2_f32_f16 v75, v97, v81, v75
	;;#ASMEND
	;;#ASMSTART
	v_dot2_f32_f16 v75, v98, v82, v75
	;;#ASMEND
	;;#ASMSTART
	v_dot2_f32_f16 v75, v99, v83, v75
	;;#ASMEND
	;;#ASMSTART
	v_dot2_f32_f16 v73, v96, v84, v73
	;;#ASMEND
	;;#ASMSTART
	v_dot2_f32_f16 v73, v97, v85, v73
	;;#ASMEND
	;;#ASMSTART
	v_dot2_f32_f16 v73, v98, v86, v73
	;;#ASMEND
	;;#ASMSTART
	v_dot2_f32_f16 v73, v99, v87, v73
	;;#ASMEND
	;;#ASMSTART
	v_dot2_f32_f16 v71, v96, v88, v71
	;;#ASMEND
	;;#ASMSTART
	v_dot2_f32_f16 v71, v97, v89, v71
	;;#ASMEND
	;;#ASMSTART
	v_dot2_f32_f16 v71, v98, v90, v71
	;;#ASMEND
	;;#ASMSTART
	v_dot2_f32_f16 v71, v99, v91, v71
	;;#ASMEND
	;;#ASMSTART
	v_dot2_f32_f16 v69, v96, v92, v69
	;;#ASMEND
	;;#ASMSTART
	v_dot2_f32_f16 v69, v97, v93, v69
	;;#ASMEND
	;;#ASMSTART
	v_dot2_f32_f16 v69, v98, v94, v69
	;;#ASMEND
	;;#ASMSTART
	v_dot2_f32_f16 v69, v99, v95, v69
	;;#ASMEND
	ds_load_b128 v[76:79], v38 offset:16
	ds_load_b128 v[80:83], v39 offset:16
	;; [unrolled: 1-line block ×6, first 2 shown]
	s_waitcnt lgkmcnt(4)
	;;#ASMSTART
	v_dot2_f32_f16 v74, v76, v80, v74
	;;#ASMEND
	;;#ASMSTART
	v_dot2_f32_f16 v74, v77, v81, v74
	;;#ASMEND
	;;#ASMSTART
	v_dot2_f32_f16 v74, v78, v82, v74
	;;#ASMEND
	;;#ASMSTART
	v_dot2_f32_f16 v74, v79, v83, v74
	;;#ASMEND
	s_waitcnt lgkmcnt(3)
	;;#ASMSTART
	v_dot2_f32_f16 v72, v76, v84, v72
	;;#ASMEND
	;;#ASMSTART
	v_dot2_f32_f16 v72, v77, v85, v72
	;;#ASMEND
	;;#ASMSTART
	v_dot2_f32_f16 v72, v78, v86, v72
	;;#ASMEND
	;;#ASMSTART
	v_dot2_f32_f16 v72, v79, v87, v72
	;;#ASMEND
	;; [unrolled: 13-line block ×5, first 2 shown]
	;;#ASMSTART
	v_dot2_f32_f16 v73, v96, v84, v73
	;;#ASMEND
	;;#ASMSTART
	v_dot2_f32_f16 v73, v97, v85, v73
	;;#ASMEND
	;; [unrolled: 3-line block ×12, first 2 shown]
	ds_load_b128 v[76:79], v38 offset:32
	ds_load_b128 v[80:83], v39 offset:32
	;; [unrolled: 1-line block ×6, first 2 shown]
	s_waitcnt lgkmcnt(4)
	;;#ASMSTART
	v_dot2_f32_f16 v74, v76, v80, v74
	;;#ASMEND
	;;#ASMSTART
	v_dot2_f32_f16 v74, v77, v81, v74
	;;#ASMEND
	;;#ASMSTART
	v_dot2_f32_f16 v74, v78, v82, v74
	;;#ASMEND
	;;#ASMSTART
	v_dot2_f32_f16 v74, v79, v83, v74
	;;#ASMEND
	s_waitcnt lgkmcnt(3)
	;;#ASMSTART
	v_dot2_f32_f16 v72, v76, v84, v72
	;;#ASMEND
	;;#ASMSTART
	v_dot2_f32_f16 v72, v77, v85, v72
	;;#ASMEND
	;;#ASMSTART
	v_dot2_f32_f16 v72, v78, v86, v72
	;;#ASMEND
	;;#ASMSTART
	v_dot2_f32_f16 v72, v79, v87, v72
	;;#ASMEND
	;; [unrolled: 13-line block ×5, first 2 shown]
	;;#ASMSTART
	v_dot2_f32_f16 v73, v96, v84, v73
	;;#ASMEND
	;;#ASMSTART
	v_dot2_f32_f16 v73, v97, v85, v73
	;;#ASMEND
	;; [unrolled: 3-line block ×12, first 2 shown]
	ds_load_b128 v[76:79], v38 offset:48
	ds_load_b128 v[80:83], v39 offset:48
	;; [unrolled: 1-line block ×6, first 2 shown]
	s_waitcnt lgkmcnt(4)
	;;#ASMSTART
	v_dot2_f32_f16 v74, v76, v80, v74
	;;#ASMEND
	;;#ASMSTART
	v_dot2_f32_f16 v74, v77, v81, v74
	;;#ASMEND
	;;#ASMSTART
	v_dot2_f32_f16 v74, v78, v82, v74
	;;#ASMEND
	;;#ASMSTART
	v_dot2_f32_f16 v74, v79, v83, v74
	;;#ASMEND
	s_waitcnt lgkmcnt(3)
	;;#ASMSTART
	v_dot2_f32_f16 v72, v76, v84, v72
	;;#ASMEND
	;;#ASMSTART
	v_dot2_f32_f16 v72, v77, v85, v72
	;;#ASMEND
	;;#ASMSTART
	v_dot2_f32_f16 v72, v78, v86, v72
	;;#ASMEND
	;;#ASMSTART
	v_dot2_f32_f16 v72, v79, v87, v72
	;;#ASMEND
	;; [unrolled: 13-line block ×5, first 2 shown]
	;;#ASMSTART
	v_dot2_f32_f16 v73, v96, v84, v73
	;;#ASMEND
	;;#ASMSTART
	v_dot2_f32_f16 v73, v97, v85, v73
	;;#ASMEND
	;; [unrolled: 3-line block ×12, first 2 shown]
	ds_load_b128 v[76:79], v38 offset:64
	ds_load_b128 v[80:83], v39 offset:64
	;; [unrolled: 1-line block ×6, first 2 shown]
	s_waitcnt lgkmcnt(4)
	;;#ASMSTART
	v_dot2_f32_f16 v74, v76, v80, v74
	;;#ASMEND
	;;#ASMSTART
	v_dot2_f32_f16 v74, v77, v81, v74
	;;#ASMEND
	;;#ASMSTART
	v_dot2_f32_f16 v74, v78, v82, v74
	;;#ASMEND
	;;#ASMSTART
	v_dot2_f32_f16 v74, v79, v83, v74
	;;#ASMEND
	s_waitcnt lgkmcnt(3)
	;;#ASMSTART
	v_dot2_f32_f16 v72, v76, v84, v72
	;;#ASMEND
	;;#ASMSTART
	v_dot2_f32_f16 v72, v77, v85, v72
	;;#ASMEND
	;;#ASMSTART
	v_dot2_f32_f16 v72, v78, v86, v72
	;;#ASMEND
	;;#ASMSTART
	v_dot2_f32_f16 v72, v79, v87, v72
	;;#ASMEND
	;; [unrolled: 13-line block ×5, first 2 shown]
	;;#ASMSTART
	v_dot2_f32_f16 v73, v96, v84, v73
	;;#ASMEND
	;;#ASMSTART
	v_dot2_f32_f16 v73, v97, v85, v73
	;;#ASMEND
	;; [unrolled: 3-line block ×12, first 2 shown]
	ds_load_b128 v[76:79], v38 offset:80
	ds_load_b128 v[80:83], v39 offset:80
	;; [unrolled: 1-line block ×6, first 2 shown]
	s_waitcnt lgkmcnt(4)
	;;#ASMSTART
	v_dot2_f32_f16 v74, v76, v80, v74
	;;#ASMEND
	;;#ASMSTART
	v_dot2_f32_f16 v74, v77, v81, v74
	;;#ASMEND
	;;#ASMSTART
	v_dot2_f32_f16 v74, v78, v82, v74
	;;#ASMEND
	;;#ASMSTART
	v_dot2_f32_f16 v74, v79, v83, v74
	;;#ASMEND
	s_waitcnt lgkmcnt(3)
	;;#ASMSTART
	v_dot2_f32_f16 v72, v76, v84, v72
	;;#ASMEND
	;;#ASMSTART
	v_dot2_f32_f16 v72, v77, v85, v72
	;;#ASMEND
	;;#ASMSTART
	v_dot2_f32_f16 v72, v78, v86, v72
	;;#ASMEND
	;;#ASMSTART
	v_dot2_f32_f16 v72, v79, v87, v72
	;;#ASMEND
	;; [unrolled: 13-line block ×5, first 2 shown]
	;;#ASMSTART
	v_dot2_f32_f16 v73, v96, v84, v73
	;;#ASMEND
	;;#ASMSTART
	v_dot2_f32_f16 v73, v97, v85, v73
	;;#ASMEND
	;; [unrolled: 3-line block ×12, first 2 shown]
	ds_load_b128 v[76:79], v38 offset:96
	ds_load_b128 v[80:83], v39 offset:96
	;; [unrolled: 1-line block ×6, first 2 shown]
	s_waitcnt lgkmcnt(4)
	;;#ASMSTART
	v_dot2_f32_f16 v74, v76, v80, v74
	;;#ASMEND
	;;#ASMSTART
	v_dot2_f32_f16 v74, v77, v81, v74
	;;#ASMEND
	;;#ASMSTART
	v_dot2_f32_f16 v74, v78, v82, v74
	;;#ASMEND
	;;#ASMSTART
	v_dot2_f32_f16 v74, v79, v83, v74
	;;#ASMEND
	s_waitcnt lgkmcnt(3)
	;;#ASMSTART
	v_dot2_f32_f16 v72, v76, v84, v72
	;;#ASMEND
	;;#ASMSTART
	v_dot2_f32_f16 v72, v77, v85, v72
	;;#ASMEND
	;;#ASMSTART
	v_dot2_f32_f16 v72, v78, v86, v72
	;;#ASMEND
	;;#ASMSTART
	v_dot2_f32_f16 v72, v79, v87, v72
	;;#ASMEND
	;; [unrolled: 13-line block ×5, first 2 shown]
	;;#ASMSTART
	v_dot2_f32_f16 v73, v96, v84, v73
	;;#ASMEND
	;;#ASMSTART
	v_dot2_f32_f16 v73, v97, v85, v73
	;;#ASMEND
	;; [unrolled: 3-line block ×12, first 2 shown]
	ds_load_b128 v[76:79], v38 offset:112
	ds_load_b128 v[80:83], v39 offset:112
	;; [unrolled: 1-line block ×6, first 2 shown]
	s_waitcnt lgkmcnt(4)
	;;#ASMSTART
	v_dot2_f32_f16 v74, v76, v80, v74
	;;#ASMEND
	;;#ASMSTART
	v_dot2_f32_f16 v74, v77, v81, v74
	;;#ASMEND
	;;#ASMSTART
	v_dot2_f32_f16 v74, v78, v82, v74
	;;#ASMEND
	;;#ASMSTART
	v_dot2_f32_f16 v74, v79, v83, v74
	;;#ASMEND
	s_waitcnt lgkmcnt(3)
	;;#ASMSTART
	v_dot2_f32_f16 v72, v76, v84, v72
	;;#ASMEND
	;;#ASMSTART
	v_dot2_f32_f16 v72, v77, v85, v72
	;;#ASMEND
	;;#ASMSTART
	v_dot2_f32_f16 v72, v78, v86, v72
	;;#ASMEND
	;;#ASMSTART
	v_dot2_f32_f16 v72, v79, v87, v72
	;;#ASMEND
	;; [unrolled: 13-line block ×5, first 2 shown]
	;;#ASMSTART
	v_dot2_f32_f16 v73, v96, v84, v73
	;;#ASMEND
	;;#ASMSTART
	v_dot2_f32_f16 v73, v97, v85, v73
	;;#ASMEND
	;;#ASMSTART
	v_dot2_f32_f16 v73, v98, v86, v73
	;;#ASMEND
	;;#ASMSTART
	v_dot2_f32_f16 v73, v99, v87, v73
	;;#ASMEND
	;;#ASMSTART
	v_dot2_f32_f16 v71, v96, v88, v71
	;;#ASMEND
	;;#ASMSTART
	v_dot2_f32_f16 v71, v97, v89, v71
	;;#ASMEND
	;;#ASMSTART
	v_dot2_f32_f16 v71, v98, v90, v71
	;;#ASMEND
	;;#ASMSTART
	v_dot2_f32_f16 v71, v99, v91, v71
	;;#ASMEND
	;;#ASMSTART
	v_dot2_f32_f16 v69, v96, v92, v69
	;;#ASMEND
	;;#ASMSTART
	v_dot2_f32_f16 v69, v97, v93, v69
	;;#ASMEND
	;;#ASMSTART
	v_dot2_f32_f16 v69, v98, v94, v69
	;;#ASMEND
	;;#ASMSTART
	v_dot2_f32_f16 v69, v99, v95, v69
	;;#ASMEND
	ds_load_b128 v[76:79], v38 offset:128
	ds_load_b128 v[80:83], v39 offset:128
	ds_load_b128 v[84:87], v39 offset:640
	ds_load_b128 v[88:91], v39 offset:1152
	ds_load_b128 v[92:95], v39 offset:1664
	ds_load_b128 v[96:99], v38 offset:8832
	s_waitcnt lgkmcnt(4)
	;;#ASMSTART
	v_dot2_f32_f16 v74, v76, v80, v74
	;;#ASMEND
	;;#ASMSTART
	v_dot2_f32_f16 v74, v77, v81, v74
	;;#ASMEND
	;;#ASMSTART
	v_dot2_f32_f16 v74, v78, v82, v74
	;;#ASMEND
	;;#ASMSTART
	v_dot2_f32_f16 v74, v79, v83, v74
	;;#ASMEND
	s_waitcnt lgkmcnt(3)
	;;#ASMSTART
	v_dot2_f32_f16 v72, v76, v84, v72
	;;#ASMEND
	;;#ASMSTART
	v_dot2_f32_f16 v72, v77, v85, v72
	;;#ASMEND
	;;#ASMSTART
	v_dot2_f32_f16 v72, v78, v86, v72
	;;#ASMEND
	;;#ASMSTART
	v_dot2_f32_f16 v72, v79, v87, v72
	;;#ASMEND
	s_waitcnt lgkmcnt(2)
	;;#ASMSTART
	v_dot2_f32_f16 v70, v76, v88, v70
	;;#ASMEND
	;;#ASMSTART
	v_dot2_f32_f16 v70, v77, v89, v70
	;;#ASMEND
	;;#ASMSTART
	v_dot2_f32_f16 v70, v78, v90, v70
	;;#ASMEND
	;;#ASMSTART
	v_dot2_f32_f16 v70, v79, v91, v70
	;;#ASMEND
	s_waitcnt lgkmcnt(1)
	;;#ASMSTART
	v_dot2_f32_f16 v68, v76, v92, v68
	;;#ASMEND
	;;#ASMSTART
	v_dot2_f32_f16 v68, v77, v93, v68
	;;#ASMEND
	;;#ASMSTART
	v_dot2_f32_f16 v68, v78, v94, v68
	;;#ASMEND
	;;#ASMSTART
	v_dot2_f32_f16 v68, v79, v95, v68
	;;#ASMEND
	s_waitcnt lgkmcnt(0)
	;;#ASMSTART
	v_dot2_f32_f16 v75, v96, v80, v75
	;;#ASMEND
	;;#ASMSTART
	v_dot2_f32_f16 v75, v97, v81, v75
	;;#ASMEND
	;;#ASMSTART
	v_dot2_f32_f16 v75, v98, v82, v75
	;;#ASMEND
	;;#ASMSTART
	v_dot2_f32_f16 v75, v99, v83, v75
	;;#ASMEND
	;;#ASMSTART
	v_dot2_f32_f16 v73, v96, v84, v73
	;;#ASMEND
	;;#ASMSTART
	v_dot2_f32_f16 v73, v97, v85, v73
	;;#ASMEND
	;; [unrolled: 3-line block ×12, first 2 shown]
	ds_load_b128 v[76:79], v38 offset:144
	ds_load_b128 v[80:83], v39 offset:144
	;; [unrolled: 1-line block ×6, first 2 shown]
	s_waitcnt lgkmcnt(4)
	;;#ASMSTART
	v_dot2_f32_f16 v74, v76, v80, v74
	;;#ASMEND
	;;#ASMSTART
	v_dot2_f32_f16 v74, v77, v81, v74
	;;#ASMEND
	;;#ASMSTART
	v_dot2_f32_f16 v74, v78, v82, v74
	;;#ASMEND
	;;#ASMSTART
	v_dot2_f32_f16 v74, v79, v83, v74
	;;#ASMEND
	s_waitcnt lgkmcnt(3)
	;;#ASMSTART
	v_dot2_f32_f16 v72, v76, v84, v72
	;;#ASMEND
	;;#ASMSTART
	v_dot2_f32_f16 v72, v77, v85, v72
	;;#ASMEND
	;;#ASMSTART
	v_dot2_f32_f16 v72, v78, v86, v72
	;;#ASMEND
	;;#ASMSTART
	v_dot2_f32_f16 v72, v79, v87, v72
	;;#ASMEND
	;; [unrolled: 13-line block ×5, first 2 shown]
	;;#ASMSTART
	v_dot2_f32_f16 v73, v96, v84, v73
	;;#ASMEND
	;;#ASMSTART
	v_dot2_f32_f16 v73, v97, v85, v73
	;;#ASMEND
	;; [unrolled: 3-line block ×12, first 2 shown]
	ds_load_b128 v[76:79], v38 offset:160
	ds_load_b128 v[80:83], v39 offset:160
	;; [unrolled: 1-line block ×6, first 2 shown]
	s_waitcnt lgkmcnt(4)
	;;#ASMSTART
	v_dot2_f32_f16 v74, v76, v80, v74
	;;#ASMEND
	;;#ASMSTART
	v_dot2_f32_f16 v74, v77, v81, v74
	;;#ASMEND
	;;#ASMSTART
	v_dot2_f32_f16 v74, v78, v82, v74
	;;#ASMEND
	;;#ASMSTART
	v_dot2_f32_f16 v74, v79, v83, v74
	;;#ASMEND
	s_waitcnt lgkmcnt(3)
	;;#ASMSTART
	v_dot2_f32_f16 v72, v76, v84, v72
	;;#ASMEND
	;;#ASMSTART
	v_dot2_f32_f16 v72, v77, v85, v72
	;;#ASMEND
	;;#ASMSTART
	v_dot2_f32_f16 v72, v78, v86, v72
	;;#ASMEND
	;;#ASMSTART
	v_dot2_f32_f16 v72, v79, v87, v72
	;;#ASMEND
	;; [unrolled: 13-line block ×5, first 2 shown]
	;;#ASMSTART
	v_dot2_f32_f16 v73, v96, v84, v73
	;;#ASMEND
	;;#ASMSTART
	v_dot2_f32_f16 v73, v97, v85, v73
	;;#ASMEND
	;; [unrolled: 3-line block ×12, first 2 shown]
	ds_load_b128 v[76:79], v38 offset:176
	ds_load_b128 v[80:83], v39 offset:176
	;; [unrolled: 1-line block ×6, first 2 shown]
	s_waitcnt lgkmcnt(4)
	;;#ASMSTART
	v_dot2_f32_f16 v74, v76, v80, v74
	;;#ASMEND
	;;#ASMSTART
	v_dot2_f32_f16 v74, v77, v81, v74
	;;#ASMEND
	;;#ASMSTART
	v_dot2_f32_f16 v74, v78, v82, v74
	;;#ASMEND
	;;#ASMSTART
	v_dot2_f32_f16 v74, v79, v83, v74
	;;#ASMEND
	s_waitcnt lgkmcnt(3)
	;;#ASMSTART
	v_dot2_f32_f16 v72, v76, v84, v72
	;;#ASMEND
	;;#ASMSTART
	v_dot2_f32_f16 v72, v77, v85, v72
	;;#ASMEND
	;;#ASMSTART
	v_dot2_f32_f16 v72, v78, v86, v72
	;;#ASMEND
	;;#ASMSTART
	v_dot2_f32_f16 v72, v79, v87, v72
	;;#ASMEND
	;; [unrolled: 13-line block ×5, first 2 shown]
	;;#ASMSTART
	v_dot2_f32_f16 v73, v96, v84, v73
	;;#ASMEND
	;;#ASMSTART
	v_dot2_f32_f16 v73, v97, v85, v73
	;;#ASMEND
	;; [unrolled: 3-line block ×12, first 2 shown]
	ds_load_b128 v[76:79], v38 offset:192
	ds_load_b128 v[80:83], v39 offset:192
	;; [unrolled: 1-line block ×6, first 2 shown]
	s_waitcnt lgkmcnt(4)
	;;#ASMSTART
	v_dot2_f32_f16 v74, v76, v80, v74
	;;#ASMEND
	;;#ASMSTART
	v_dot2_f32_f16 v74, v77, v81, v74
	;;#ASMEND
	;;#ASMSTART
	v_dot2_f32_f16 v74, v78, v82, v74
	;;#ASMEND
	;;#ASMSTART
	v_dot2_f32_f16 v74, v79, v83, v74
	;;#ASMEND
	s_waitcnt lgkmcnt(3)
	;;#ASMSTART
	v_dot2_f32_f16 v72, v76, v84, v72
	;;#ASMEND
	;;#ASMSTART
	v_dot2_f32_f16 v72, v77, v85, v72
	;;#ASMEND
	;;#ASMSTART
	v_dot2_f32_f16 v72, v78, v86, v72
	;;#ASMEND
	;;#ASMSTART
	v_dot2_f32_f16 v72, v79, v87, v72
	;;#ASMEND
	;; [unrolled: 13-line block ×5, first 2 shown]
	;;#ASMSTART
	v_dot2_f32_f16 v73, v96, v84, v73
	;;#ASMEND
	;;#ASMSTART
	v_dot2_f32_f16 v73, v97, v85, v73
	;;#ASMEND
	;; [unrolled: 3-line block ×12, first 2 shown]
	ds_load_b128 v[76:79], v38 offset:208
	ds_load_b128 v[80:83], v39 offset:208
	;; [unrolled: 1-line block ×6, first 2 shown]
	s_waitcnt lgkmcnt(4)
	;;#ASMSTART
	v_dot2_f32_f16 v74, v76, v80, v74
	;;#ASMEND
	;;#ASMSTART
	v_dot2_f32_f16 v74, v77, v81, v74
	;;#ASMEND
	;;#ASMSTART
	v_dot2_f32_f16 v74, v78, v82, v74
	;;#ASMEND
	;;#ASMSTART
	v_dot2_f32_f16 v74, v79, v83, v74
	;;#ASMEND
	s_waitcnt lgkmcnt(3)
	;;#ASMSTART
	v_dot2_f32_f16 v72, v76, v84, v72
	;;#ASMEND
	;;#ASMSTART
	v_dot2_f32_f16 v72, v77, v85, v72
	;;#ASMEND
	;;#ASMSTART
	v_dot2_f32_f16 v72, v78, v86, v72
	;;#ASMEND
	;;#ASMSTART
	v_dot2_f32_f16 v72, v79, v87, v72
	;;#ASMEND
	;; [unrolled: 13-line block ×5, first 2 shown]
	;;#ASMSTART
	v_dot2_f32_f16 v73, v96, v84, v73
	;;#ASMEND
	;;#ASMSTART
	v_dot2_f32_f16 v73, v97, v85, v73
	;;#ASMEND
	;; [unrolled: 3-line block ×12, first 2 shown]
	ds_load_b128 v[76:79], v38 offset:224
	ds_load_b128 v[80:83], v39 offset:224
	;; [unrolled: 1-line block ×6, first 2 shown]
	s_waitcnt lgkmcnt(4)
	;;#ASMSTART
	v_dot2_f32_f16 v74, v76, v80, v74
	;;#ASMEND
	;;#ASMSTART
	v_dot2_f32_f16 v74, v77, v81, v74
	;;#ASMEND
	;;#ASMSTART
	v_dot2_f32_f16 v74, v78, v82, v74
	;;#ASMEND
	;;#ASMSTART
	v_dot2_f32_f16 v74, v79, v83, v74
	;;#ASMEND
	s_waitcnt lgkmcnt(3)
	;;#ASMSTART
	v_dot2_f32_f16 v72, v76, v84, v72
	;;#ASMEND
	;;#ASMSTART
	v_dot2_f32_f16 v72, v77, v85, v72
	;;#ASMEND
	;;#ASMSTART
	v_dot2_f32_f16 v72, v78, v86, v72
	;;#ASMEND
	;;#ASMSTART
	v_dot2_f32_f16 v72, v79, v87, v72
	;;#ASMEND
	s_waitcnt lgkmcnt(2)
	;;#ASMSTART
	v_dot2_f32_f16 v70, v76, v88, v70
	;;#ASMEND
	;;#ASMSTART
	v_dot2_f32_f16 v70, v77, v89, v70
	;;#ASMEND
	;;#ASMSTART
	v_dot2_f32_f16 v70, v78, v90, v70
	;;#ASMEND
	;;#ASMSTART
	v_dot2_f32_f16 v70, v79, v91, v70
	;;#ASMEND
	s_waitcnt lgkmcnt(1)
	;;#ASMSTART
	v_dot2_f32_f16 v68, v76, v92, v68
	;;#ASMEND
	;;#ASMSTART
	v_dot2_f32_f16 v68, v77, v93, v68
	;;#ASMEND
	;;#ASMSTART
	v_dot2_f32_f16 v68, v78, v94, v68
	;;#ASMEND
	;;#ASMSTART
	v_dot2_f32_f16 v68, v79, v95, v68
	;;#ASMEND
	s_waitcnt lgkmcnt(0)
	;;#ASMSTART
	v_dot2_f32_f16 v75, v96, v80, v75
	;;#ASMEND
	;;#ASMSTART
	v_dot2_f32_f16 v75, v97, v81, v75
	;;#ASMEND
	;;#ASMSTART
	v_dot2_f32_f16 v75, v98, v82, v75
	;;#ASMEND
	;;#ASMSTART
	v_dot2_f32_f16 v75, v99, v83, v75
	;;#ASMEND
	;;#ASMSTART
	v_dot2_f32_f16 v73, v96, v84, v73
	;;#ASMEND
	;;#ASMSTART
	v_dot2_f32_f16 v73, v97, v85, v73
	;;#ASMEND
	;; [unrolled: 3-line block ×12, first 2 shown]
	ds_load_b128 v[76:79], v38 offset:240
	ds_load_b128 v[80:83], v39 offset:240
	;; [unrolled: 1-line block ×6, first 2 shown]
	s_waitcnt lgkmcnt(4)
	;;#ASMSTART
	v_dot2_f32_f16 v74, v76, v80, v74
	;;#ASMEND
	;;#ASMSTART
	v_dot2_f32_f16 v74, v77, v81, v74
	;;#ASMEND
	;;#ASMSTART
	v_dot2_f32_f16 v74, v78, v82, v74
	;;#ASMEND
	;;#ASMSTART
	v_dot2_f32_f16 v74, v79, v83, v74
	;;#ASMEND
	s_waitcnt lgkmcnt(3)
	;;#ASMSTART
	v_dot2_f32_f16 v72, v76, v84, v72
	;;#ASMEND
	;;#ASMSTART
	v_dot2_f32_f16 v72, v77, v85, v72
	;;#ASMEND
	;;#ASMSTART
	v_dot2_f32_f16 v72, v78, v86, v72
	;;#ASMEND
	;;#ASMSTART
	v_dot2_f32_f16 v72, v79, v87, v72
	;;#ASMEND
	;; [unrolled: 13-line block ×5, first 2 shown]
	;;#ASMSTART
	v_dot2_f32_f16 v73, v96, v84, v73
	;;#ASMEND
	;;#ASMSTART
	v_dot2_f32_f16 v73, v97, v85, v73
	;;#ASMEND
	;; [unrolled: 3-line block ×12, first 2 shown]
	s_barrier
	buffer_gl0_inv
	s_clause 0x3
	global_load_b128 v[76:79], v[0:1], off offset:256
	global_load_b128 v[0:3], v[2:3], off offset:256
	;; [unrolled: 1-line block ×4, first 2 shown]
	s_waitcnt vmcnt(3)
	ds_store_b128 v34, v[76:79]
	s_waitcnt vmcnt(2)
	ds_store_b128 v35, v[0:3]
	;; [unrolled: 2-line block ×4, first 2 shown]
	s_waitcnt lgkmcnt(0)
	s_barrier
	buffer_gl0_inv
	ds_load_b128 v[0:3], v38
	ds_load_b128 v[4:7], v39 offset:256
	ds_load_b128 v[76:79], v39 offset:768
	;; [unrolled: 1-line block ×5, first 2 shown]
	s_waitcnt lgkmcnt(4)
	;;#ASMSTART
	v_dot2_f32_f16 v74, v0, v4, v74
	;;#ASMEND
	;;#ASMSTART
	v_dot2_f32_f16 v74, v1, v5, v74
	;;#ASMEND
	;;#ASMSTART
	v_dot2_f32_f16 v74, v2, v6, v74
	;;#ASMEND
	;;#ASMSTART
	v_dot2_f32_f16 v74, v3, v7, v74
	;;#ASMEND
	s_waitcnt lgkmcnt(3)
	;;#ASMSTART
	v_dot2_f32_f16 v72, v0, v76, v72
	;;#ASMEND
	;;#ASMSTART
	v_dot2_f32_f16 v72, v1, v77, v72
	;;#ASMEND
	;;#ASMSTART
	v_dot2_f32_f16 v72, v2, v78, v72
	;;#ASMEND
	;;#ASMSTART
	v_dot2_f32_f16 v72, v3, v79, v72
	;;#ASMEND
	;; [unrolled: 13-line block ×5, first 2 shown]
	;;#ASMSTART
	v_dot2_f32_f16 v73, v88, v76, v73
	;;#ASMEND
	;;#ASMSTART
	v_dot2_f32_f16 v73, v89, v77, v73
	;;#ASMEND
	;; [unrolled: 3-line block ×12, first 2 shown]
	ds_load_b128 v[0:3], v38 offset:16
	ds_load_b128 v[4:7], v39 offset:272
	;; [unrolled: 1-line block ×6, first 2 shown]
	s_waitcnt lgkmcnt(4)
	;;#ASMSTART
	v_dot2_f32_f16 v74, v0, v4, v74
	;;#ASMEND
	;;#ASMSTART
	v_dot2_f32_f16 v74, v1, v5, v74
	;;#ASMEND
	;;#ASMSTART
	v_dot2_f32_f16 v74, v2, v6, v74
	;;#ASMEND
	;;#ASMSTART
	v_dot2_f32_f16 v74, v3, v7, v74
	;;#ASMEND
	s_waitcnt lgkmcnt(3)
	;;#ASMSTART
	v_dot2_f32_f16 v72, v0, v76, v72
	;;#ASMEND
	;;#ASMSTART
	v_dot2_f32_f16 v72, v1, v77, v72
	;;#ASMEND
	;;#ASMSTART
	v_dot2_f32_f16 v72, v2, v78, v72
	;;#ASMEND
	;;#ASMSTART
	v_dot2_f32_f16 v72, v3, v79, v72
	;;#ASMEND
	;; [unrolled: 13-line block ×5, first 2 shown]
	;;#ASMSTART
	v_dot2_f32_f16 v73, v88, v76, v73
	;;#ASMEND
	;;#ASMSTART
	v_dot2_f32_f16 v73, v89, v77, v73
	;;#ASMEND
	;; [unrolled: 3-line block ×12, first 2 shown]
	ds_load_b128 v[0:3], v38 offset:32
	ds_load_b128 v[4:7], v39 offset:288
	;; [unrolled: 1-line block ×6, first 2 shown]
	s_waitcnt lgkmcnt(4)
	;;#ASMSTART
	v_dot2_f32_f16 v74, v0, v4, v74
	;;#ASMEND
	;;#ASMSTART
	v_dot2_f32_f16 v74, v1, v5, v74
	;;#ASMEND
	;;#ASMSTART
	v_dot2_f32_f16 v74, v2, v6, v74
	;;#ASMEND
	;;#ASMSTART
	v_dot2_f32_f16 v74, v3, v7, v74
	;;#ASMEND
	s_waitcnt lgkmcnt(3)
	;;#ASMSTART
	v_dot2_f32_f16 v72, v0, v76, v72
	;;#ASMEND
	;;#ASMSTART
	v_dot2_f32_f16 v72, v1, v77, v72
	;;#ASMEND
	;;#ASMSTART
	v_dot2_f32_f16 v72, v2, v78, v72
	;;#ASMEND
	;;#ASMSTART
	v_dot2_f32_f16 v72, v3, v79, v72
	;;#ASMEND
	s_waitcnt lgkmcnt(2)
	;;#ASMSTART
	v_dot2_f32_f16 v70, v0, v80, v70
	;;#ASMEND
	;;#ASMSTART
	v_dot2_f32_f16 v70, v1, v81, v70
	;;#ASMEND
	;;#ASMSTART
	v_dot2_f32_f16 v70, v2, v82, v70
	;;#ASMEND
	;;#ASMSTART
	v_dot2_f32_f16 v70, v3, v83, v70
	;;#ASMEND
	s_waitcnt lgkmcnt(1)
	;;#ASMSTART
	v_dot2_f32_f16 v68, v0, v84, v68
	;;#ASMEND
	;;#ASMSTART
	v_dot2_f32_f16 v68, v1, v85, v68
	;;#ASMEND
	;;#ASMSTART
	v_dot2_f32_f16 v68, v2, v86, v68
	;;#ASMEND
	;;#ASMSTART
	v_dot2_f32_f16 v68, v3, v87, v68
	;;#ASMEND
	s_waitcnt lgkmcnt(0)
	;;#ASMSTART
	v_dot2_f32_f16 v75, v88, v4, v75
	;;#ASMEND
	;;#ASMSTART
	v_dot2_f32_f16 v75, v89, v5, v75
	;;#ASMEND
	;;#ASMSTART
	v_dot2_f32_f16 v75, v90, v6, v75
	;;#ASMEND
	;;#ASMSTART
	v_dot2_f32_f16 v75, v91, v7, v75
	;;#ASMEND
	;;#ASMSTART
	v_dot2_f32_f16 v73, v88, v76, v73
	;;#ASMEND
	;;#ASMSTART
	v_dot2_f32_f16 v73, v89, v77, v73
	;;#ASMEND
	;; [unrolled: 3-line block ×12, first 2 shown]
	ds_load_b128 v[0:3], v38 offset:48
	ds_load_b128 v[4:7], v39 offset:304
	;; [unrolled: 1-line block ×6, first 2 shown]
	s_waitcnt lgkmcnt(4)
	;;#ASMSTART
	v_dot2_f32_f16 v74, v0, v4, v74
	;;#ASMEND
	;;#ASMSTART
	v_dot2_f32_f16 v74, v1, v5, v74
	;;#ASMEND
	;;#ASMSTART
	v_dot2_f32_f16 v74, v2, v6, v74
	;;#ASMEND
	;;#ASMSTART
	v_dot2_f32_f16 v74, v3, v7, v74
	;;#ASMEND
	s_waitcnt lgkmcnt(3)
	;;#ASMSTART
	v_dot2_f32_f16 v72, v0, v76, v72
	;;#ASMEND
	;;#ASMSTART
	v_dot2_f32_f16 v72, v1, v77, v72
	;;#ASMEND
	;;#ASMSTART
	v_dot2_f32_f16 v72, v2, v78, v72
	;;#ASMEND
	;;#ASMSTART
	v_dot2_f32_f16 v72, v3, v79, v72
	;;#ASMEND
	;; [unrolled: 13-line block ×5, first 2 shown]
	;;#ASMSTART
	v_dot2_f32_f16 v73, v88, v76, v73
	;;#ASMEND
	;;#ASMSTART
	v_dot2_f32_f16 v73, v89, v77, v73
	;;#ASMEND
	;;#ASMSTART
	v_dot2_f32_f16 v73, v90, v78, v73
	;;#ASMEND
	;;#ASMSTART
	v_dot2_f32_f16 v73, v91, v79, v73
	;;#ASMEND
	;;#ASMSTART
	v_dot2_f32_f16 v71, v88, v80, v71
	;;#ASMEND
	;;#ASMSTART
	v_dot2_f32_f16 v71, v89, v81, v71
	;;#ASMEND
	;;#ASMSTART
	v_dot2_f32_f16 v71, v90, v82, v71
	;;#ASMEND
	;;#ASMSTART
	v_dot2_f32_f16 v71, v91, v83, v71
	;;#ASMEND
	;;#ASMSTART
	v_dot2_f32_f16 v69, v88, v84, v69
	;;#ASMEND
	;;#ASMSTART
	v_dot2_f32_f16 v69, v89, v85, v69
	;;#ASMEND
	;;#ASMSTART
	v_dot2_f32_f16 v69, v90, v86, v69
	;;#ASMEND
	;;#ASMSTART
	v_dot2_f32_f16 v69, v91, v87, v69
	;;#ASMEND
	ds_load_b128 v[0:3], v38 offset:64
	ds_load_b128 v[4:7], v39 offset:320
	;; [unrolled: 1-line block ×6, first 2 shown]
	s_waitcnt lgkmcnt(4)
	;;#ASMSTART
	v_dot2_f32_f16 v74, v0, v4, v74
	;;#ASMEND
	;;#ASMSTART
	v_dot2_f32_f16 v74, v1, v5, v74
	;;#ASMEND
	;;#ASMSTART
	v_dot2_f32_f16 v74, v2, v6, v74
	;;#ASMEND
	;;#ASMSTART
	v_dot2_f32_f16 v74, v3, v7, v74
	;;#ASMEND
	s_waitcnt lgkmcnt(3)
	;;#ASMSTART
	v_dot2_f32_f16 v72, v0, v76, v72
	;;#ASMEND
	;;#ASMSTART
	v_dot2_f32_f16 v72, v1, v77, v72
	;;#ASMEND
	;;#ASMSTART
	v_dot2_f32_f16 v72, v2, v78, v72
	;;#ASMEND
	;;#ASMSTART
	v_dot2_f32_f16 v72, v3, v79, v72
	;;#ASMEND
	;; [unrolled: 13-line block ×5, first 2 shown]
	;;#ASMSTART
	v_dot2_f32_f16 v73, v88, v76, v73
	;;#ASMEND
	;;#ASMSTART
	v_dot2_f32_f16 v73, v89, v77, v73
	;;#ASMEND
	;; [unrolled: 3-line block ×12, first 2 shown]
	ds_load_b128 v[0:3], v38 offset:80
	ds_load_b128 v[4:7], v39 offset:336
	;; [unrolled: 1-line block ×6, first 2 shown]
	s_waitcnt lgkmcnt(4)
	;;#ASMSTART
	v_dot2_f32_f16 v74, v0, v4, v74
	;;#ASMEND
	;;#ASMSTART
	v_dot2_f32_f16 v74, v1, v5, v74
	;;#ASMEND
	;;#ASMSTART
	v_dot2_f32_f16 v74, v2, v6, v74
	;;#ASMEND
	;;#ASMSTART
	v_dot2_f32_f16 v74, v3, v7, v74
	;;#ASMEND
	s_waitcnt lgkmcnt(3)
	;;#ASMSTART
	v_dot2_f32_f16 v72, v0, v76, v72
	;;#ASMEND
	;;#ASMSTART
	v_dot2_f32_f16 v72, v1, v77, v72
	;;#ASMEND
	;;#ASMSTART
	v_dot2_f32_f16 v72, v2, v78, v72
	;;#ASMEND
	;;#ASMSTART
	v_dot2_f32_f16 v72, v3, v79, v72
	;;#ASMEND
	;; [unrolled: 13-line block ×5, first 2 shown]
	;;#ASMSTART
	v_dot2_f32_f16 v73, v88, v76, v73
	;;#ASMEND
	;;#ASMSTART
	v_dot2_f32_f16 v73, v89, v77, v73
	;;#ASMEND
	;; [unrolled: 3-line block ×12, first 2 shown]
	ds_load_b128 v[0:3], v38 offset:96
	ds_load_b128 v[4:7], v39 offset:352
	ds_load_b128 v[76:79], v39 offset:864
	ds_load_b128 v[80:83], v39 offset:1376
	ds_load_b128 v[84:87], v39 offset:1888
	ds_load_b128 v[88:91], v38 offset:8800
	s_waitcnt lgkmcnt(4)
	;;#ASMSTART
	v_dot2_f32_f16 v74, v0, v4, v74
	;;#ASMEND
	;;#ASMSTART
	v_dot2_f32_f16 v74, v1, v5, v74
	;;#ASMEND
	;;#ASMSTART
	v_dot2_f32_f16 v74, v2, v6, v74
	;;#ASMEND
	;;#ASMSTART
	v_dot2_f32_f16 v74, v3, v7, v74
	;;#ASMEND
	s_waitcnt lgkmcnt(3)
	;;#ASMSTART
	v_dot2_f32_f16 v72, v0, v76, v72
	;;#ASMEND
	;;#ASMSTART
	v_dot2_f32_f16 v72, v1, v77, v72
	;;#ASMEND
	;;#ASMSTART
	v_dot2_f32_f16 v72, v2, v78, v72
	;;#ASMEND
	;;#ASMSTART
	v_dot2_f32_f16 v72, v3, v79, v72
	;;#ASMEND
	;; [unrolled: 13-line block ×5, first 2 shown]
	;;#ASMSTART
	v_dot2_f32_f16 v73, v88, v76, v73
	;;#ASMEND
	;;#ASMSTART
	v_dot2_f32_f16 v73, v89, v77, v73
	;;#ASMEND
	;; [unrolled: 3-line block ×12, first 2 shown]
	ds_load_b128 v[0:3], v38 offset:112
	ds_load_b128 v[4:7], v39 offset:368
	;; [unrolled: 1-line block ×6, first 2 shown]
	s_waitcnt lgkmcnt(4)
	;;#ASMSTART
	v_dot2_f32_f16 v74, v0, v4, v74
	;;#ASMEND
	;;#ASMSTART
	v_dot2_f32_f16 v74, v1, v5, v74
	;;#ASMEND
	;;#ASMSTART
	v_dot2_f32_f16 v74, v2, v6, v74
	;;#ASMEND
	;;#ASMSTART
	v_dot2_f32_f16 v74, v3, v7, v74
	;;#ASMEND
	s_waitcnt lgkmcnt(3)
	;;#ASMSTART
	v_dot2_f32_f16 v72, v0, v76, v72
	;;#ASMEND
	;;#ASMSTART
	v_dot2_f32_f16 v72, v1, v77, v72
	;;#ASMEND
	;;#ASMSTART
	v_dot2_f32_f16 v72, v2, v78, v72
	;;#ASMEND
	;;#ASMSTART
	v_dot2_f32_f16 v72, v3, v79, v72
	;;#ASMEND
	;; [unrolled: 13-line block ×5, first 2 shown]
	;;#ASMSTART
	v_dot2_f32_f16 v73, v88, v76, v73
	;;#ASMEND
	;;#ASMSTART
	v_dot2_f32_f16 v73, v89, v77, v73
	;;#ASMEND
	;; [unrolled: 3-line block ×12, first 2 shown]
	ds_load_b128 v[0:3], v38 offset:128
	ds_load_b128 v[4:7], v39 offset:384
	ds_load_b128 v[76:79], v39 offset:896
	ds_load_b128 v[80:83], v39 offset:1408
	ds_load_b128 v[84:87], v39 offset:1920
	ds_load_b128 v[88:91], v38 offset:8832
	s_waitcnt lgkmcnt(4)
	;;#ASMSTART
	v_dot2_f32_f16 v74, v0, v4, v74
	;;#ASMEND
	;;#ASMSTART
	v_dot2_f32_f16 v74, v1, v5, v74
	;;#ASMEND
	;;#ASMSTART
	v_dot2_f32_f16 v74, v2, v6, v74
	;;#ASMEND
	;;#ASMSTART
	v_dot2_f32_f16 v74, v3, v7, v74
	;;#ASMEND
	s_waitcnt lgkmcnt(3)
	;;#ASMSTART
	v_dot2_f32_f16 v72, v0, v76, v72
	;;#ASMEND
	;;#ASMSTART
	v_dot2_f32_f16 v72, v1, v77, v72
	;;#ASMEND
	;;#ASMSTART
	v_dot2_f32_f16 v72, v2, v78, v72
	;;#ASMEND
	;;#ASMSTART
	v_dot2_f32_f16 v72, v3, v79, v72
	;;#ASMEND
	;; [unrolled: 13-line block ×5, first 2 shown]
	;;#ASMSTART
	v_dot2_f32_f16 v73, v88, v76, v73
	;;#ASMEND
	;;#ASMSTART
	v_dot2_f32_f16 v73, v89, v77, v73
	;;#ASMEND
	;; [unrolled: 3-line block ×12, first 2 shown]
	ds_load_b128 v[0:3], v38 offset:144
	ds_load_b128 v[4:7], v39 offset:400
	;; [unrolled: 1-line block ×6, first 2 shown]
	s_waitcnt lgkmcnt(4)
	;;#ASMSTART
	v_dot2_f32_f16 v74, v0, v4, v74
	;;#ASMEND
	;;#ASMSTART
	v_dot2_f32_f16 v74, v1, v5, v74
	;;#ASMEND
	;;#ASMSTART
	v_dot2_f32_f16 v74, v2, v6, v74
	;;#ASMEND
	;;#ASMSTART
	v_dot2_f32_f16 v74, v3, v7, v74
	;;#ASMEND
	s_waitcnt lgkmcnt(3)
	;;#ASMSTART
	v_dot2_f32_f16 v72, v0, v76, v72
	;;#ASMEND
	;;#ASMSTART
	v_dot2_f32_f16 v72, v1, v77, v72
	;;#ASMEND
	;;#ASMSTART
	v_dot2_f32_f16 v72, v2, v78, v72
	;;#ASMEND
	;;#ASMSTART
	v_dot2_f32_f16 v72, v3, v79, v72
	;;#ASMEND
	s_waitcnt lgkmcnt(2)
	;;#ASMSTART
	v_dot2_f32_f16 v70, v0, v80, v70
	;;#ASMEND
	;;#ASMSTART
	v_dot2_f32_f16 v70, v1, v81, v70
	;;#ASMEND
	;;#ASMSTART
	v_dot2_f32_f16 v70, v2, v82, v70
	;;#ASMEND
	;;#ASMSTART
	v_dot2_f32_f16 v70, v3, v83, v70
	;;#ASMEND
	s_waitcnt lgkmcnt(1)
	;;#ASMSTART
	v_dot2_f32_f16 v68, v0, v84, v68
	;;#ASMEND
	;;#ASMSTART
	v_dot2_f32_f16 v68, v1, v85, v68
	;;#ASMEND
	;;#ASMSTART
	v_dot2_f32_f16 v68, v2, v86, v68
	;;#ASMEND
	;;#ASMSTART
	v_dot2_f32_f16 v68, v3, v87, v68
	;;#ASMEND
	s_waitcnt lgkmcnt(0)
	;;#ASMSTART
	v_dot2_f32_f16 v75, v88, v4, v75
	;;#ASMEND
	;;#ASMSTART
	v_dot2_f32_f16 v75, v89, v5, v75
	;;#ASMEND
	;;#ASMSTART
	v_dot2_f32_f16 v75, v90, v6, v75
	;;#ASMEND
	;;#ASMSTART
	v_dot2_f32_f16 v75, v91, v7, v75
	;;#ASMEND
	;;#ASMSTART
	v_dot2_f32_f16 v73, v88, v76, v73
	;;#ASMEND
	;;#ASMSTART
	v_dot2_f32_f16 v73, v89, v77, v73
	;;#ASMEND
	;; [unrolled: 3-line block ×12, first 2 shown]
	ds_load_b128 v[0:3], v38 offset:160
	ds_load_b128 v[4:7], v39 offset:416
	;; [unrolled: 1-line block ×6, first 2 shown]
	s_waitcnt lgkmcnt(4)
	;;#ASMSTART
	v_dot2_f32_f16 v74, v0, v4, v74
	;;#ASMEND
	;;#ASMSTART
	v_dot2_f32_f16 v74, v1, v5, v74
	;;#ASMEND
	;;#ASMSTART
	v_dot2_f32_f16 v74, v2, v6, v74
	;;#ASMEND
	;;#ASMSTART
	v_dot2_f32_f16 v74, v3, v7, v74
	;;#ASMEND
	s_waitcnt lgkmcnt(3)
	;;#ASMSTART
	v_dot2_f32_f16 v72, v0, v76, v72
	;;#ASMEND
	;;#ASMSTART
	v_dot2_f32_f16 v72, v1, v77, v72
	;;#ASMEND
	;;#ASMSTART
	v_dot2_f32_f16 v72, v2, v78, v72
	;;#ASMEND
	;;#ASMSTART
	v_dot2_f32_f16 v72, v3, v79, v72
	;;#ASMEND
	;; [unrolled: 13-line block ×5, first 2 shown]
	;;#ASMSTART
	v_dot2_f32_f16 v73, v88, v76, v73
	;;#ASMEND
	;;#ASMSTART
	v_dot2_f32_f16 v73, v89, v77, v73
	;;#ASMEND
	;; [unrolled: 3-line block ×12, first 2 shown]
	ds_load_b128 v[0:3], v38 offset:176
	ds_load_b128 v[4:7], v39 offset:432
	;; [unrolled: 1-line block ×6, first 2 shown]
	s_waitcnt lgkmcnt(4)
	;;#ASMSTART
	v_dot2_f32_f16 v74, v0, v4, v74
	;;#ASMEND
	;;#ASMSTART
	v_dot2_f32_f16 v74, v1, v5, v74
	;;#ASMEND
	;;#ASMSTART
	v_dot2_f32_f16 v74, v2, v6, v74
	;;#ASMEND
	;;#ASMSTART
	v_dot2_f32_f16 v74, v3, v7, v74
	;;#ASMEND
	s_waitcnt lgkmcnt(3)
	;;#ASMSTART
	v_dot2_f32_f16 v72, v0, v76, v72
	;;#ASMEND
	;;#ASMSTART
	v_dot2_f32_f16 v72, v1, v77, v72
	;;#ASMEND
	;;#ASMSTART
	v_dot2_f32_f16 v72, v2, v78, v72
	;;#ASMEND
	;;#ASMSTART
	v_dot2_f32_f16 v72, v3, v79, v72
	;;#ASMEND
	;; [unrolled: 13-line block ×5, first 2 shown]
	;;#ASMSTART
	v_dot2_f32_f16 v73, v88, v76, v73
	;;#ASMEND
	;;#ASMSTART
	v_dot2_f32_f16 v73, v89, v77, v73
	;;#ASMEND
	;; [unrolled: 3-line block ×12, first 2 shown]
	ds_load_b128 v[0:3], v38 offset:192
	ds_load_b128 v[4:7], v39 offset:448
	ds_load_b128 v[76:79], v39 offset:960
	ds_load_b128 v[80:83], v39 offset:1472
	ds_load_b128 v[84:87], v39 offset:1984
	ds_load_b128 v[88:91], v38 offset:8896
	s_waitcnt lgkmcnt(4)
	;;#ASMSTART
	v_dot2_f32_f16 v74, v0, v4, v74
	;;#ASMEND
	;;#ASMSTART
	v_dot2_f32_f16 v74, v1, v5, v74
	;;#ASMEND
	;;#ASMSTART
	v_dot2_f32_f16 v74, v2, v6, v74
	;;#ASMEND
	;;#ASMSTART
	v_dot2_f32_f16 v74, v3, v7, v74
	;;#ASMEND
	s_waitcnt lgkmcnt(3)
	;;#ASMSTART
	v_dot2_f32_f16 v72, v0, v76, v72
	;;#ASMEND
	;;#ASMSTART
	v_dot2_f32_f16 v72, v1, v77, v72
	;;#ASMEND
	;;#ASMSTART
	v_dot2_f32_f16 v72, v2, v78, v72
	;;#ASMEND
	;;#ASMSTART
	v_dot2_f32_f16 v72, v3, v79, v72
	;;#ASMEND
	;; [unrolled: 13-line block ×5, first 2 shown]
	;;#ASMSTART
	v_dot2_f32_f16 v73, v88, v76, v73
	;;#ASMEND
	;;#ASMSTART
	v_dot2_f32_f16 v73, v89, v77, v73
	;;#ASMEND
	;; [unrolled: 3-line block ×12, first 2 shown]
	ds_load_b128 v[0:3], v38 offset:208
	ds_load_b128 v[4:7], v39 offset:464
	;; [unrolled: 1-line block ×6, first 2 shown]
	s_waitcnt lgkmcnt(4)
	;;#ASMSTART
	v_dot2_f32_f16 v74, v0, v4, v74
	;;#ASMEND
	;;#ASMSTART
	v_dot2_f32_f16 v74, v1, v5, v74
	;;#ASMEND
	;;#ASMSTART
	v_dot2_f32_f16 v74, v2, v6, v74
	;;#ASMEND
	;;#ASMSTART
	v_dot2_f32_f16 v74, v3, v7, v74
	;;#ASMEND
	s_waitcnt lgkmcnt(3)
	;;#ASMSTART
	v_dot2_f32_f16 v72, v0, v76, v72
	;;#ASMEND
	;;#ASMSTART
	v_dot2_f32_f16 v72, v1, v77, v72
	;;#ASMEND
	;;#ASMSTART
	v_dot2_f32_f16 v72, v2, v78, v72
	;;#ASMEND
	;;#ASMSTART
	v_dot2_f32_f16 v72, v3, v79, v72
	;;#ASMEND
	;; [unrolled: 13-line block ×5, first 2 shown]
	;;#ASMSTART
	v_dot2_f32_f16 v73, v88, v76, v73
	;;#ASMEND
	;;#ASMSTART
	v_dot2_f32_f16 v73, v89, v77, v73
	;;#ASMEND
	;; [unrolled: 3-line block ×12, first 2 shown]
	ds_load_b128 v[0:3], v38 offset:224
	ds_load_b128 v[4:7], v39 offset:480
	;; [unrolled: 1-line block ×6, first 2 shown]
	s_waitcnt lgkmcnt(4)
	;;#ASMSTART
	v_dot2_f32_f16 v74, v0, v4, v74
	;;#ASMEND
	;;#ASMSTART
	v_dot2_f32_f16 v74, v1, v5, v74
	;;#ASMEND
	;;#ASMSTART
	v_dot2_f32_f16 v74, v2, v6, v74
	;;#ASMEND
	;;#ASMSTART
	v_dot2_f32_f16 v74, v3, v7, v74
	;;#ASMEND
	s_waitcnt lgkmcnt(3)
	;;#ASMSTART
	v_dot2_f32_f16 v72, v0, v76, v72
	;;#ASMEND
	;;#ASMSTART
	v_dot2_f32_f16 v72, v1, v77, v72
	;;#ASMEND
	;;#ASMSTART
	v_dot2_f32_f16 v72, v2, v78, v72
	;;#ASMEND
	;;#ASMSTART
	v_dot2_f32_f16 v72, v3, v79, v72
	;;#ASMEND
	;; [unrolled: 13-line block ×5, first 2 shown]
	;;#ASMSTART
	v_dot2_f32_f16 v73, v88, v76, v73
	;;#ASMEND
	;;#ASMSTART
	v_dot2_f32_f16 v73, v89, v77, v73
	;;#ASMEND
	;; [unrolled: 3-line block ×12, first 2 shown]
	ds_load_b128 v[0:3], v38 offset:240
	ds_load_b128 v[4:7], v39 offset:496
	;; [unrolled: 1-line block ×6, first 2 shown]
	s_waitcnt lgkmcnt(4)
	;;#ASMSTART
	v_dot2_f32_f16 v74, v0, v4, v74
	;;#ASMEND
	;;#ASMSTART
	v_dot2_f32_f16 v74, v1, v5, v74
	;;#ASMEND
	;;#ASMSTART
	v_dot2_f32_f16 v74, v2, v6, v74
	;;#ASMEND
	;;#ASMSTART
	v_dot2_f32_f16 v74, v3, v7, v74
	;;#ASMEND
	s_waitcnt lgkmcnt(3)
	;;#ASMSTART
	v_dot2_f32_f16 v72, v0, v76, v72
	;;#ASMEND
	;;#ASMSTART
	v_dot2_f32_f16 v72, v1, v77, v72
	;;#ASMEND
	;;#ASMSTART
	v_dot2_f32_f16 v72, v2, v78, v72
	;;#ASMEND
	;;#ASMSTART
	v_dot2_f32_f16 v72, v3, v79, v72
	;;#ASMEND
	;; [unrolled: 13-line block ×5, first 2 shown]
	;;#ASMSTART
	v_dot2_f32_f16 v73, v88, v76, v73
	;;#ASMEND
	;;#ASMSTART
	v_dot2_f32_f16 v73, v89, v77, v73
	;;#ASMEND
	;; [unrolled: 3-line block ×5, first 2 shown]
	v_cmp_ngt_f32_e64 s18, 0x3f200000, |v74|
	;;#ASMSTART
	v_dot2_f32_f16 v71, v89, v81, v71
	;;#ASMEND
	;;#ASMSTART
	v_dot2_f32_f16 v71, v90, v82, v71
	;;#ASMEND
	;; [unrolled: 3-line block ×7, first 2 shown]
                                        ; implicit-def: $vgpr2
	s_and_saveexec_b32 s19, s18
	s_delay_alu instid0(SALU_CYCLE_1)
	s_xor_b32 s18, exec_lo, s19
	s_cbranch_execz .LBB61_11
; %bb.10:                               ;   in Loop: Header=BB61_9 Depth=1
	v_add_f32_e64 v0, |v74|, |v74|
	s_delay_alu instid0(VALU_DEP_1) | instskip(SKIP_1) | instid1(VALU_DEP_2)
	v_mul_f32_e32 v1, 0x3fb8aa3b, v0
	v_cmp_ngt_f32_e32 vcc_lo, 0xc2ce8ed0, v0
	v_rndne_f32_e32 v2, v1
	v_fma_f32 v3, 0x3fb8aa3b, v0, -v1
	s_delay_alu instid0(VALU_DEP_2) | instskip(NEXT) | instid1(VALU_DEP_2)
	v_sub_f32_e32 v1, v1, v2
	v_fmac_f32_e32 v3, 0x32a5705f, v0
	v_cvt_i32_f32_e32 v2, v2
	s_delay_alu instid0(VALU_DEP_2) | instskip(NEXT) | instid1(VALU_DEP_1)
	v_add_f32_e32 v1, v1, v3
	v_exp_f32_e32 v1, v1
	s_waitcnt_depctr 0xfff
	v_ldexp_f32 v1, v1, v2
	s_delay_alu instid0(VALU_DEP_1) | instskip(SKIP_1) | instid1(VALU_DEP_2)
	v_cndmask_b32_e32 v1, 0, v1, vcc_lo
	v_cmp_nlt_f32_e32 vcc_lo, 0x42b17218, v0
	v_cndmask_b32_e32 v0, 0x7f800000, v1, vcc_lo
	s_delay_alu instid0(VALU_DEP_1) | instskip(NEXT) | instid1(VALU_DEP_1)
	v_add_f32_e32 v0, 1.0, v0
	v_rcp_f32_e32 v0, v0
	s_waitcnt_depctr 0xfff
	v_fma_f32 v2, v0, -2.0, 1.0
.LBB61_11:                              ;   in Loop: Header=BB61_9 Depth=1
	s_and_not1_saveexec_b32 s18, s18
; %bb.12:                               ;   in Loop: Header=BB61_9 Depth=1
	v_mul_f32_e32 v0, v74, v74
	s_delay_alu instid0(VALU_DEP_1) | instskip(NEXT) | instid1(VALU_DEP_1)
	v_fmaak_f32 v1, s17, v0, 0x3ca908c9
	v_fmaak_f32 v1, v0, v1, 0xbd5c1c4e
	s_delay_alu instid0(VALU_DEP_1) | instskip(NEXT) | instid1(VALU_DEP_1)
	v_fmaak_f32 v1, v0, v1, 0x3e088382
	v_fmaak_f32 v1, v0, v1, 0xbeaaaa99
	s_delay_alu instid0(VALU_DEP_1) | instskip(NEXT) | instid1(VALU_DEP_1)
	v_mul_f32_e64 v1, |v74|, v1
	v_fma_f32 v2, v0, v1, |v74|
; %bb.13:                               ;   in Loop: Header=BB61_9 Depth=1
	s_or_b32 exec_lo, exec_lo, s18
	v_add_nc_u32_e32 v0, s3, v14
	v_cmp_ngt_f32_e64 s18, 0x3f200000, |v75|
                                        ; implicit-def: $vgpr3
	s_delay_alu instid0(VALU_DEP_2) | instskip(NEXT) | instid1(VALU_DEP_1)
	v_ashrrev_i32_e32 v1, 31, v0
	v_lshlrev_b64 v[0:1], 1, v[0:1]
	s_delay_alu instid0(VALU_DEP_1) | instskip(NEXT) | instid1(VALU_DEP_2)
	v_add_co_u32 v0, vcc_lo, s36, v0
	v_add_co_ci_u32_e32 v1, vcc_lo, s37, v1, vcc_lo
	flat_load_u16 v7, v[0:1]
	s_and_saveexec_b32 s19, s18
	s_delay_alu instid0(SALU_CYCLE_1)
	s_xor_b32 s18, exec_lo, s19
	s_cbranch_execz .LBB61_15
; %bb.14:                               ;   in Loop: Header=BB61_9 Depth=1
	v_add_f32_e64 v3, |v75|, |v75|
	s_delay_alu instid0(VALU_DEP_1) | instskip(SKIP_1) | instid1(VALU_DEP_2)
	v_mul_f32_e32 v4, 0x3fb8aa3b, v3
	v_cmp_ngt_f32_e32 vcc_lo, 0xc2ce8ed0, v3
	v_rndne_f32_e32 v5, v4
	v_fma_f32 v6, 0x3fb8aa3b, v3, -v4
	s_delay_alu instid0(VALU_DEP_2) | instskip(NEXT) | instid1(VALU_DEP_2)
	v_sub_f32_e32 v4, v4, v5
	v_fmac_f32_e32 v6, 0x32a5705f, v3
	v_cvt_i32_f32_e32 v5, v5
	s_delay_alu instid0(VALU_DEP_2) | instskip(NEXT) | instid1(VALU_DEP_1)
	v_add_f32_e32 v4, v4, v6
	v_exp_f32_e32 v4, v4
	s_waitcnt_depctr 0xfff
	v_ldexp_f32 v4, v4, v5
	s_delay_alu instid0(VALU_DEP_1) | instskip(SKIP_1) | instid1(VALU_DEP_2)
	v_cndmask_b32_e32 v4, 0, v4, vcc_lo
	v_cmp_nlt_f32_e32 vcc_lo, 0x42b17218, v3
	v_cndmask_b32_e32 v3, 0x7f800000, v4, vcc_lo
	s_delay_alu instid0(VALU_DEP_1) | instskip(NEXT) | instid1(VALU_DEP_1)
	v_add_f32_e32 v3, 1.0, v3
	v_rcp_f32_e32 v3, v3
	s_waitcnt_depctr 0xfff
	v_fma_f32 v3, v3, -2.0, 1.0
.LBB61_15:                              ;   in Loop: Header=BB61_9 Depth=1
	s_and_not1_saveexec_b32 s18, s18
; %bb.16:                               ;   in Loop: Header=BB61_9 Depth=1
	v_mul_f32_e32 v3, v75, v75
	s_delay_alu instid0(VALU_DEP_1) | instskip(NEXT) | instid1(VALU_DEP_1)
	v_fmaak_f32 v4, s17, v3, 0x3ca908c9
	v_fmaak_f32 v4, v3, v4, 0xbd5c1c4e
	s_delay_alu instid0(VALU_DEP_1) | instskip(NEXT) | instid1(VALU_DEP_1)
	v_fmaak_f32 v4, v3, v4, 0x3e088382
	v_fmaak_f32 v4, v3, v4, 0xbeaaaa99
	s_delay_alu instid0(VALU_DEP_1) | instskip(NEXT) | instid1(VALU_DEP_1)
	v_mul_f32_e64 v4, |v75|, v4
	v_fma_f32 v3, v3, v4, |v75|
; %bb.17:                               ;   in Loop: Header=BB61_9 Depth=1
	s_or_b32 exec_lo, exec_lo, s18
	flat_load_u16 v82, v[0:1] offset:64
	v_bfi_b32 v0, 0x7fffffff, v2, v74
	v_xor_b32_e32 v78, 16, v32
	v_bfi_b32 v1, 0x7fffffff, v3, v75
	v_xor_b32_e32 v77, 8, v32
	v_xor_b32_e32 v76, 4, v32
	s_waitcnt vmcnt(1) lgkmcnt(1)
	v_fma_mix_f32 v80, v0, s16, v7 op_sel_hi:[0,0,1]
	v_cmp_gt_i32_e32 vcc_lo, 32, v78
	v_xor_b32_e32 v74, 1, v32
	v_xor_b32_e32 v75, 2, v32
	v_cmp_ngt_f32_e64 s18, 0x3f200000, |v72|
	v_add_f32_e32 v0, 0x40051340, v80
                                        ; implicit-def: $vgpr83
	s_waitcnt vmcnt(0) lgkmcnt(0)
	v_fma_mix_f32 v81, v1, s16, v82 op_sel_hi:[0,0,1]
	v_cndmask_b32_e32 v1, v32, v78, vcc_lo
	v_cmp_gt_i32_e32 vcc_lo, 32, v77
	s_delay_alu instid0(VALU_DEP_2) | instskip(SKIP_3) | instid1(VALU_DEP_3)
	v_lshlrev_b32_e32 v1, 2, v1
	v_cndmask_b32_e32 v3, v32, v77, vcc_lo
	v_cmp_gt_i32_e32 vcc_lo, 32, v76
	v_add_f32_e32 v2, 0x40051340, v81
	v_dual_cndmask_b32 v3, v32, v76 :: v_dual_lshlrev_b32 v6, 2, v3
	s_delay_alu instid0(VALU_DEP_2) | instskip(SKIP_1) | instid1(VALU_DEP_3)
	v_max3_f32 v0, v65, v0, v2
	v_cmp_gt_i32_e32 vcc_lo, 32, v75
	v_lshlrev_b32_e32 v5, 2, v3
	ds_bpermute_b32 v2, v1, v0
	v_cndmask_b32_e32 v3, v32, v75, vcc_lo
	v_cmp_gt_i32_e32 vcc_lo, 32, v74
	s_delay_alu instid0(VALU_DEP_2) | instskip(SKIP_1) | instid1(VALU_DEP_1)
	v_dual_cndmask_b32 v3, v32, v74 :: v_dual_lshlrev_b32 v4, 2, v3
	s_waitcnt lgkmcnt(0)
	v_dual_max_f32 v2, v2, v2 :: v_dual_lshlrev_b32 v3, 2, v3
	s_delay_alu instid0(VALU_DEP_1) | instskip(SKIP_3) | instid1(VALU_DEP_1)
	v_max_f32_e32 v0, v0, v2
	ds_bpermute_b32 v2, v6, v0
	s_waitcnt lgkmcnt(0)
	v_max_f32_e32 v2, v2, v2
	v_max_f32_e32 v0, v0, v2
	ds_bpermute_b32 v2, v5, v0
	s_waitcnt lgkmcnt(0)
	v_max_f32_e32 v2, v2, v2
	s_delay_alu instid0(VALU_DEP_1) | instskip(SKIP_3) | instid1(VALU_DEP_1)
	v_max_f32_e32 v0, v0, v2
	ds_bpermute_b32 v2, v4, v0
	s_waitcnt lgkmcnt(0)
	v_max_f32_e32 v2, v2, v2
	v_max_f32_e32 v0, v0, v2
	ds_bpermute_b32 v2, v3, v0
	s_and_saveexec_b32 s19, s18
	s_delay_alu instid0(SALU_CYCLE_1)
	s_xor_b32 s18, exec_lo, s19
	s_cbranch_execz .LBB61_19
; %bb.18:                               ;   in Loop: Header=BB61_9 Depth=1
	v_add_f32_e64 v79, |v72|, |v72|
	s_delay_alu instid0(VALU_DEP_1) | instskip(SKIP_1) | instid1(VALU_DEP_2)
	v_mul_f32_e32 v83, 0x3fb8aa3b, v79
	v_cmp_ngt_f32_e32 vcc_lo, 0xc2ce8ed0, v79
	v_rndne_f32_e32 v84, v83
	v_fma_f32 v85, 0x3fb8aa3b, v79, -v83
	s_delay_alu instid0(VALU_DEP_2) | instskip(NEXT) | instid1(VALU_DEP_2)
	v_sub_f32_e32 v83, v83, v84
	v_fmac_f32_e32 v85, 0x32a5705f, v79
	v_cvt_i32_f32_e32 v84, v84
	s_delay_alu instid0(VALU_DEP_2) | instskip(NEXT) | instid1(VALU_DEP_1)
	v_add_f32_e32 v83, v83, v85
	v_exp_f32_e32 v83, v83
	s_waitcnt_depctr 0xfff
	v_ldexp_f32 v83, v83, v84
	s_delay_alu instid0(VALU_DEP_1) | instskip(SKIP_1) | instid1(VALU_DEP_2)
	v_cndmask_b32_e32 v83, 0, v83, vcc_lo
	v_cmp_nlt_f32_e32 vcc_lo, 0x42b17218, v79
	v_cndmask_b32_e32 v79, 0x7f800000, v83, vcc_lo
	s_delay_alu instid0(VALU_DEP_1) | instskip(NEXT) | instid1(VALU_DEP_1)
	v_add_f32_e32 v79, 1.0, v79
	v_rcp_f32_e32 v79, v79
	s_waitcnt_depctr 0xfff
	v_fma_f32 v83, v79, -2.0, 1.0
.LBB61_19:                              ;   in Loop: Header=BB61_9 Depth=1
	s_and_not1_saveexec_b32 s18, s18
; %bb.20:                               ;   in Loop: Header=BB61_9 Depth=1
	v_mul_f32_e32 v79, v72, v72
	s_delay_alu instid0(VALU_DEP_1) | instskip(NEXT) | instid1(VALU_DEP_1)
	v_fmaak_f32 v83, s17, v79, 0x3ca908c9
	v_fmaak_f32 v83, v79, v83, 0xbd5c1c4e
	s_delay_alu instid0(VALU_DEP_1) | instskip(NEXT) | instid1(VALU_DEP_1)
	v_fmaak_f32 v83, v79, v83, 0x3e088382
	v_fmaak_f32 v83, v79, v83, 0xbeaaaa99
	s_delay_alu instid0(VALU_DEP_1) | instskip(NEXT) | instid1(VALU_DEP_1)
	v_mul_f32_e64 v83, |v72|, v83
	v_fma_f32 v83, v79, v83, |v72|
; %bb.21:                               ;   in Loop: Header=BB61_9 Depth=1
	s_or_b32 exec_lo, exec_lo, s18
	v_cmp_ngt_f32_e64 s18, 0x3f200000, |v73|
                                        ; implicit-def: $vgpr84
	s_delay_alu instid0(VALU_DEP_1) | instskip(NEXT) | instid1(SALU_CYCLE_1)
	s_and_saveexec_b32 s19, s18
	s_xor_b32 s18, exec_lo, s19
	s_cbranch_execz .LBB61_23
; %bb.22:                               ;   in Loop: Header=BB61_9 Depth=1
	v_add_f32_e64 v79, |v73|, |v73|
	s_delay_alu instid0(VALU_DEP_1) | instskip(SKIP_1) | instid1(VALU_DEP_2)
	v_mul_f32_e32 v84, 0x3fb8aa3b, v79
	v_cmp_ngt_f32_e32 vcc_lo, 0xc2ce8ed0, v79
	v_rndne_f32_e32 v85, v84
	v_fma_f32 v86, 0x3fb8aa3b, v79, -v84
	s_delay_alu instid0(VALU_DEP_2) | instskip(NEXT) | instid1(VALU_DEP_2)
	v_sub_f32_e32 v84, v84, v85
	v_fmac_f32_e32 v86, 0x32a5705f, v79
	v_cvt_i32_f32_e32 v85, v85
	s_delay_alu instid0(VALU_DEP_2) | instskip(NEXT) | instid1(VALU_DEP_1)
	v_add_f32_e32 v84, v84, v86
	v_exp_f32_e32 v84, v84
	s_waitcnt_depctr 0xfff
	v_ldexp_f32 v84, v84, v85
	s_delay_alu instid0(VALU_DEP_1) | instskip(SKIP_1) | instid1(VALU_DEP_2)
	v_cndmask_b32_e32 v84, 0, v84, vcc_lo
	v_cmp_nlt_f32_e32 vcc_lo, 0x42b17218, v79
	v_cndmask_b32_e32 v79, 0x7f800000, v84, vcc_lo
	s_delay_alu instid0(VALU_DEP_1) | instskip(NEXT) | instid1(VALU_DEP_1)
	v_add_f32_e32 v79, 1.0, v79
	v_rcp_f32_e32 v79, v79
	s_waitcnt_depctr 0xfff
	v_fma_f32 v84, v79, -2.0, 1.0
.LBB61_23:                              ;   in Loop: Header=BB61_9 Depth=1
	s_and_not1_saveexec_b32 s18, s18
; %bb.24:                               ;   in Loop: Header=BB61_9 Depth=1
	v_mul_f32_e32 v79, v73, v73
	s_delay_alu instid0(VALU_DEP_1) | instskip(NEXT) | instid1(VALU_DEP_1)
	v_fmaak_f32 v84, s17, v79, 0x3ca908c9
	v_fmaak_f32 v84, v79, v84, 0xbd5c1c4e
	s_delay_alu instid0(VALU_DEP_1) | instskip(NEXT) | instid1(VALU_DEP_1)
	v_fmaak_f32 v84, v79, v84, 0x3e088382
	v_fmaak_f32 v84, v79, v84, 0xbeaaaa99
	s_delay_alu instid0(VALU_DEP_1) | instskip(NEXT) | instid1(VALU_DEP_1)
	v_mul_f32_e64 v84, |v73|, v84
	v_fma_f32 v84, v79, v84, |v73|
; %bb.25:                               ;   in Loop: Header=BB61_9 Depth=1
	s_or_b32 exec_lo, exec_lo, s18
	v_cvt_f32_f16_e32 v79, v7
	v_cvt_f32_f16_e32 v7, v82
	v_bfi_b32 v72, 0x7fffffff, v83, v72
	v_bfi_b32 v73, 0x7fffffff, v84, v73
	v_cmp_ngt_f32_e64 s18, 0x3f200000, |v70|
                                        ; implicit-def: $vgpr84
	s_delay_alu instid0(VALU_DEP_3) | instskip(NEXT) | instid1(VALU_DEP_3)
	v_fma_f32 v82, s16, v72, v79
	v_fma_f32 v73, s16, v73, v7
	s_delay_alu instid0(VALU_DEP_1) | instskip(NEXT) | instid1(VALU_DEP_1)
	v_dual_add_f32 v72, 0x40051340, v82 :: v_dual_add_f32 v83, 0x40051340, v73
	v_max3_f32 v72, v66, v72, v83
	ds_bpermute_b32 v83, v1, v72
	s_waitcnt lgkmcnt(0)
	v_max_f32_e32 v83, v83, v83
	s_delay_alu instid0(VALU_DEP_1) | instskip(SKIP_3) | instid1(VALU_DEP_1)
	v_max_f32_e32 v72, v72, v83
	ds_bpermute_b32 v83, v6, v72
	s_waitcnt lgkmcnt(0)
	v_max_f32_e32 v83, v83, v83
	v_max_f32_e32 v72, v72, v83
	ds_bpermute_b32 v83, v5, v72
	s_waitcnt lgkmcnt(0)
	v_max_f32_e32 v83, v83, v83
	s_delay_alu instid0(VALU_DEP_1) | instskip(SKIP_3) | instid1(VALU_DEP_1)
	v_max_f32_e32 v72, v72, v83
	ds_bpermute_b32 v83, v4, v72
	s_waitcnt lgkmcnt(0)
	v_max_f32_e32 v83, v83, v83
	v_max_f32_e32 v72, v72, v83
	ds_bpermute_b32 v83, v3, v72
	s_and_saveexec_b32 s19, s18
	s_delay_alu instid0(SALU_CYCLE_1)
	s_xor_b32 s18, exec_lo, s19
	s_cbranch_execz .LBB61_27
; %bb.26:                               ;   in Loop: Header=BB61_9 Depth=1
	v_add_f32_e64 v84, |v70|, |v70|
	s_delay_alu instid0(VALU_DEP_1) | instskip(SKIP_1) | instid1(VALU_DEP_2)
	v_mul_f32_e32 v85, 0x3fb8aa3b, v84
	v_cmp_ngt_f32_e32 vcc_lo, 0xc2ce8ed0, v84
	v_rndne_f32_e32 v86, v85
	v_fma_f32 v87, 0x3fb8aa3b, v84, -v85
	s_delay_alu instid0(VALU_DEP_2) | instskip(NEXT) | instid1(VALU_DEP_2)
	v_sub_f32_e32 v85, v85, v86
	v_fmac_f32_e32 v87, 0x32a5705f, v84
	v_cvt_i32_f32_e32 v86, v86
	s_delay_alu instid0(VALU_DEP_2) | instskip(NEXT) | instid1(VALU_DEP_1)
	v_add_f32_e32 v85, v85, v87
	v_exp_f32_e32 v85, v85
	s_waitcnt_depctr 0xfff
	v_ldexp_f32 v85, v85, v86
	s_delay_alu instid0(VALU_DEP_1) | instskip(SKIP_1) | instid1(VALU_DEP_2)
	v_cndmask_b32_e32 v85, 0, v85, vcc_lo
	v_cmp_nlt_f32_e32 vcc_lo, 0x42b17218, v84
	v_cndmask_b32_e32 v84, 0x7f800000, v85, vcc_lo
	s_delay_alu instid0(VALU_DEP_1) | instskip(NEXT) | instid1(VALU_DEP_1)
	v_add_f32_e32 v84, 1.0, v84
	v_rcp_f32_e32 v84, v84
	s_waitcnt_depctr 0xfff
	v_fma_f32 v84, v84, -2.0, 1.0
.LBB61_27:                              ;   in Loop: Header=BB61_9 Depth=1
	s_and_not1_saveexec_b32 s18, s18
; %bb.28:                               ;   in Loop: Header=BB61_9 Depth=1
	v_mul_f32_e32 v84, v70, v70
	s_delay_alu instid0(VALU_DEP_1) | instskip(NEXT) | instid1(VALU_DEP_1)
	v_fmaak_f32 v85, s17, v84, 0x3ca908c9
	v_fmaak_f32 v85, v84, v85, 0xbd5c1c4e
	s_delay_alu instid0(VALU_DEP_1) | instskip(NEXT) | instid1(VALU_DEP_1)
	v_fmaak_f32 v85, v84, v85, 0x3e088382
	v_fmaak_f32 v85, v84, v85, 0xbeaaaa99
	s_delay_alu instid0(VALU_DEP_1) | instskip(NEXT) | instid1(VALU_DEP_1)
	v_mul_f32_e64 v85, |v70|, v85
	v_fma_f32 v84, v84, v85, |v70|
; %bb.29:                               ;   in Loop: Header=BB61_9 Depth=1
	s_or_b32 exec_lo, exec_lo, s18
	v_cmp_ngt_f32_e64 s18, 0x3f200000, |v71|
                                        ; implicit-def: $vgpr85
	s_delay_alu instid0(VALU_DEP_1) | instskip(NEXT) | instid1(SALU_CYCLE_1)
	s_and_saveexec_b32 s19, s18
	s_xor_b32 s18, exec_lo, s19
	s_cbranch_execz .LBB61_31
; %bb.30:                               ;   in Loop: Header=BB61_9 Depth=1
	v_add_f32_e64 v85, |v71|, |v71|
	s_delay_alu instid0(VALU_DEP_1) | instskip(SKIP_1) | instid1(VALU_DEP_2)
	v_mul_f32_e32 v86, 0x3fb8aa3b, v85
	v_cmp_ngt_f32_e32 vcc_lo, 0xc2ce8ed0, v85
	v_rndne_f32_e32 v87, v86
	v_fma_f32 v88, 0x3fb8aa3b, v85, -v86
	s_delay_alu instid0(VALU_DEP_2) | instskip(NEXT) | instid1(VALU_DEP_2)
	v_sub_f32_e32 v86, v86, v87
	v_fmac_f32_e32 v88, 0x32a5705f, v85
	v_cvt_i32_f32_e32 v87, v87
	s_delay_alu instid0(VALU_DEP_2) | instskip(NEXT) | instid1(VALU_DEP_1)
	v_add_f32_e32 v86, v86, v88
	v_exp_f32_e32 v86, v86
	s_waitcnt_depctr 0xfff
	v_ldexp_f32 v86, v86, v87
	s_delay_alu instid0(VALU_DEP_1) | instskip(SKIP_1) | instid1(VALU_DEP_2)
	v_cndmask_b32_e32 v86, 0, v86, vcc_lo
	v_cmp_nlt_f32_e32 vcc_lo, 0x42b17218, v85
	v_cndmask_b32_e32 v85, 0x7f800000, v86, vcc_lo
	s_delay_alu instid0(VALU_DEP_1) | instskip(NEXT) | instid1(VALU_DEP_1)
	v_add_f32_e32 v85, 1.0, v85
	v_rcp_f32_e32 v85, v85
	s_waitcnt_depctr 0xfff
	v_fma_f32 v85, v85, -2.0, 1.0
.LBB61_31:                              ;   in Loop: Header=BB61_9 Depth=1
	s_and_not1_saveexec_b32 s18, s18
; %bb.32:                               ;   in Loop: Header=BB61_9 Depth=1
	v_mul_f32_e32 v85, v71, v71
	s_delay_alu instid0(VALU_DEP_1) | instskip(NEXT) | instid1(VALU_DEP_1)
	v_fmaak_f32 v86, s17, v85, 0x3ca908c9
	v_fmaak_f32 v86, v85, v86, 0xbd5c1c4e
	s_delay_alu instid0(VALU_DEP_1) | instskip(NEXT) | instid1(VALU_DEP_1)
	v_fmaak_f32 v86, v85, v86, 0x3e088382
	v_fmaak_f32 v86, v85, v86, 0xbeaaaa99
	s_delay_alu instid0(VALU_DEP_1) | instskip(NEXT) | instid1(VALU_DEP_1)
	v_mul_f32_e64 v86, |v71|, v86
	v_fma_f32 v85, v85, v86, |v71|
; %bb.33:                               ;   in Loop: Header=BB61_9 Depth=1
	s_or_b32 exec_lo, exec_lo, s18
	v_bfi_b32 v70, 0x7fffffff, v84, v70
	s_delay_alu instid0(VALU_DEP_2) | instskip(SKIP_1) | instid1(VALU_DEP_3)
	v_bfi_b32 v71, 0x7fffffff, v85, v71
	v_cmp_ngt_f32_e64 s18, 0x3f200000, |v68|
                                        ; implicit-def: $vgpr86
	v_fma_f32 v70, s16, v70, v79
	s_delay_alu instid0(VALU_DEP_3) | instskip(NEXT) | instid1(VALU_DEP_1)
	v_fma_f32 v71, s16, v71, v7
	v_dual_add_f32 v84, 0x40051340, v70 :: v_dual_add_f32 v85, 0x40051340, v71
	s_delay_alu instid0(VALU_DEP_1) | instskip(SKIP_3) | instid1(VALU_DEP_1)
	v_max3_f32 v84, v67, v84, v85
	ds_bpermute_b32 v85, v1, v84
	s_waitcnt lgkmcnt(0)
	v_max_f32_e32 v85, v85, v85
	v_max_f32_e32 v84, v84, v85
	ds_bpermute_b32 v85, v6, v84
	s_waitcnt lgkmcnt(0)
	v_max_f32_e32 v85, v85, v85
	s_delay_alu instid0(VALU_DEP_1) | instskip(SKIP_3) | instid1(VALU_DEP_1)
	v_max_f32_e32 v84, v84, v85
	ds_bpermute_b32 v85, v5, v84
	s_waitcnt lgkmcnt(0)
	v_max_f32_e32 v85, v85, v85
	v_max_f32_e32 v84, v84, v85
	ds_bpermute_b32 v85, v4, v84
	s_waitcnt lgkmcnt(0)
	v_max_f32_e32 v85, v85, v85
	s_delay_alu instid0(VALU_DEP_1) | instskip(SKIP_2) | instid1(SALU_CYCLE_1)
	v_max_f32_e32 v84, v84, v85
	ds_bpermute_b32 v85, v3, v84
	s_and_saveexec_b32 s19, s18
	s_xor_b32 s18, exec_lo, s19
	s_cbranch_execz .LBB61_35
; %bb.34:                               ;   in Loop: Header=BB61_9 Depth=1
	v_add_f32_e64 v86, |v68|, |v68|
	s_delay_alu instid0(VALU_DEP_1) | instskip(SKIP_1) | instid1(VALU_DEP_2)
	v_mul_f32_e32 v87, 0x3fb8aa3b, v86
	v_cmp_ngt_f32_e32 vcc_lo, 0xc2ce8ed0, v86
	v_rndne_f32_e32 v88, v87
	v_fma_f32 v89, 0x3fb8aa3b, v86, -v87
	s_delay_alu instid0(VALU_DEP_2) | instskip(NEXT) | instid1(VALU_DEP_2)
	v_sub_f32_e32 v87, v87, v88
	v_fmac_f32_e32 v89, 0x32a5705f, v86
	v_cvt_i32_f32_e32 v88, v88
	s_delay_alu instid0(VALU_DEP_2) | instskip(NEXT) | instid1(VALU_DEP_1)
	v_add_f32_e32 v87, v87, v89
	v_exp_f32_e32 v87, v87
	s_waitcnt_depctr 0xfff
	v_ldexp_f32 v87, v87, v88
	s_delay_alu instid0(VALU_DEP_1) | instskip(SKIP_1) | instid1(VALU_DEP_2)
	v_cndmask_b32_e32 v87, 0, v87, vcc_lo
	v_cmp_nlt_f32_e32 vcc_lo, 0x42b17218, v86
	v_cndmask_b32_e32 v86, 0x7f800000, v87, vcc_lo
	s_delay_alu instid0(VALU_DEP_1) | instskip(NEXT) | instid1(VALU_DEP_1)
	v_add_f32_e32 v86, 1.0, v86
	v_rcp_f32_e32 v86, v86
	s_waitcnt_depctr 0xfff
	v_fma_f32 v86, v86, -2.0, 1.0
.LBB61_35:                              ;   in Loop: Header=BB61_9 Depth=1
	s_and_not1_saveexec_b32 s18, s18
; %bb.36:                               ;   in Loop: Header=BB61_9 Depth=1
	v_mul_f32_e32 v86, v68, v68
	s_delay_alu instid0(VALU_DEP_1) | instskip(NEXT) | instid1(VALU_DEP_1)
	v_fmaak_f32 v87, s17, v86, 0x3ca908c9
	v_fmaak_f32 v87, v86, v87, 0xbd5c1c4e
	s_delay_alu instid0(VALU_DEP_1) | instskip(NEXT) | instid1(VALU_DEP_1)
	v_fmaak_f32 v87, v86, v87, 0x3e088382
	v_fmaak_f32 v87, v86, v87, 0xbeaaaa99
	s_delay_alu instid0(VALU_DEP_1) | instskip(NEXT) | instid1(VALU_DEP_1)
	v_mul_f32_e64 v87, |v68|, v87
	v_fma_f32 v86, v86, v87, |v68|
; %bb.37:                               ;   in Loop: Header=BB61_9 Depth=1
	s_or_b32 exec_lo, exec_lo, s18
	v_cmp_ngt_f32_e64 s18, 0x3f200000, |v69|
                                        ; implicit-def: $vgpr87
	s_delay_alu instid0(VALU_DEP_1) | instskip(NEXT) | instid1(SALU_CYCLE_1)
	s_and_saveexec_b32 s19, s18
	s_xor_b32 s18, exec_lo, s19
	s_cbranch_execz .LBB61_39
; %bb.38:                               ;   in Loop: Header=BB61_9 Depth=1
	v_add_f32_e64 v87, |v69|, |v69|
	s_delay_alu instid0(VALU_DEP_1) | instskip(SKIP_1) | instid1(VALU_DEP_2)
	v_mul_f32_e32 v88, 0x3fb8aa3b, v87
	v_cmp_ngt_f32_e32 vcc_lo, 0xc2ce8ed0, v87
	v_rndne_f32_e32 v89, v88
	v_fma_f32 v90, 0x3fb8aa3b, v87, -v88
	s_delay_alu instid0(VALU_DEP_2) | instskip(NEXT) | instid1(VALU_DEP_2)
	v_sub_f32_e32 v88, v88, v89
	v_fmac_f32_e32 v90, 0x32a5705f, v87
	v_cvt_i32_f32_e32 v89, v89
	s_delay_alu instid0(VALU_DEP_2) | instskip(NEXT) | instid1(VALU_DEP_1)
	v_add_f32_e32 v88, v88, v90
	v_exp_f32_e32 v88, v88
	s_waitcnt_depctr 0xfff
	v_ldexp_f32 v88, v88, v89
	s_delay_alu instid0(VALU_DEP_1) | instskip(SKIP_1) | instid1(VALU_DEP_2)
	v_cndmask_b32_e32 v88, 0, v88, vcc_lo
	v_cmp_nlt_f32_e32 vcc_lo, 0x42b17218, v87
	v_cndmask_b32_e32 v87, 0x7f800000, v88, vcc_lo
	s_delay_alu instid0(VALU_DEP_1) | instskip(NEXT) | instid1(VALU_DEP_1)
	v_add_f32_e32 v87, 1.0, v87
	v_rcp_f32_e32 v87, v87
	s_waitcnt_depctr 0xfff
	v_fma_f32 v87, v87, -2.0, 1.0
.LBB61_39:                              ;   in Loop: Header=BB61_9 Depth=1
	s_and_not1_saveexec_b32 s18, s18
; %bb.40:                               ;   in Loop: Header=BB61_9 Depth=1
	v_mul_f32_e32 v87, v69, v69
	s_delay_alu instid0(VALU_DEP_1) | instskip(NEXT) | instid1(VALU_DEP_1)
	v_fmaak_f32 v88, s17, v87, 0x3ca908c9
	v_fmaak_f32 v88, v87, v88, 0xbd5c1c4e
	s_delay_alu instid0(VALU_DEP_1) | instskip(NEXT) | instid1(VALU_DEP_1)
	v_fmaak_f32 v88, v87, v88, 0x3e088382
	v_fmaak_f32 v88, v87, v88, 0xbeaaaa99
	s_delay_alu instid0(VALU_DEP_1) | instskip(NEXT) | instid1(VALU_DEP_1)
	v_mul_f32_e64 v88, |v69|, v88
	v_fma_f32 v87, v87, v88, |v69|
; %bb.41:                               ;   in Loop: Header=BB61_9 Depth=1
	s_or_b32 exec_lo, exec_lo, s18
	s_mul_hi_i32 s19, s3, s10
	s_mul_i32 s18, s3, s10
	v_bfi_b32 v68, 0x7fffffff, v86, v68
	s_lshl_b64 s[18:19], s[18:19], 2
	v_bfi_b32 v69, 0x7fffffff, v87, v69
	s_add_u32 s18, s11, s18
	s_addc_u32 s19, s15, s19
	v_add_co_u32 v88, vcc_lo, s18, v23
	v_add_co_ci_u32_e32 v89, vcc_lo, s19, v24, vcc_lo
	v_add_co_u32 v90, vcc_lo, s18, v25
	v_add_co_ci_u32_e32 v91, vcc_lo, s19, v26, vcc_lo
	s_delay_alu instid0(VALU_DEP_4) | instskip(NEXT) | instid1(VALU_DEP_4)
	v_add_co_u32 v88, vcc_lo, v88, v40
	v_add_co_ci_u32_e32 v89, vcc_lo, 0, v89, vcc_lo
	s_delay_alu instid0(VALU_DEP_4) | instskip(NEXT) | instid1(VALU_DEP_4)
	v_add_co_u32 v92, vcc_lo, v90, v40
	v_add_co_ci_u32_e32 v93, vcc_lo, 0, v91, vcc_lo
	v_add_co_u32 v90, vcc_lo, s18, v27
	v_add_co_ci_u32_e32 v91, vcc_lo, s19, v28, vcc_lo
	;; [unrolled: 2-line block ×3, first 2 shown]
	s_delay_alu instid0(VALU_DEP_4) | instskip(NEXT) | instid1(VALU_DEP_4)
	v_add_co_u32 v96, vcc_lo, v90, v40
	v_add_co_ci_u32_e32 v97, vcc_lo, 0, v91, vcc_lo
	s_delay_alu instid0(VALU_DEP_4) | instskip(NEXT) | instid1(VALU_DEP_4)
	v_add_co_u32 v100, vcc_lo, v94, v40
	v_add_co_ci_u32_e32 v101, vcc_lo, 0, v95, vcc_lo
	s_waitcnt lgkmcnt(0)
	s_barrier
	buffer_gl0_inv
	s_clause 0x3
	global_load_b128 v[88:91], v[88:89], off
	global_load_b128 v[92:95], v[92:93], off
	;; [unrolled: 1-line block ×4, first 2 shown]
	v_dual_fmac_f32 v79, s16, v68 :: v_dual_max_f32 v2, v2, v2
	v_dual_fmac_f32 v7, s16, v69 :: v_dual_max_f32 v0, v0, v0
	v_dual_max_f32 v83, v83, v83 :: v_dual_max_f32 v84, v84, v84
	s_delay_alu instid0(VALU_DEP_3) | instskip(NEXT) | instid1(VALU_DEP_3)
	v_add_f32_e32 v68, 0x40051340, v79
	v_add_f32_e32 v69, 0x40051340, v7
	s_delay_alu instid0(VALU_DEP_4) | instskip(SKIP_2) | instid1(VALU_DEP_3)
	v_dual_max_f32 v85, v85, v85 :: v_dual_max_f32 v0, v0, v2
	v_add_nc_u32_e32 v87, v41, v42
	s_or_b32 s18, s3, 32
	v_max3_f32 v68, v64, v68, v69
	s_delay_alu instid0(VALU_DEP_3)
	v_max_f32_e32 v2, v84, v85
	v_dual_max_f32 v69, v72, v72 :: v_dual_add_nc_u32 v72, 0x800, v42
	v_sub_f32_e32 v80, v80, v0
	ds_bpermute_b32 v86, v1, v68
	v_dual_sub_f32 v70, v70, v2 :: v_dual_max_f32 v1, v69, v83
	v_sub_f32_e32 v69, v81, v0
	v_sub_f32_e32 v67, v67, v2
	;; [unrolled: 1-line block ×3, first 2 shown]
	v_mul_f32_e32 v84, 0x3fb8aa3b, v80
	v_sub_f32_e32 v66, v66, v1
	v_sub_f32_e32 v81, v82, v1
	;; [unrolled: 1-line block ×3, first 2 shown]
	v_mul_f32_e32 v82, 0x3fb8aa3b, v69
	v_dual_mul_f32 v85, 0x3fb8aa3b, v65 :: v_dual_mul_f32 v108, 0x3fb8aa3b, v67
	v_rndne_f32_e32 v113, v84
	v_mul_f32_e32 v105, 0x3fb8aa3b, v66
	s_delay_alu instid0(VALU_DEP_4) | instskip(NEXT) | instid1(VALU_DEP_4)
	v_fma_f32 v109, 0x3fb8aa3b, v69, -v82
	v_rndne_f32_e32 v115, v85
	v_mul_f32_e32 v107, 0x3fb8aa3b, v70
	v_fma_f32 v112, 0x3fb8aa3b, v80, -v84
	v_sub_f32_e32 v84, v84, v113
	s_waitcnt lgkmcnt(0)
	v_dual_max_f32 v86, v86, v86 :: v_dual_fmac_f32 v109, 0x32a5705f, v69
	v_fma_f32 v118, 0x3fb8aa3b, v66, -v105
	v_dual_sub_f32 v71, v71, v2 :: v_dual_mul_f32 v104, 0x3fb8aa3b, v73
	s_delay_alu instid0(VALU_DEP_3) | instskip(SKIP_1) | instid1(VALU_DEP_3)
	v_dual_max_f32 v68, v68, v86 :: v_dual_mul_f32 v83, 0x3fb8aa3b, v81
	v_rndne_f32_e32 v86, v82
	v_mul_f32_e32 v106, 0x3fb8aa3b, v71
	v_rndne_f32_e32 v119, v105
	ds_bpermute_b32 v6, v6, v68
	v_fma_f32 v110, 0x3fb8aa3b, v81, -v83
	v_rndne_f32_e32 v111, v83
	v_dual_sub_f32 v82, v82, v86 :: v_dual_sub_f32 v105, v105, v119
	v_fma_f32 v114, 0x3fb8aa3b, v65, -v85
	s_delay_alu instid0(VALU_DEP_3) | instskip(NEXT) | instid1(VALU_DEP_3)
	v_dual_fmac_f32 v110, 0x32a5705f, v81 :: v_dual_sub_f32 v83, v83, v111
	v_add_f32_e32 v82, v82, v109
	v_fmac_f32_e32 v112, 0x32a5705f, v80
	v_cvt_i32_f32_e32 v86, v86
	v_fma_f32 v116, 0x3fb8aa3b, v73, -v104
	v_add_f32_e32 v83, v83, v110
	v_exp_f32_e32 v82, v82
	v_rndne_f32_e32 v117, v104
	v_cvt_i32_f32_e32 v111, v111
	v_add_f32_e32 v84, v84, v112
	v_exp_f32_e32 v83, v83
	v_cmp_ngt_f32_e32 vcc_lo, 0xc2ce8ed0, v69
	v_cvt_i32_f32_e32 v113, v113
	s_waitcnt lgkmcnt(0)
	v_max_f32_e32 v6, v6, v6
	v_fma_f32 v120, 0x3fb8aa3b, v71, -v106
	v_rndne_f32_e32 v121, v106
	v_ldexp_f32 v82, v82, v86
	v_fma_f32 v124, 0x3fb8aa3b, v67, -v108
	v_max_f32_e32 v6, v68, v6
	v_sub_f32_e32 v68, v85, v115
	v_fma_f32 v122, 0x3fb8aa3b, v70, -v107
	v_rndne_f32_e32 v123, v107
	v_ldexp_f32 v83, v83, v111
	ds_bpermute_b32 v5, v5, v6
	v_cndmask_b32_e32 v82, 0, v82, vcc_lo
	v_cmp_ngt_f32_e32 vcc_lo, 0xc2ce8ed0, v81
	v_dual_sub_f32 v104, v104, v117 :: v_dual_sub_f32 v107, v107, v123
	v_cvt_i32_f32_e32 v85, v115
	v_cvt_i32_f32_e32 v115, v117
	v_cndmask_b32_e32 v83, 0, v83, vcc_lo
	v_cmp_ngt_f32_e32 vcc_lo, 0xc2ce8ed0, v80
	v_cvt_i32_f32_e32 v117, v119
	v_rndne_f32_e32 v125, v108
	v_fmac_f32_e32 v124, 0x32a5705f, v67
	v_cvt_i32_f32_e32 v119, v121
	s_mul_hi_i32 s19, s18, s10
	s_mul_i32 s18, s18, s10
	s_delay_alu instid0(SALU_CYCLE_1) | instskip(NEXT) | instid1(SALU_CYCLE_1)
	s_lshl_b64 s[18:19], s[18:19], 2
	s_add_u32 s18, s11, s18
	s_addc_u32 s19, s15, s19
	s_waitcnt lgkmcnt(0)
	v_dual_max_f32 v5, v5, v5 :: v_dual_fmac_f32 v118, 0x32a5705f, v66
	s_delay_alu instid0(VALU_DEP_1) | instskip(NEXT) | instid1(VALU_DEP_2)
	v_max_f32_e32 v5, v6, v5
	v_dual_fmac_f32 v114, 0x32a5705f, v65 :: v_dual_add_f32 v105, v105, v118
	v_exp_f32_e32 v6, v84
	ds_bpermute_b32 v4, v4, v5
	v_add_f32_e32 v68, v68, v114
	s_delay_alu instid0(VALU_DEP_1) | instskip(SKIP_1) | instid1(VALU_DEP_1)
	v_exp_f32_e32 v68, v68
	v_ldexp_f32 v6, v6, v113
	v_cndmask_b32_e32 v6, 0, v6, vcc_lo
	v_cmp_ngt_f32_e32 vcc_lo, 0xc2ce8ed0, v65
	s_waitcnt_depctr 0xfff
	v_ldexp_f32 v68, v68, v85
	s_waitcnt lgkmcnt(0)
	v_max_f32_e32 v4, v4, v4
	s_delay_alu instid0(VALU_DEP_2) | instskip(SKIP_1) | instid1(VALU_DEP_3)
	v_cndmask_b32_e32 v68, 0, v68, vcc_lo
	v_cmp_ngt_f32_e32 vcc_lo, 0xc2ce8ed0, v73
	v_max_f32_e32 v4, v5, v4
	ds_bpermute_b32 v3, v3, v4
	s_waitcnt lgkmcnt(0)
	v_dual_fmac_f32 v122, 0x32a5705f, v70 :: v_dual_max_f32 v3, v3, v3
	s_delay_alu instid0(VALU_DEP_1) | instskip(NEXT) | instid1(VALU_DEP_2)
	v_dual_fmac_f32 v116, 0x32a5705f, v73 :: v_dual_add_f32 v107, v107, v122
	v_max_f32_e32 v3, v4, v3
	s_delay_alu instid0(VALU_DEP_1) | instskip(NEXT) | instid1(VALU_DEP_1)
	v_dual_add_f32 v104, v104, v116 :: v_dual_sub_f32 v7, v7, v3
	v_exp_f32_e32 v84, v104
	v_exp_f32_e32 v104, v105
	v_dual_sub_f32 v108, v108, v125 :: v_dual_sub_f32 v79, v79, v3
	v_sub_f32_e32 v64, v64, v3
	s_delay_alu instid0(VALU_DEP_2) | instskip(SKIP_3) | instid1(VALU_DEP_2)
	v_add_f32_e32 v108, v108, v124
	s_waitcnt_depctr 0xfff
	v_ldexp_f32 v84, v84, v115
	v_ldexp_f32 v85, v104, v117
	v_cndmask_b32_e32 v84, 0, v84, vcc_lo
	v_cmp_ngt_f32_e32 vcc_lo, 0xc2ce8ed0, v66
	s_delay_alu instid0(VALU_DEP_3) | instskip(SKIP_3) | instid1(VALU_DEP_2)
	v_dual_fmac_f32 v120, 0x32a5705f, v71 :: v_dual_cndmask_b32 v5, 0, v85
	v_cmp_ngt_f32_e32 vcc_lo, 0xc2ce8ed0, v71
	v_sub_f32_e32 v106, v106, v121
	v_cvt_i32_f32_e32 v121, v123
	v_add_f32_e32 v106, v106, v120
	s_delay_alu instid0(VALU_DEP_1) | instskip(SKIP_3) | instid1(TRANS32_DEP_3)
	v_exp_f32_e32 v105, v106
	v_exp_f32_e32 v106, v107
	;; [unrolled: 1-line block ×3, first 2 shown]
	v_cvt_i32_f32_e32 v108, v125
	v_ldexp_f32 v86, v105, v119
	s_waitcnt_depctr 0xfff
	v_ldexp_f32 v104, v106, v121
	v_ldexp_f32 v105, v107, v108
	v_mul_f32_e32 v107, 0x3fb8aa3b, v64
	v_cndmask_b32_e32 v85, 0, v86, vcc_lo
	v_cmp_ngt_f32_e32 vcc_lo, 0xc2ce8ed0, v70
	v_cndmask_b32_e32 v86, 0, v104, vcc_lo
	v_cmp_ngt_f32_e32 vcc_lo, 0xc2ce8ed0, v67
	v_cndmask_b32_e32 v104, 0, v105, vcc_lo
	v_cmp_nlt_f32_e32 vcc_lo, 0x42b17218, v69
	v_cndmask_b32_e32 v69, 0x7f800000, v82, vcc_lo
	v_cmp_nlt_f32_e32 vcc_lo, 0x42b17218, v81
	;; [unrolled: 2-line block ×3, first 2 shown]
	s_delay_alu instid0(VALU_DEP_4) | instskip(NEXT) | instid1(VALU_DEP_3)
	v_cvt_f16_f32_e32 v80, v69
	v_cvt_f16_f32_e32 v4, v81
	v_cndmask_b32_e32 v6, 0x7f800000, v6, vcc_lo
	v_cmp_nlt_f32_e32 vcc_lo, 0x42b17218, v65
	s_delay_alu instid0(VALU_DEP_2) | instskip(SKIP_1) | instid1(VALU_DEP_2)
	v_dual_cndmask_b32 v65, 0x7f800000, v68 :: v_dual_add_f32 v68, v6, v69
	v_cmp_nlt_f32_e32 vcc_lo, 0x42b17218, v73
	v_dual_fmac_f32 v68, v11, v65 :: v_dual_cndmask_b32 v73, 0x7f800000, v84
	v_cmp_nlt_f32_e32 vcc_lo, 0x42b17218, v66
	s_delay_alu instid0(VALU_DEP_2)
	v_add_f32_e32 v69, v81, v73
	v_cndmask_b32_e32 v5, 0x7f800000, v5, vcc_lo
	v_cmp_nlt_f32_e32 vcc_lo, 0x42b17218, v71
	v_mul_f32_e32 v81, 0x3fb8aa3b, v79
	v_mul_f32_e32 v82, 0x3fb8aa3b, v7
	v_cvt_f16_f32_e32 v73, v73
	v_fmac_f32_e32 v69, v10, v5
	v_cndmask_b32_e32 v66, 0x7f800000, v85, vcc_lo
	v_cmp_nlt_f32_e32 vcc_lo, 0x42b17218, v70
	v_fma_f32 v83, 0x3fb8aa3b, v79, -v81
	v_rndne_f32_e32 v84, v81
	v_fma_f32 v85, 0x3fb8aa3b, v7, -v82
	v_cvt_f16_f32_e32 v105, v5
	v_cndmask_b32_e32 v71, 0x7f800000, v86, vcc_lo
	v_rndne_f32_e32 v86, v82
	v_fmac_f32_e32 v83, 0x32a5705f, v79
	v_sub_f32_e32 v81, v81, v84
	v_cmp_nlt_f32_e32 vcc_lo, 0x42b17218, v67
	s_delay_alu instid0(VALU_DEP_4) | instskip(NEXT) | instid1(VALU_DEP_3)
	v_dual_fmac_f32 v85, 0x32a5705f, v7 :: v_dual_sub_f32 v82, v82, v86
	v_dual_add_f32 v70, v71, v66 :: v_dual_add_f32 v11, v81, v83
	v_cndmask_b32_e32 v67, 0x7f800000, v104, vcc_lo
	v_cvt_f16_f32_e32 v104, v65
	s_delay_alu instid0(VALU_DEP_4)
	v_add_f32_e32 v81, v82, v85
	v_rndne_f32_e32 v82, v107
	v_exp_f32_e32 v11, v11
	v_fma_f32 v65, 0x3fb8aa3b, v64, -v107
	v_pk_mul_f16 v108, v104, v63 op_sel_hi:[0,1]
	v_exp_f32_e32 v63, v81
	v_sub_f32_e32 v81, v107, v82
	v_pk_mul_f16 v107, v104, v61 op_sel_hi:[0,1]
	v_cvt_i32_f32_e32 v61, v84
	v_cmp_ngt_f32_e32 vcc_lo, 0xc2ce8ed0, v79
	v_pk_mul_f16 v109, v104, v62 op_sel_hi:[0,1]
	v_cvt_i32_f32_e32 v62, v86
	v_pk_mul_f16 v110, v105, v60 op_sel_hi:[0,1]
	v_ldexp_f32 v5, v11, v61
	v_cvt_i32_f32_e32 v60, v82
	v_cvt_f16_f32_e32 v71, v71
	v_ldexp_f32 v10, v63, v62
	s_delay_alu instid0(VALU_DEP_4)
	v_dual_fmac_f32 v70, v9, v67 :: v_dual_cndmask_b32 v5, 0, v5
	v_fmac_f32_e32 v65, 0x32a5705f, v64
	v_cmp_ngt_f32_e32 vcc_lo, 0xc2ce8ed0, v7
	v_cvt_f16_f32_e32 v106, v67
	v_pk_mul_f16 v58, v105, v58 op_sel_hi:[0,1]
	v_pk_mul_f16 v57, v105, v57 op_sel_hi:[0,1]
	v_dual_add_f32 v65, v81, v65 :: v_dual_cndmask_b32 v10, 0, v10
	v_cmp_nlt_f32_e32 vcc_lo, 0x42b17218, v79
	v_cvt_f16_f32_e32 v6, v6
	v_pk_mul_f16 v55, v106, v55 op_sel_hi:[0,1]
	s_delay_alu instid0(VALU_DEP_4)
	v_exp_f32_e32 v11, v65
	v_pk_mul_f16 v53, v106, v53 op_sel_hi:[0,1]
	v_cndmask_b32_e32 v65, 0x7f800000, v5, vcc_lo
	v_cmp_nlt_f32_e32 vcc_lo, 0x42b17218, v7
	v_pack_b32_f16 v4, v6, v4
	v_pack_b32_f16 v6, v80, v73
	v_pk_mul_f16 v54, v106, v54 op_sel_hi:[0,1]
	v_cvt_f16_f32_e32 v7, v65
	v_cndmask_b32_e32 v10, 0x7f800000, v10, vcc_lo
	v_cmp_ngt_f32_e32 vcc_lo, 0xc2ce8ed0, v64
	v_ldexp_f32 v5, v11, v60
	s_delay_alu instid0(VALU_DEP_3) | instskip(NEXT) | instid1(VALU_DEP_2)
	v_cvt_f16_f32_e32 v11, v10
	v_cndmask_b32_e32 v60, 0, v5, vcc_lo
	v_pack_b32_f16 v5, v71, v7
	v_add_f32_e32 v71, v65, v10
	v_cvt_f16_f32_e32 v66, v66
	v_cmp_nlt_f32_e32 vcc_lo, 0x42b17218, v64
	s_delay_alu instid0(VALU_DEP_2)
	v_pack_b32_f16 v7, v66, v11
	v_cndmask_b32_e32 v9, 0x7f800000, v60, vcc_lo
	ds_store_2addr_b64 v87, v[4:5], v[6:7] offset1:32
	s_waitcnt vmcnt(3)
	ds_store_b128 v43, v[88:91]
	s_waitcnt vmcnt(2)
	ds_store_b128 v44, v[92:95]
	;; [unrolled: 2-line block ×4, first 2 shown]
	s_waitcnt lgkmcnt(0)
	s_barrier
	buffer_gl0_inv
	ds_load_2addr_b64 v[4:7], v42 offset1:32
	ds_load_b128 v[60:63], v41
	v_cvt_f16_f32_e32 v10, v9
	v_fmac_f32_e32 v71, v8, v9
	v_add_co_u32 v183, vcc_lo, s18, v23
	v_add_co_ci_u32_e32 v184, vcc_lo, s19, v24, vcc_lo
	s_delay_alu instid0(VALU_DEP_4)
	v_pk_mul_f16 v73, v10, v50 op_sel_hi:[0,1]
	v_pk_mul_f16 v103, v10, v51 op_sel_hi:[0,1]
	;; [unrolled: 1-line block ×4, first 2 shown]
	ds_load_b128 v[8:11], v41 offset:16
	ds_load_b128 v[48:51], v41 offset:32
	;; [unrolled: 1-line block ×3, first 2 shown]
	ds_load_2addr_b64 v[79:82], v42 offset0:64 offset1:96
	ds_load_2addr_b64 v[83:86], v42 offset0:128 offset1:160
	ds_load_2addr_b64 v[87:90], v42 offset0:192 offset1:224
	ds_load_2addr_b64 v[91:94], v72 offset1:32
	ds_load_2addr_b64 v[95:98], v72 offset0:64 offset1:96
	ds_load_2addr_b64 v[99:102], v72 offset0:128 offset1:160
	v_add_co_u32 v185, vcc_lo, s18, v25
	v_add_co_ci_u32_e32 v186, vcc_lo, s19, v26, vcc_lo
	v_add_co_u32 v183, vcc_lo, v183, v40
	v_add_co_ci_u32_e32 v184, vcc_lo, 0, v184, vcc_lo
	s_waitcnt lgkmcnt(9)
	v_pk_mul_f16 v113, v4, v60 op_sel_hi:[1,0]
	v_pk_mul_f16 v114, v4, v60 op_sel:[0,1]
	v_pk_mul_f16 v115, v4, v61 op_sel_hi:[1,0]
	v_pk_fma_f16 v4, v4, v61, v73 op_sel:[0,1,0]
	v_pk_fma_f16 v73, v5, v60, v108 op_sel_hi:[1,0,1]
	v_pk_fma_f16 v108, v5, v60, v110 op_sel:[0,1,0]
	v_pk_fma_f16 v55, v5, v61, v55 op_sel_hi:[1,0,1]
	v_pk_fma_f16 v5, v5, v61, v103 op_sel:[0,1,0]
	v_pk_fma_f16 v103, v6, v60, v107 op_sel_hi:[1,0,1]
	v_pk_fma_f16 v58, v6, v60, v58 op_sel:[0,1,0]
	v_pk_fma_f16 v53, v6, v61, v53 op_sel_hi:[1,0,1]
	v_pk_fma_f16 v6, v6, v61, v111 op_sel:[0,1,0]
	v_pk_fma_f16 v107, v7, v60, v109 op_sel_hi:[1,0,1]
	v_pk_fma_f16 v57, v7, v60, v57 op_sel:[0,1,0]
	v_pk_fma_f16 v54, v7, v61, v54 op_sel_hi:[1,0,1]
	v_pk_fma_f16 v7, v7, v61, v112 op_sel:[0,1,0]
	v_pk_fma_f16 v59, v104, v59, v113 op_sel_hi:[0,1,1]
	v_pk_fma_f16 v56, v105, v56, v114 op_sel_hi:[0,1,1]
	v_pk_fma_f16 v52, v106, v52, v115 op_sel_hi:[0,1,1]
	s_waitcnt lgkmcnt(5)
	v_pk_fma_f16 v4, v79, v63, v4 op_sel:[0,1,0]
	v_pk_fma_f16 v60, v80, v62, v73 op_sel_hi:[1,0,1]
	v_pk_fma_f16 v61, v80, v62, v108 op_sel:[0,1,0]
	v_pk_fma_f16 v55, v80, v63, v55 op_sel_hi:[1,0,1]
	v_pk_fma_f16 v5, v80, v63, v5 op_sel:[0,1,0]
	v_pk_fma_f16 v73, v81, v62, v103 op_sel_hi:[1,0,1]
	v_pk_fma_f16 v58, v81, v62, v58 op_sel:[0,1,0]
	v_pk_fma_f16 v6, v81, v63, v6 op_sel:[0,1,0]
	v_pk_fma_f16 v80, v82, v62, v107 op_sel_hi:[1,0,1]
	v_pk_fma_f16 v57, v82, v62, v57 op_sel:[0,1,0]
	v_pk_fma_f16 v7, v82, v63, v7 op_sel:[0,1,0]
	v_pk_fma_f16 v59, v79, v62, v59 op_sel_hi:[1,0,1]
	v_pk_fma_f16 v56, v79, v62, v56 op_sel:[0,1,0]
	v_pk_fma_f16 v53, v81, v63, v53 op_sel_hi:[1,0,1]
	v_pk_fma_f16 v54, v82, v63, v54 op_sel_hi:[1,0,1]
	v_pk_fma_f16 v52, v79, v63, v52 op_sel_hi:[1,0,1]
	s_waitcnt lgkmcnt(4)
	v_pk_fma_f16 v4, v83, v9, v4 op_sel:[0,1,0]
	v_pk_fma_f16 v60, v84, v8, v60 op_sel_hi:[1,0,1]
	v_pk_fma_f16 v61, v84, v8, v61 op_sel:[0,1,0]
	v_pk_fma_f16 v55, v84, v9, v55 op_sel_hi:[1,0,1]
	v_pk_fma_f16 v5, v84, v9, v5 op_sel:[0,1,0]
	v_pk_fma_f16 v62, v85, v8, v73 op_sel_hi:[1,0,1]
	v_pk_fma_f16 v58, v85, v8, v58 op_sel:[0,1,0]
	v_pk_fma_f16 v6, v85, v9, v6 op_sel:[0,1,0]
	v_pk_fma_f16 v63, v86, v8, v80 op_sel_hi:[1,0,1]
	v_pk_fma_f16 v57, v86, v8, v57 op_sel:[0,1,0]
	v_pk_fma_f16 v7, v86, v9, v7 op_sel:[0,1,0]
	v_pk_fma_f16 v59, v83, v8, v59 op_sel_hi:[1,0,1]
	v_pk_fma_f16 v8, v83, v8, v56 op_sel:[0,1,0]
	v_pk_fma_f16 v53, v85, v9, v53 op_sel_hi:[1,0,1]
	;; [unrolled: 17-line block ×3, first 2 shown]
	v_pk_fma_f16 v54, v90, v11, v54 op_sel_hi:[1,0,1]
	v_pk_fma_f16 v9, v87, v11, v9 op_sel_hi:[1,0,1]
	s_waitcnt lgkmcnt(2)
	v_pk_fma_f16 v4, v91, v49, v4 op_sel:[0,1,0]
	v_pk_fma_f16 v10, v92, v48, v52 op_sel_hi:[1,0,1]
	v_pk_fma_f16 v11, v92, v48, v56 op_sel:[0,1,0]
	v_pk_fma_f16 v52, v92, v49, v55 op_sel_hi:[1,0,1]
	;; [unrolled: 2-line block ×3, first 2 shown]
	v_pk_fma_f16 v56, v93, v48, v58 op_sel:[0,1,0]
	v_pk_fma_f16 v6, v93, v49, v6 op_sel:[0,1,0]
	v_pk_fma_f16 v58, v94, v48, v61 op_sel_hi:[1,0,1]
	v_pk_fma_f16 v57, v94, v48, v57 op_sel:[0,1,0]
	v_pk_fma_f16 v59, v91, v48, v59 op_sel_hi:[1,0,1]
	v_pk_fma_f16 v8, v91, v48, v8 op_sel:[0,1,0]
	v_pk_fma_f16 v7, v94, v49, v7 op_sel:[0,1,0]
	v_pk_fma_f16 v53, v93, v49, v53 op_sel_hi:[1,0,1]
	v_pk_fma_f16 v54, v94, v49, v54 op_sel_hi:[1,0,1]
	;; [unrolled: 1-line block ×3, first 2 shown]
	s_waitcnt lgkmcnt(1)
	v_pk_fma_f16 v48, v95, v51, v4 op_sel:[0,1,0]
	v_pk_fma_f16 v49, v95, v50, v59 op_sel_hi:[1,0,1]
	v_pk_fma_f16 v8, v95, v50, v8 op_sel:[0,1,0]
	v_pk_fma_f16 v10, v96, v50, v10 op_sel_hi:[1,0,1]
	v_pk_fma_f16 v11, v96, v50, v11 op_sel:[0,1,0]
	v_pk_fma_f16 v59, v96, v51, v5 op_sel:[0,1,0]
	v_pk_fma_f16 v55, v97, v50, v55 op_sel_hi:[1,0,1]
	v_pk_fma_f16 v56, v97, v50, v56 op_sel:[0,1,0]
	;; [unrolled: 3-line block ×3, first 2 shown]
	v_pk_fma_f16 v57, v98, v51, v7 op_sel:[0,1,0]
	ds_load_2addr_b64 v[4:7], v72 offset0:192 offset1:224
	v_pk_fma_f16 v9, v95, v51, v9 op_sel_hi:[1,0,1]
	v_pk_fma_f16 v52, v96, v51, v52 op_sel_hi:[1,0,1]
	;; [unrolled: 1-line block ×4, first 2 shown]
	s_waitcnt lgkmcnt(1)
	v_pk_fma_f16 v61, v99, v64, v49 op_sel_hi:[1,0,1]
	v_add_nc_u32_e32 v49, 0x1000, v42
	v_pk_fma_f16 v62, v99, v64, v8 op_sel:[0,1,0]
	v_pk_fma_f16 v63, v99, v65, v9 op_sel_hi:[1,0,1]
	v_pk_fma_f16 v73, v100, v64, v10 op_sel_hi:[1,0,1]
	v_pk_fma_f16 v79, v100, v64, v11 op_sel:[0,1,0]
	v_pk_fma_f16 v80, v100, v65, v52 op_sel_hi:[1,0,1]
	v_pk_fma_f16 v55, v101, v64, v55 op_sel_hi:[1,0,1]
	;; [unrolled: 3-line block ×3, first 2 shown]
	v_pk_fma_f16 v64, v102, v64, v50 op_sel:[0,1,0]
	v_pk_fma_f16 v54, v102, v65, v54 op_sel_hi:[1,0,1]
	ds_load_2addr_b64 v[8:11], v49 offset1:32
	ds_load_b128 v[50:53], v41 offset:64
	v_pk_fma_f16 v48, v99, v65, v48 op_sel:[0,1,0]
	v_pk_fma_f16 v59, v100, v65, v59 op_sel:[0,1,0]
	;; [unrolled: 1-line block ×4, first 2 shown]
	s_waitcnt lgkmcnt(2)
	v_pk_fma_f16 v61, v4, v66, v61 op_sel_hi:[1,0,1]
	v_pk_fma_f16 v62, v4, v66, v62 op_sel:[0,1,0]
	v_pk_fma_f16 v73, v5, v66, v73 op_sel_hi:[1,0,1]
	v_pk_fma_f16 v79, v5, v66, v79 op_sel:[0,1,0]
	;; [unrolled: 2-line block ×4, first 2 shown]
	v_pk_fma_f16 v66, v7, v67, v54 op_sel_hi:[1,0,1]
	ds_load_2addr_b64 v[54:57], v49 offset0:64 offset1:96
	v_pk_fma_f16 v63, v4, v67, v63 op_sel_hi:[1,0,1]
	v_pk_fma_f16 v48, v4, v67, v48 op_sel:[0,1,0]
	v_pk_fma_f16 v80, v5, v67, v80 op_sel_hi:[1,0,1]
	v_pk_fma_f16 v59, v5, v67, v59 op_sel:[0,1,0]
	;; [unrolled: 2-line block ×3, first 2 shown]
	v_pk_fma_f16 v65, v7, v67, v65 op_sel:[0,1,0]
	ds_load_b128 v[4:7], v41 offset:80
	s_waitcnt lgkmcnt(2)
	v_pk_fma_f16 v67, v8, v50, v61 op_sel_hi:[1,0,1]
	v_pk_fma_f16 v62, v8, v50, v62 op_sel:[0,1,0]
	v_pk_fma_f16 v63, v8, v51, v63 op_sel_hi:[1,0,1]
	v_pk_fma_f16 v8, v8, v51, v48 op_sel:[0,1,0]
	;; [unrolled: 2-line block ×6, first 2 shown]
	v_pk_fma_f16 v83, v11, v50, v58 op_sel_hi:[1,0,1]
	ds_load_2addr_b64 v[58:61], v49 offset0:128 offset1:160
	v_pk_fma_f16 v50, v11, v50, v64 op_sel:[0,1,0]
	v_pk_fma_f16 v64, v11, v51, v66 op_sel_hi:[1,0,1]
	v_pk_fma_f16 v51, v11, v51, v65 op_sel:[0,1,0]
	s_waitcnt lgkmcnt(2)
	v_pk_fma_f16 v65, v54, v52, v67 op_sel_hi:[1,0,1]
	v_pk_fma_f16 v62, v54, v52, v62 op_sel:[0,1,0]
	v_pk_fma_f16 v63, v54, v53, v63 op_sel_hi:[1,0,1]
	v_pk_fma_f16 v54, v54, v53, v8 op_sel:[0,1,0]
	;; [unrolled: 2-line block ×6, first 2 shown]
	ds_load_2addr_b64 v[8:11], v49 offset0:192 offset1:224
	v_add_co_u32 v187, vcc_lo, v185, v40
	v_add_co_ci_u32_e32 v188, vcc_lo, 0, v186, vcc_lo
	v_add_co_u32 v185, vcc_lo, s18, v27
	v_add_co_ci_u32_e32 v186, vcc_lo, s19, v28, vcc_lo
	v_pk_fma_f16 v81, v57, v52, v83 op_sel_hi:[1,0,1]
	v_pk_fma_f16 v50, v57, v52, v50 op_sel:[0,1,0]
	v_pk_fma_f16 v52, v57, v53, v64 op_sel_hi:[1,0,1]
	v_pk_fma_f16 v51, v57, v53, v51 op_sel:[0,1,0]
	s_waitcnt lgkmcnt(1)
	v_pk_fma_f16 v53, v58, v4, v65 op_sel_hi:[1,0,1]
	v_pk_fma_f16 v57, v58, v4, v62 op_sel:[0,1,0]
	v_pk_fma_f16 v62, v58, v5, v63 op_sel_hi:[1,0,1]
	v_pk_fma_f16 v54, v58, v5, v54 op_sel:[0,1,0]
	v_pk_fma_f16 v48, v59, v4, v48 op_sel_hi:[1,0,1]
	v_add_co_u32 v189, vcc_lo, s18, v29
	v_add_co_ci_u32_e32 v190, vcc_lo, s19, v30, vcc_lo
	v_add_co_u32 v191, vcc_lo, v185, v40
	v_pk_fma_f16 v199, v59, v4, v66 op_sel:[0,1,0]
	v_pk_fma_f16 v67, v59, v5, v67 op_sel_hi:[1,0,1]
	v_pk_fma_f16 v200, v59, v5, v55 op_sel:[0,1,0]
	v_pk_fma_f16 v73, v60, v4, v73 op_sel_hi:[1,0,1]
	;; [unrolled: 2-line block ×5, first 2 shown]
	v_pk_fma_f16 v207, v61, v5, v51 op_sel:[0,1,0]
	s_waitcnt lgkmcnt(0)
	v_pk_fma_f16 v208, v8, v6, v53 op_sel_hi:[1,0,1]
	v_add_nc_u32_e32 v50, 0x1800, v42
	v_pk_fma_f16 v209, v8, v6, v57 op_sel:[0,1,0]
	v_pk_fma_f16 v210, v8, v7, v62 op_sel_hi:[1,0,1]
	v_pk_fma_f16 v211, v8, v7, v54 op_sel:[0,1,0]
	v_pk_fma_f16 v212, v9, v6, v48 op_sel_hi:[1,0,1]
	v_add_nc_u32_e32 v48, 0x2000, v42
	v_add_nc_u32_e32 v8, 0x2800, v42
	;; [unrolled: 1-line block ×4, first 2 shown]
	v_add_co_ci_u32_e32 v192, vcc_lo, 0, v186, vcc_lo
	v_add_co_u32 v195, vcc_lo, v189, v40
	v_add_co_ci_u32_e32 v196, vcc_lo, 0, v190, vcc_lo
	ds_load_2addr_b64 v[51:54], v50 offset1:32
	ds_load_2addr_b64 v[55:58], v50 offset0:64 offset1:96
	ds_load_2addr_b64 v[59:62], v50 offset0:128 offset1:160
	ds_load_b128 v[63:66], v41 offset:96
	ds_load_b128 v[79:82], v41 offset:112
	ds_load_2addr_b64 v[83:86], v50 offset0:192 offset1:224
	ds_load_2addr_b64 v[87:90], v48 offset1:32
	ds_load_2addr_b64 v[91:94], v48 offset0:64 offset1:96
	ds_load_2addr_b64 v[95:98], v48 offset0:128 offset1:160
	ds_load_b128 v[99:102], v41 offset:128
	ds_load_b128 v[103:106], v41 offset:144
	ds_load_2addr_b64 v[107:110], v48 offset0:192 offset1:224
	;; [unrolled: 6-line block ×5, first 2 shown]
	s_waitcnt lgkmcnt(0)
	s_barrier
	buffer_gl0_inv
	s_clause 0x3
	global_load_b128 v[183:186], v[183:184], off
	global_load_b128 v[187:190], v[187:188], off
	;; [unrolled: 1-line block ×4, first 2 shown]
	v_pk_fma_f16 v199, v9, v6, v199 op_sel:[0,1,0]
	v_pk_fma_f16 v67, v9, v7, v67 op_sel_hi:[1,0,1]
	v_pk_fma_f16 v9, v9, v7, v200 op_sel:[0,1,0]
	v_pk_fma_f16 v73, v10, v6, v73 op_sel_hi:[1,0,1]
	;; [unrolled: 2-line block ×20, first 2 shown]
	v_pk_fma_f16 v57, v58, v66, v63 op_sel_hi:[1,0,1]
	v_pk_fma_f16 v6, v58, v65, v6 op_sel:[0,1,0]
	v_pk_fma_f16 v7, v58, v66, v7 op_sel:[0,1,0]
	;; [unrolled: 1-line block ×3, first 2 shown]
	v_pk_fma_f16 v58, v59, v80, v64 op_sel_hi:[1,0,1]
	v_pk_fma_f16 v51, v59, v80, v51 op_sel:[0,1,0]
	v_pk_fma_f16 v55, v60, v79, v55 op_sel_hi:[1,0,1]
	v_pk_fma_f16 v52, v61, v79, v52 op_sel_hi:[1,0,1]
	v_pk_fma_f16 v56, v61, v79, v56 op_sel:[0,1,0]
	v_pk_fma_f16 v53, v62, v79, v53 op_sel_hi:[1,0,1]
	v_pk_fma_f16 v57, v62, v80, v57 op_sel_hi:[1,0,1]
	;; [unrolled: 1-line block ×3, first 2 shown]
	v_pk_fma_f16 v59, v60, v79, v199 op_sel:[0,1,0]
	v_pk_fma_f16 v63, v60, v80, v67 op_sel_hi:[1,0,1]
	v_pk_fma_f16 v9, v60, v80, v9 op_sel:[0,1,0]
	v_pk_fma_f16 v60, v61, v80, v73 op_sel_hi:[1,0,1]
	;; [unrolled: 2-line block ×4, first 2 shown]
	v_pk_fma_f16 v52, v85, v81, v52 op_sel_hi:[1,0,1]
	v_pk_fma_f16 v56, v85, v81, v56 op_sel:[0,1,0]
	v_pk_fma_f16 v53, v86, v81, v53 op_sel_hi:[1,0,1]
	v_pk_fma_f16 v57, v86, v82, v57 op_sel_hi:[1,0,1]
	v_pk_fma_f16 v10, v61, v80, v10 op_sel:[0,1,0]
	v_pk_fma_f16 v59, v84, v81, v59 op_sel:[0,1,0]
	v_pk_fma_f16 v61, v84, v82, v63 op_sel_hi:[1,0,1]
	v_pk_fma_f16 v60, v85, v82, v60 op_sel_hi:[1,0,1]
	v_pk_fma_f16 v54, v87, v99, v54 op_sel:[0,1,0]
	v_pk_fma_f16 v58, v87, v100, v58 op_sel_hi:[1,0,1]
	v_pk_fma_f16 v51, v87, v100, v51 op_sel:[0,1,0]
	v_pk_fma_f16 v55, v88, v99, v55 op_sel_hi:[1,0,1]
	v_pk_fma_f16 v52, v89, v99, v52 op_sel_hi:[1,0,1]
	v_pk_fma_f16 v56, v89, v99, v56 op_sel:[0,1,0]
	v_pk_fma_f16 v53, v90, v99, v53 op_sel_hi:[1,0,1]
	v_pk_fma_f16 v57, v90, v100, v57 op_sel_hi:[1,0,1]
	v_pk_fma_f16 v59, v88, v99, v59 op_sel:[0,1,0]
	v_pk_fma_f16 v61, v88, v100, v61 op_sel_hi:[1,0,1]
	v_pk_fma_f16 v60, v89, v100, v60 op_sel_hi:[1,0,1]
	v_pk_fma_f16 v6, v62, v79, v6 op_sel:[0,1,0]
	v_pk_fma_f16 v7, v62, v80, v7 op_sel:[0,1,0]
	v_pk_fma_f16 v11, v83, v81, v11 op_sel_hi:[1,0,1]
	v_pk_fma_f16 v9, v84, v82, v9 op_sel:[0,1,0]
	v_pk_fma_f16 v10, v85, v82, v10 op_sel:[0,1,0]
	v_pk_fma_f16 v54, v91, v101, v54 op_sel:[0,1,0]
	v_pk_fma_f16 v58, v91, v102, v58 op_sel_hi:[1,0,1]
	v_pk_fma_f16 v51, v91, v102, v51 op_sel:[0,1,0]
	v_pk_fma_f16 v55, v92, v101, v55 op_sel_hi:[1,0,1]
	v_pk_fma_f16 v52, v93, v101, v52 op_sel_hi:[1,0,1]
	v_pk_fma_f16 v56, v93, v101, v56 op_sel:[0,1,0]
	v_pk_fma_f16 v53, v94, v101, v53 op_sel_hi:[1,0,1]
	v_pk_fma_f16 v57, v94, v102, v57 op_sel_hi:[1,0,1]
	v_pk_fma_f16 v59, v92, v101, v59 op_sel:[0,1,0]
	v_pk_fma_f16 v61, v92, v102, v61 op_sel_hi:[1,0,1]
	v_pk_fma_f16 v60, v93, v102, v60 op_sel_hi:[1,0,1]
	v_pk_fma_f16 v6, v86, v81, v6 op_sel:[0,1,0]
	v_pk_fma_f16 v7, v86, v82, v7 op_sel:[0,1,0]
	v_pk_fma_f16 v11, v87, v99, v11 op_sel_hi:[1,0,1]
	v_pk_fma_f16 v9, v88, v100, v9 op_sel:[0,1,0]
	v_pk_fma_f16 v10, v89, v100, v10 op_sel:[0,1,0]
	;; [unrolled: 16-line block ×14, first 2 shown]
	v_pk_fma_f16 v62, v167, v175, v54 op_sel:[0,1,0]
	v_pk_fma_f16 v63, v167, v176, v58 op_sel_hi:[1,0,1]
	v_pk_fma_f16 v64, v167, v176, v51 op_sel:[0,1,0]
	v_pk_fma_f16 v65, v168, v175, v55 op_sel_hi:[1,0,1]
	v_pk_fma_f16 v66, v169, v175, v52 op_sel_hi:[1,0,1]
	v_pk_fma_f16 v67, v169, v175, v56 op_sel:[0,1,0]
	v_pk_fma_f16 v73, v170, v175, v53 op_sel_hi:[1,0,1]
	v_pk_fma_f16 v79, v170, v176, v57 op_sel_hi:[1,0,1]
	s_waitcnt vmcnt(3)
	ds_store_b128 v43, v[183:186]
	s_waitcnt vmcnt(2)
	ds_store_b128 v44, v[187:190]
	;; [unrolled: 2-line block ×4, first 2 shown]
	s_waitcnt lgkmcnt(0)
	s_barrier
	buffer_gl0_inv
	ds_load_2addr_b64 v[51:54], v42 offset1:32
	ds_load_b128 v[55:58], v41 offset:256
	v_pk_fma_f16 v59, v168, v175, v59 op_sel:[0,1,0]
	v_pk_fma_f16 v61, v168, v176, v61 op_sel_hi:[1,0,1]
	v_pk_fma_f16 v60, v169, v176, v60 op_sel_hi:[1,0,1]
	v_pk_fma_f16 v6, v162, v171, v6 op_sel:[0,1,0]
	v_pk_fma_f16 v7, v162, v172, v7 op_sel:[0,1,0]
	v_pk_fma_f16 v11, v163, v173, v11 op_sel_hi:[1,0,1]
	v_pk_fma_f16 v9, v164, v174, v9 op_sel:[0,1,0]
	v_pk_fma_f16 v10, v165, v174, v10 op_sel:[0,1,0]
	;; [unrolled: 1-line block ×3, first 2 shown]
	v_pk_fma_f16 v88, v179, v178, v63 op_sel_hi:[1,0,1]
	v_pk_fma_f16 v89, v179, v178, v64 op_sel:[0,1,0]
	v_pk_fma_f16 v90, v180, v177, v65 op_sel_hi:[1,0,1]
	v_pk_fma_f16 v91, v180, v177, v59 op_sel:[0,1,0]
	v_pk_fma_f16 v92, v180, v178, v61 op_sel_hi:[1,0,1]
	v_pk_fma_f16 v93, v181, v177, v66 op_sel_hi:[1,0,1]
	;; [unrolled: 1-line block ×4, first 2 shown]
	ds_load_b128 v[59:62], v41 offset:272
	ds_load_2addr_b64 v[63:66], v42 offset0:64 offset1:96
	ds_load_b128 v[79:82], v41 offset:288
	ds_load_b128 v[83:86], v41 offset:304
	v_pk_fma_f16 v6, v166, v173, v6 op_sel:[0,1,0]
	v_pk_fma_f16 v7, v166, v174, v7 op_sel:[0,1,0]
	v_pk_fma_f16 v11, v167, v175, v11 op_sel_hi:[1,0,1]
	v_pk_fma_f16 v9, v168, v176, v9 op_sel:[0,1,0]
	v_pk_fma_f16 v10, v169, v176, v10 op_sel:[0,1,0]
	;; [unrolled: 1-line block ×4, first 2 shown]
	v_pk_fma_f16 v11, v179, v177, v11 op_sel_hi:[1,0,1]
	v_pk_fma_f16 v9, v180, v178, v9 op_sel:[0,1,0]
	v_pk_fma_f16 v67, v181, v177, v67 op_sel:[0,1,0]
	v_pk_fma_f16 v10, v181, v178, v10 op_sel:[0,1,0]
	v_pk_fma_f16 v73, v182, v177, v73 op_sel_hi:[1,0,1]
	v_pk_fma_f16 v6, v182, v177, v6 op_sel:[0,1,0]
	v_pk_fma_f16 v7, v182, v178, v7 op_sel:[0,1,0]
	s_waitcnt lgkmcnt(4)
	v_pk_fma_f16 v11, v51, v55, v11 op_sel_hi:[1,0,1]
	v_pk_fma_f16 v96, v51, v55, v87 op_sel:[0,1,0]
	v_pk_fma_f16 v97, v51, v56, v88 op_sel_hi:[1,0,1]
	v_pk_fma_f16 v51, v51, v56, v89 op_sel:[0,1,0]
	v_pk_fma_f16 v98, v52, v55, v90 op_sel_hi:[1,0,1]
	v_pk_fma_f16 v91, v52, v55, v91 op_sel:[0,1,0]
	v_pk_fma_f16 v92, v52, v56, v92 op_sel_hi:[1,0,1]
	v_pk_fma_f16 v9, v52, v56, v9 op_sel:[0,1,0]
	v_pk_fma_f16 v52, v53, v55, v93 op_sel_hi:[1,0,1]
	v_pk_fma_f16 v67, v53, v55, v67 op_sel:[0,1,0]
	v_pk_fma_f16 v93, v53, v56, v94 op_sel_hi:[1,0,1]
	v_pk_fma_f16 v10, v53, v56, v10 op_sel:[0,1,0]
	v_pk_fma_f16 v53, v54, v55, v73 op_sel_hi:[1,0,1]
	ds_load_2addr_b64 v[87:90], v42 offset0:128 offset1:160
	v_pk_fma_f16 v6, v54, v55, v6 op_sel:[0,1,0]
	v_pk_fma_f16 v55, v54, v56, v95 op_sel_hi:[1,0,1]
	v_pk_fma_f16 v7, v54, v56, v7 op_sel:[0,1,0]
	s_waitcnt lgkmcnt(3)
	v_pk_fma_f16 v11, v63, v57, v11 op_sel_hi:[1,0,1]
	v_pk_fma_f16 v56, v63, v57, v96 op_sel:[0,1,0]
	v_pk_fma_f16 v73, v63, v58, v97 op_sel_hi:[1,0,1]
	v_pk_fma_f16 v63, v63, v58, v51 op_sel:[0,1,0]
	;; [unrolled: 2-line block ×6, first 2 shown]
	v_pk_fma_f16 v65, v66, v57, v53 op_sel_hi:[1,0,1]
	ds_load_2addr_b64 v[51:54], v42 offset0:192 offset1:224
	v_pk_fma_f16 v6, v66, v57, v6 op_sel:[0,1,0]
	v_pk_fma_f16 v95, v66, v58, v55 op_sel_hi:[1,0,1]
	v_pk_fma_f16 v7, v66, v58, v7 op_sel:[0,1,0]
	s_waitcnt lgkmcnt(1)
	v_pk_fma_f16 v11, v87, v59, v11 op_sel_hi:[1,0,1]
	v_pk_fma_f16 v66, v87, v59, v56 op_sel:[0,1,0]
	v_pk_fma_f16 v73, v87, v60, v73 op_sel_hi:[1,0,1]
	v_pk_fma_f16 v63, v87, v60, v63 op_sel:[0,1,0]
	;; [unrolled: 2-line block ×6, first 2 shown]
	v_pk_fma_f16 v65, v90, v59, v65 op_sel_hi:[1,0,1]
	ds_load_2addr_b64 v[55:58], v72 offset1:32
	v_pk_fma_f16 v6, v90, v59, v6 op_sel:[0,1,0]
	v_pk_fma_f16 v59, v90, v60, v95 op_sel_hi:[1,0,1]
	v_pk_fma_f16 v7, v90, v60, v7 op_sel:[0,1,0]
	s_waitcnt lgkmcnt(1)
	v_pk_fma_f16 v11, v51, v61, v11 op_sel_hi:[1,0,1]
	v_pk_fma_f16 v60, v51, v61, v66 op_sel:[0,1,0]
	v_pk_fma_f16 v73, v51, v62, v73 op_sel_hi:[1,0,1]
	v_pk_fma_f16 v51, v51, v62, v63 op_sel:[0,1,0]
	v_pk_fma_f16 v87, v52, v61, v87 op_sel_hi:[1,0,1]
	v_pk_fma_f16 v89, v52, v61, v91 op_sel:[0,1,0]
	v_pk_fma_f16 v90, v52, v62, v92 op_sel_hi:[1,0,1]
	v_pk_fma_f16 v9, v52, v62, v9 op_sel:[0,1,0]
	v_pk_fma_f16 v52, v53, v61, v64 op_sel_hi:[1,0,1]
	v_pk_fma_f16 v67, v53, v61, v67 op_sel:[0,1,0]
	v_pk_fma_f16 v88, v53, v62, v88 op_sel_hi:[1,0,1]
	v_pk_fma_f16 v10, v53, v62, v10 op_sel:[0,1,0]
	v_pk_fma_f16 v53, v54, v61, v65 op_sel_hi:[1,0,1]
	ds_load_2addr_b64 v[63:66], v72 offset0:64 offset1:96
	v_pk_fma_f16 v6, v54, v61, v6 op_sel:[0,1,0]
	v_pk_fma_f16 v59, v54, v62, v59 op_sel_hi:[1,0,1]
	v_pk_fma_f16 v7, v54, v62, v7 op_sel:[0,1,0]
	s_waitcnt lgkmcnt(1)
	v_pk_fma_f16 v11, v55, v79, v11 op_sel_hi:[1,0,1]
	v_pk_fma_f16 v60, v55, v79, v60 op_sel:[0,1,0]
	v_pk_fma_f16 v61, v55, v80, v73 op_sel_hi:[1,0,1]
	v_pk_fma_f16 v55, v55, v80, v51 op_sel:[0,1,0]
	v_pk_fma_f16 v62, v56, v79, v87 op_sel_hi:[1,0,1]
	v_pk_fma_f16 v73, v56, v79, v89 op_sel:[0,1,0]
	v_pk_fma_f16 v87, v56, v80, v90 op_sel_hi:[1,0,1]
	v_pk_fma_f16 v9, v56, v80, v9 op_sel:[0,1,0]
	v_pk_fma_f16 v56, v57, v79, v52 op_sel_hi:[1,0,1]
	v_pk_fma_f16 v67, v57, v79, v67 op_sel:[0,1,0]
	v_pk_fma_f16 v88, v57, v80, v88 op_sel_hi:[1,0,1]
	v_pk_fma_f16 v10, v57, v80, v10 op_sel:[0,1,0]
	v_pk_fma_f16 v57, v58, v79, v53 op_sel_hi:[1,0,1]
	ds_load_2addr_b64 v[51:54], v72 offset0:128 offset1:160
	;; [unrolled: 18-line block ×3, first 2 shown]
	v_pk_fma_f16 v6, v66, v81, v6 op_sel:[0,1,0]
	v_pk_fma_f16 v59, v66, v82, v59 op_sel_hi:[1,0,1]
	v_pk_fma_f16 v7, v66, v82, v7 op_sel:[0,1,0]
	s_waitcnt lgkmcnt(1)
	v_pk_fma_f16 v11, v51, v83, v11 op_sel_hi:[1,0,1]
	v_pk_fma_f16 v72, v51, v83, v60 op_sel:[0,1,0]
	v_pk_fma_f16 v81, v51, v84, v61 op_sel_hi:[1,0,1]
	v_pk_fma_f16 v51, v51, v84, v63 op_sel:[0,1,0]
	;; [unrolled: 2-line block ×7, first 2 shown]
	v_pk_fma_f16 v83, v54, v84, v59 op_sel_hi:[1,0,1]
	ds_load_2addr_b64 v[59:62], v49 offset1:32
	ds_load_b128 v[63:66], v41 offset:320
	v_pk_fma_f16 v7, v54, v84, v7 op_sel:[0,1,0]
	s_waitcnt lgkmcnt(2)
	v_pk_fma_f16 v84, v55, v86, v51 op_sel:[0,1,0]
	v_pk_fma_f16 v87, v57, v85, v52 op_sel_hi:[1,0,1]
	v_pk_fma_f16 v88, v58, v85, v53 op_sel_hi:[1,0,1]
	ds_load_2addr_b64 v[51:54], v49 offset0:64 offset1:96
	v_pk_fma_f16 v11, v55, v85, v11 op_sel_hi:[1,0,1]
	v_pk_fma_f16 v72, v55, v85, v72 op_sel:[0,1,0]
	v_pk_fma_f16 v81, v55, v86, v81 op_sel_hi:[1,0,1]
	v_pk_fma_f16 v82, v56, v85, v82 op_sel_hi:[1,0,1]
	v_pk_fma_f16 v73, v56, v85, v73 op_sel:[0,1,0]
	v_pk_fma_f16 v79, v56, v86, v79 op_sel_hi:[1,0,1]
	v_pk_fma_f16 v9, v56, v86, v9 op_sel:[0,1,0]
	v_pk_fma_f16 v67, v57, v85, v67 op_sel:[0,1,0]
	v_pk_fma_f16 v80, v57, v86, v80 op_sel_hi:[1,0,1]
	v_pk_fma_f16 v10, v57, v86, v10 op_sel:[0,1,0]
	;; [unrolled: 3-line block ×3, first 2 shown]
	ds_load_b128 v[55:58], v41 offset:336
	s_waitcnt lgkmcnt(2)
	v_pk_fma_f16 v11, v59, v63, v11 op_sel_hi:[1,0,1]
	v_pk_fma_f16 v72, v59, v63, v72 op_sel:[0,1,0]
	v_pk_fma_f16 v85, v59, v64, v81 op_sel_hi:[1,0,1]
	v_pk_fma_f16 v59, v59, v64, v84 op_sel:[0,1,0]
	;; [unrolled: 2-line block ×6, first 2 shown]
	v_pk_fma_f16 v61, v62, v63, v88 op_sel_hi:[1,0,1]
	ds_load_2addr_b64 v[79:82], v49 offset0:128 offset1:160
	v_pk_fma_f16 v6, v62, v63, v6 op_sel:[0,1,0]
	v_pk_fma_f16 v63, v62, v64, v83 op_sel_hi:[1,0,1]
	v_pk_fma_f16 v7, v62, v64, v7 op_sel:[0,1,0]
	s_waitcnt lgkmcnt(2)
	v_pk_fma_f16 v11, v51, v65, v11 op_sel_hi:[1,0,1]
	v_pk_fma_f16 v64, v51, v65, v72 op_sel:[0,1,0]
	v_pk_fma_f16 v72, v51, v66, v85 op_sel_hi:[1,0,1]
	v_pk_fma_f16 v51, v51, v66, v59 op_sel:[0,1,0]
	;; [unrolled: 2-line block ×6, first 2 shown]
	v_pk_fma_f16 v53, v54, v65, v61 op_sel_hi:[1,0,1]
	ds_load_2addr_b64 v[59:62], v49 offset0:192 offset1:224
	v_pk_fma_f16 v6, v54, v65, v6 op_sel:[0,1,0]
	v_pk_fma_f16 v63, v54, v66, v63 op_sel_hi:[1,0,1]
	v_pk_fma_f16 v7, v54, v66, v7 op_sel:[0,1,0]
	s_waitcnt lgkmcnt(1)
	v_pk_fma_f16 v11, v79, v55, v11 op_sel_hi:[1,0,1]
	v_pk_fma_f16 v49, v79, v55, v64 op_sel:[0,1,0]
	v_pk_fma_f16 v72, v79, v56, v72 op_sel_hi:[1,0,1]
	v_pk_fma_f16 v79, v79, v56, v51 op_sel:[0,1,0]
	v_pk_fma_f16 v83, v80, v55, v83 op_sel_hi:[1,0,1]
	v_pk_fma_f16 v73, v80, v55, v73 op_sel:[0,1,0]
	v_pk_fma_f16 v84, v80, v56, v84 op_sel_hi:[1,0,1]
	v_pk_fma_f16 v9, v80, v56, v9 op_sel:[0,1,0]
	v_pk_fma_f16 v80, v81, v55, v52 op_sel_hi:[1,0,1]
	v_pk_fma_f16 v67, v81, v55, v67 op_sel:[0,1,0]
	v_pk_fma_f16 v85, v81, v56, v85 op_sel_hi:[1,0,1]
	v_pk_fma_f16 v10, v81, v56, v10 op_sel:[0,1,0]
	v_pk_fma_f16 v81, v82, v55, v53 op_sel_hi:[1,0,1]
	v_pk_fma_f16 v6, v82, v55, v6 op_sel:[0,1,0]
	v_pk_fma_f16 v55, v82, v56, v63 op_sel_hi:[1,0,1]
	ds_load_2addr_b64 v[51:54], v50 offset1:32
	ds_load_b128 v[63:66], v41 offset:352
	v_pk_fma_f16 v7, v82, v56, v7 op_sel:[0,1,0]
	s_waitcnt lgkmcnt(2)
	v_pk_fma_f16 v11, v59, v57, v11 op_sel_hi:[1,0,1]
	v_pk_fma_f16 v49, v59, v57, v49 op_sel:[0,1,0]
	v_pk_fma_f16 v72, v59, v58, v72 op_sel_hi:[1,0,1]
	v_pk_fma_f16 v59, v59, v58, v79 op_sel:[0,1,0]
	;; [unrolled: 2-line block ×6, first 2 shown]
	v_pk_fma_f16 v61, v62, v57, v81 op_sel_hi:[1,0,1]
	ds_load_2addr_b64 v[79:82], v50 offset0:64 offset1:96
	v_pk_fma_f16 v6, v62, v57, v6 op_sel:[0,1,0]
	v_pk_fma_f16 v86, v62, v58, v55 op_sel_hi:[1,0,1]
	v_pk_fma_f16 v7, v62, v58, v7 op_sel:[0,1,0]
	ds_load_b128 v[55:58], v41 offset:368
	s_waitcnt lgkmcnt(2)
	v_pk_fma_f16 v11, v51, v63, v11 op_sel_hi:[1,0,1]
	v_pk_fma_f16 v49, v51, v63, v49 op_sel:[0,1,0]
	v_pk_fma_f16 v72, v51, v64, v72 op_sel_hi:[1,0,1]
	v_pk_fma_f16 v51, v51, v64, v59 op_sel:[0,1,0]
	;; [unrolled: 2-line block ×6, first 2 shown]
	v_pk_fma_f16 v53, v54, v63, v61 op_sel_hi:[1,0,1]
	ds_load_2addr_b64 v[59:62], v50 offset0:128 offset1:160
	v_pk_fma_f16 v6, v54, v63, v6 op_sel:[0,1,0]
	v_pk_fma_f16 v63, v54, v64, v86 op_sel_hi:[1,0,1]
	v_pk_fma_f16 v7, v54, v64, v7 op_sel:[0,1,0]
	s_waitcnt lgkmcnt(2)
	v_pk_fma_f16 v11, v79, v65, v11 op_sel_hi:[1,0,1]
	v_pk_fma_f16 v54, v79, v65, v49 op_sel:[0,1,0]
	v_pk_fma_f16 v64, v79, v66, v72 op_sel_hi:[1,0,1]
	v_pk_fma_f16 v72, v79, v66, v51 op_sel:[0,1,0]
	;; [unrolled: 2-line block ×4, first 2 shown]
	v_pk_fma_f16 v80, v81, v65, v52 op_sel_hi:[1,0,1]
	ds_load_2addr_b64 v[49:52], v50 offset0:192 offset1:224
	v_pk_fma_f16 v67, v81, v65, v67 op_sel:[0,1,0]
	v_pk_fma_f16 v53, v82, v65, v53 op_sel_hi:[1,0,1]
	v_pk_fma_f16 v6, v82, v65, v6 op_sel:[0,1,0]
	v_pk_fma_f16 v63, v82, v66, v63 op_sel_hi:[1,0,1]
	v_pk_fma_f16 v84, v81, v66, v85 op_sel_hi:[1,0,1]
	v_pk_fma_f16 v10, v81, v66, v10 op_sel:[0,1,0]
	v_pk_fma_f16 v7, v82, v66, v7 op_sel:[0,1,0]
	s_waitcnt lgkmcnt(1)
	v_pk_fma_f16 v11, v59, v55, v11 op_sel_hi:[1,0,1]
	v_pk_fma_f16 v54, v59, v55, v54 op_sel:[0,1,0]
	v_pk_fma_f16 v85, v59, v56, v64 op_sel_hi:[1,0,1]
	v_pk_fma_f16 v59, v59, v56, v72 op_sel:[0,1,0]
	;; [unrolled: 2-line block ×6, first 2 shown]
	v_pk_fma_f16 v55, v62, v56, v63 op_sel_hi:[1,0,1]
	ds_load_2addr_b64 v[63:66], v48 offset1:32
	ds_load_b128 v[79:82], v41 offset:384
	v_pk_fma_f16 v84, v61, v56, v84 op_sel_hi:[1,0,1]
	v_pk_fma_f16 v10, v61, v56, v10 op_sel:[0,1,0]
	v_pk_fma_f16 v7, v62, v56, v7 op_sel:[0,1,0]
	s_waitcnt lgkmcnt(2)
	v_pk_fma_f16 v61, v49, v57, v54 op_sel:[0,1,0]
	v_pk_fma_f16 v62, v49, v58, v85 op_sel_hi:[1,0,1]
	v_pk_fma_f16 v85, v52, v57, v53 op_sel_hi:[1,0,1]
	;; [unrolled: 1-line block ×3, first 2 shown]
	ds_load_2addr_b64 v[53:56], v48 offset0:64 offset1:96
	v_pk_fma_f16 v11, v49, v57, v11 op_sel_hi:[1,0,1]
	v_pk_fma_f16 v59, v49, v58, v59 op_sel:[0,1,0]
	v_pk_fma_f16 v72, v50, v57, v72 op_sel_hi:[1,0,1]
	v_pk_fma_f16 v73, v50, v57, v73 op_sel:[0,1,0]
	v_pk_fma_f16 v83, v50, v58, v83 op_sel_hi:[1,0,1]
	v_pk_fma_f16 v9, v50, v58, v9 op_sel:[0,1,0]
	v_pk_fma_f16 v60, v51, v57, v60 op_sel_hi:[1,0,1]
	v_pk_fma_f16 v67, v51, v57, v67 op_sel:[0,1,0]
	v_pk_fma_f16 v84, v51, v58, v84 op_sel_hi:[1,0,1]
	v_pk_fma_f16 v10, v51, v58, v10 op_sel:[0,1,0]
	v_pk_fma_f16 v6, v52, v57, v6 op_sel:[0,1,0]
	v_pk_fma_f16 v7, v52, v58, v7 op_sel:[0,1,0]
	ds_load_b128 v[49:52], v41 offset:400
	s_waitcnt lgkmcnt(2)
	v_pk_fma_f16 v11, v63, v79, v11 op_sel_hi:[1,0,1]
	v_pk_fma_f16 v61, v63, v79, v61 op_sel:[0,1,0]
	v_pk_fma_f16 v62, v63, v80, v62 op_sel_hi:[1,0,1]
	v_pk_fma_f16 v63, v63, v80, v59 op_sel:[0,1,0]
	;; [unrolled: 2-line block ×4, first 2 shown]
	v_pk_fma_f16 v64, v65, v79, v60 op_sel_hi:[1,0,1]
	ds_load_2addr_b64 v[57:60], v48 offset0:128 offset1:160
	v_pk_fma_f16 v67, v65, v79, v67 op_sel:[0,1,0]
	v_pk_fma_f16 v84, v65, v80, v84 op_sel_hi:[1,0,1]
	v_pk_fma_f16 v10, v65, v80, v10 op_sel:[0,1,0]
	v_pk_fma_f16 v65, v66, v79, v85 op_sel_hi:[1,0,1]
	;; [unrolled: 2-line block ×3, first 2 shown]
	v_pk_fma_f16 v7, v66, v80, v7 op_sel:[0,1,0]
	s_waitcnt lgkmcnt(2)
	v_pk_fma_f16 v11, v53, v81, v11 op_sel_hi:[1,0,1]
	v_pk_fma_f16 v66, v53, v81, v61 op_sel:[0,1,0]
	v_pk_fma_f16 v80, v53, v82, v62 op_sel_hi:[1,0,1]
	v_pk_fma_f16 v53, v53, v82, v63 op_sel:[0,1,0]
	;; [unrolled: 2-line block ×4, first 2 shown]
	v_pk_fma_f16 v54, v55, v81, v64 op_sel_hi:[1,0,1]
	ds_load_2addr_b64 v[61:64], v48 offset0:192 offset1:224
	v_pk_fma_f16 v67, v55, v81, v67 op_sel:[0,1,0]
	v_pk_fma_f16 v84, v55, v82, v84 op_sel_hi:[1,0,1]
	v_pk_fma_f16 v10, v55, v82, v10 op_sel:[0,1,0]
	v_pk_fma_f16 v55, v56, v81, v65 op_sel_hi:[1,0,1]
	;; [unrolled: 2-line block ×3, first 2 shown]
	v_pk_fma_f16 v7, v56, v82, v7 op_sel:[0,1,0]
	s_waitcnt lgkmcnt(1)
	v_pk_fma_f16 v11, v57, v49, v11 op_sel_hi:[1,0,1]
	v_pk_fma_f16 v48, v57, v49, v66 op_sel:[0,1,0]
	v_pk_fma_f16 v66, v57, v50, v80 op_sel_hi:[1,0,1]
	v_pk_fma_f16 v57, v57, v50, v53 op_sel:[0,1,0]
	;; [unrolled: 2-line block ×7, first 2 shown]
	v_pk_fma_f16 v49, v60, v50, v65 op_sel_hi:[1,0,1]
	ds_load_2addr_b64 v[53:56], v8 offset1:32
	ds_load_b128 v[79:82], v41 offset:416
	v_pk_fma_f16 v7, v60, v50, v7 op_sel:[0,1,0]
	s_waitcnt lgkmcnt(2)
	v_pk_fma_f16 v11, v61, v51, v11 op_sel_hi:[1,0,1]
	v_pk_fma_f16 v65, v61, v51, v48 op_sel:[0,1,0]
	v_pk_fma_f16 v72, v62, v51, v72 op_sel_hi:[1,0,1]
	v_pk_fma_f16 v73, v62, v51, v73 op_sel:[0,1,0]
	v_pk_fma_f16 v83, v62, v52, v83 op_sel_hi:[1,0,1]
	v_pk_fma_f16 v9, v62, v52, v9 op_sel:[0,1,0]
	v_pk_fma_f16 v62, v63, v51, v58 op_sel_hi:[1,0,1]
	v_pk_fma_f16 v67, v63, v51, v67 op_sel:[0,1,0]
	v_pk_fma_f16 v84, v63, v52, v84 op_sel_hi:[1,0,1]
	v_pk_fma_f16 v10, v63, v52, v10 op_sel:[0,1,0]
	v_pk_fma_f16 v63, v64, v51, v59 op_sel_hi:[1,0,1]
	v_pk_fma_f16 v6, v64, v51, v6 op_sel:[0,1,0]
	v_pk_fma_f16 v85, v64, v52, v49 op_sel_hi:[1,0,1]
	ds_load_2addr_b64 v[48:51], v8 offset0:64 offset1:96
	v_pk_fma_f16 v66, v61, v52, v66 op_sel_hi:[1,0,1]
	v_pk_fma_f16 v61, v61, v52, v57 op_sel:[0,1,0]
	v_pk_fma_f16 v7, v64, v52, v7 op_sel:[0,1,0]
	ds_load_b128 v[57:60], v41 offset:432
	s_waitcnt lgkmcnt(2)
	v_pk_fma_f16 v11, v53, v79, v11 op_sel_hi:[1,0,1]
	v_pk_fma_f16 v64, v53, v79, v65 op_sel:[0,1,0]
	v_pk_fma_f16 v65, v53, v80, v66 op_sel_hi:[1,0,1]
	v_pk_fma_f16 v61, v53, v80, v61 op_sel:[0,1,0]
	;; [unrolled: 2-line block ×7, first 2 shown]
	ds_load_2addr_b64 v[52:55], v8 offset0:128 offset1:160
	v_pk_fma_f16 v79, v56, v80, v85 op_sel_hi:[1,0,1]
	v_pk_fma_f16 v56, v56, v80, v7 op_sel:[0,1,0]
	s_waitcnt lgkmcnt(2)
	v_pk_fma_f16 v11, v48, v81, v11 op_sel_hi:[1,0,1]
	v_pk_fma_f16 v64, v48, v81, v64 op_sel:[0,1,0]
	v_pk_fma_f16 v65, v48, v82, v65 op_sel_hi:[1,0,1]
	v_pk_fma_f16 v48, v48, v82, v61 op_sel:[0,1,0]
	;; [unrolled: 2-line block ×7, first 2 shown]
	ds_load_2addr_b64 v[6:9], v8 offset0:192 offset1:224
	v_pk_fma_f16 v79, v51, v82, v79 op_sel_hi:[1,0,1]
	v_pk_fma_f16 v56, v51, v82, v56 op_sel:[0,1,0]
	s_waitcnt lgkmcnt(1)
	v_pk_fma_f16 v11, v52, v57, v11 op_sel_hi:[1,0,1]
	v_pk_fma_f16 v80, v52, v57, v64 op_sel:[0,1,0]
	v_pk_fma_f16 v65, v52, v58, v65 op_sel_hi:[1,0,1]
	v_pk_fma_f16 v52, v52, v58, v48 op_sel:[0,1,0]
	;; [unrolled: 2-line block ×7, first 2 shown]
	ds_load_2addr_b64 v[48:51], v5 offset1:32
	ds_load_b128 v[61:64], v41 offset:448
	v_pk_fma_f16 v79, v55, v58, v79 op_sel_hi:[1,0,1]
	v_pk_fma_f16 v56, v55, v58, v56 op_sel:[0,1,0]
	s_waitcnt lgkmcnt(2)
	v_pk_fma_f16 v58, v6, v59, v80 op_sel:[0,1,0]
	v_pk_fma_f16 v80, v6, v60, v52 op_sel:[0,1,0]
	;; [unrolled: 1-line block ×3, first 2 shown]
	v_pk_fma_f16 v84, v9, v59, v54 op_sel_hi:[1,0,1]
	ds_load_2addr_b64 v[52:55], v5 offset0:64 offset1:96
	v_pk_fma_f16 v11, v6, v59, v11 op_sel_hi:[1,0,1]
	v_pk_fma_f16 v65, v6, v60, v65 op_sel_hi:[1,0,1]
	;; [unrolled: 1-line block ×3, first 2 shown]
	v_pk_fma_f16 v66, v7, v59, v66 op_sel:[0,1,0]
	v_pk_fma_f16 v72, v7, v60, v72 op_sel_hi:[1,0,1]
	v_pk_fma_f16 v82, v8, v59, v82 op_sel_hi:[1,0,1]
	v_pk_fma_f16 v67, v8, v59, v67 op_sel:[0,1,0]
	v_pk_fma_f16 v73, v8, v60, v73 op_sel_hi:[1,0,1]
	v_pk_fma_f16 v10, v8, v60, v10 op_sel:[0,1,0]
	v_pk_fma_f16 v57, v9, v59, v57 op_sel:[0,1,0]
	v_pk_fma_f16 v79, v9, v60, v79 op_sel_hi:[1,0,1]
	v_pk_fma_f16 v60, v9, v60, v56 op_sel:[0,1,0]
	ds_load_b128 v[6:9], v41 offset:464
	s_waitcnt lgkmcnt(2)
	v_pk_fma_f16 v11, v48, v61, v11 op_sel_hi:[1,0,1]
	v_pk_fma_f16 v85, v48, v61, v58 op_sel:[0,1,0]
	v_pk_fma_f16 v65, v48, v62, v65 op_sel_hi:[1,0,1]
	v_pk_fma_f16 v48, v48, v62, v80 op_sel:[0,1,0]
	;; [unrolled: 2-line block ×7, first 2 shown]
	ds_load_2addr_b64 v[56:59], v5 offset0:128 offset1:160
	v_pk_fma_f16 v79, v51, v62, v79 op_sel_hi:[1,0,1]
	v_pk_fma_f16 v60, v51, v62, v60 op_sel:[0,1,0]
	s_waitcnt lgkmcnt(2)
	v_pk_fma_f16 v11, v52, v63, v11 op_sel_hi:[1,0,1]
	v_pk_fma_f16 v62, v52, v63, v85 op_sel:[0,1,0]
	v_pk_fma_f16 v65, v52, v64, v65 op_sel_hi:[1,0,1]
	v_pk_fma_f16 v52, v52, v64, v48 op_sel:[0,1,0]
	;; [unrolled: 2-line block ×6, first 2 shown]
	v_pk_fma_f16 v54, v55, v63, v50 op_sel_hi:[1,0,1]
	ds_load_2addr_b64 v[48:51], v5 offset0:192 offset1:224
	v_pk_fma_f16 v61, v55, v63, v61 op_sel:[0,1,0]
	v_pk_fma_f16 v63, v55, v64, v79 op_sel_hi:[1,0,1]
	v_pk_fma_f16 v5, v55, v64, v60 op_sel:[0,1,0]
	s_waitcnt lgkmcnt(1)
	v_pk_fma_f16 v11, v56, v6, v11 op_sel_hi:[1,0,1]
	v_pk_fma_f16 v64, v56, v6, v62 op_sel:[0,1,0]
	v_pk_fma_f16 v65, v56, v7, v65 op_sel_hi:[1,0,1]
	v_pk_fma_f16 v56, v56, v7, v52 op_sel:[0,1,0]
	;; [unrolled: 2-line block ×7, first 2 shown]
	v_pk_fma_f16 v81, v59, v7, v63 op_sel_hi:[1,0,1]
	ds_load_2addr_b64 v[52:55], v4 offset1:32
	ds_load_b128 v[60:63], v41 offset:480
	v_pk_fma_f16 v59, v59, v7, v5 op_sel:[0,1,0]
	s_waitcnt lgkmcnt(2)
	v_pk_fma_f16 v11, v48, v8, v11 op_sel_hi:[1,0,1]
	v_pk_fma_f16 v82, v48, v8, v64 op_sel:[0,1,0]
	v_pk_fma_f16 v83, v48, v9, v65 op_sel_hi:[1,0,1]
	v_pk_fma_f16 v48, v48, v9, v56 op_sel:[0,1,0]
	;; [unrolled: 2-line block ×7, first 2 shown]
	ds_load_2addr_b64 v[5:8], v4 offset0:64 offset1:96
	v_pk_fma_f16 v81, v51, v9, v81 op_sel_hi:[1,0,1]
	v_pk_fma_f16 v9, v51, v9, v59 op_sel:[0,1,0]
	ds_load_b128 v[64:67], v41 offset:496
	s_waitcnt lgkmcnt(2)
	v_pk_fma_f16 v11, v52, v60, v11 op_sel_hi:[1,0,1]
	v_pk_fma_f16 v59, v52, v60, v82 op_sel:[0,1,0]
	v_pk_fma_f16 v82, v52, v61, v83 op_sel_hi:[1,0,1]
	v_pk_fma_f16 v52, v52, v61, v48 op_sel:[0,1,0]
	;; [unrolled: 2-line block ×6, first 2 shown]
	v_pk_fma_f16 v54, v55, v60, v50 op_sel_hi:[1,0,1]
	ds_load_2addr_b64 v[48:51], v4 offset0:128 offset1:160
	v_pk_fma_f16 v58, v55, v60, v58 op_sel:[0,1,0]
	v_pk_fma_f16 v60, v55, v61, v81 op_sel_hi:[1,0,1]
	v_pk_fma_f16 v9, v55, v61, v9 op_sel:[0,1,0]
	s_waitcnt lgkmcnt(2)
	v_pk_fma_f16 v11, v5, v62, v11 op_sel_hi:[1,0,1]
	v_pk_fma_f16 v55, v5, v62, v59 op_sel:[0,1,0]
	v_pk_fma_f16 v59, v5, v63, v82 op_sel_hi:[1,0,1]
	v_pk_fma_f16 v52, v5, v63, v52 op_sel:[0,1,0]
	;; [unrolled: 2-line block ×6, first 2 shown]
	ds_load_2addr_b64 v[4:7], v4 offset0:192 offset1:224
	s_waitcnt lgkmcnt(0)
	s_barrier
	buffer_gl0_inv
	s_load_b32 s18, s[4:5], 0x4
	v_pk_fma_f16 v54, v8, v62, v54 op_sel_hi:[1,0,1]
	v_pk_fma_f16 v58, v8, v62, v58 op_sel:[0,1,0]
	v_pk_fma_f16 v60, v8, v63, v60 op_sel_hi:[1,0,1]
	v_pk_fma_f16 v8, v8, v63, v9 op_sel:[0,1,0]
	;; [unrolled: 2-line block ×10, first 2 shown]
	s_waitcnt lgkmcnt(0)
	s_lshl_b32 s18, s18, 6
	v_pk_fma_f16 v59, v4, v66, v9 op_sel_hi:[1,0,1]
	v_pk_fma_f16 v56, v4, v66, v11 op_sel:[0,1,0]
	v_pk_fma_f16 v52, v4, v67, v55 op_sel_hi:[1,0,1]
	v_pk_fma_f16 v50, v4, v67, v48 op_sel:[0,1,0]
	;; [unrolled: 2-line block ×8, first 2 shown]
	s_add_i32 s3, s18, s3
	s_delay_alu instid0(SALU_CYCLE_1)
	s_cmp_ge_i32 s3, s34
	s_cbranch_scc1 .LBB61_43
; %bb.42:                               ;   in Loop: Header=BB61_9 Depth=1
	v_dual_mov_b32 v65, v0 :: v_dual_mov_b32 v66, v1
	v_dual_mov_b32 v67, v2 :: v_dual_mov_b32 v64, v3
	;; [unrolled: 1-line block ×4, first 2 shown]
	s_branch .LBB61_9
.LBB61_43:
	v_mov_b32_e32 v6, v32
.LBB61_44:
	v_cmp_lt_i32_e32 vcc_lo, v78, v33
	s_cmp_lg_u64 s[24:25], 0
	s_cselect_b32 s3, -1, 0
	s_cmp_eq_u32 s14, 0
	v_cndmask_b32_e32 v4, v6, v78, vcc_lo
	v_cmp_lt_i32_e32 vcc_lo, v77, v33
	s_cselect_b32 s4, -1, 0
	s_delay_alu instid0(SALU_CYCLE_1) | instskip(SKIP_2) | instid1(VALU_DEP_2)
	s_and_b32 s3, s4, s3
	v_cndmask_b32_e32 v9, v6, v77, vcc_lo
	v_cmp_lt_i32_e32 vcc_lo, v76, v33
	v_lshlrev_b32_e32 v9, 2, v9
	v_lshlrev_b32_e32 v4, 2, v4
	ds_bpermute_b32 v5, v4, v68
	s_waitcnt lgkmcnt(0)
	v_add_f32_e32 v5, v68, v5
	ds_bpermute_b32 v7, v4, v69
	ds_bpermute_b32 v8, v4, v70
	;; [unrolled: 1-line block ×4, first 2 shown]
	s_waitcnt lgkmcnt(2)
	v_dual_add_f32 v7, v69, v7 :: v_dual_add_f32 v8, v70, v8
	s_waitcnt lgkmcnt(1)
	v_add_f32_e32 v4, v71, v4
	ds_bpermute_b32 v11, v9, v7
	ds_bpermute_b32 v14, v9, v8
	;; [unrolled: 1-line block ×3, first 2 shown]
	v_cndmask_b32_e32 v15, v6, v76, vcc_lo
	v_cmp_lt_i32_e32 vcc_lo, v75, v33
	s_waitcnt lgkmcnt(1)
	s_delay_alu instid0(VALU_DEP_2)
	v_dual_add_f32 v8, v8, v14 :: v_dual_lshlrev_b32 v15, 2, v15
	s_waitcnt lgkmcnt(0)
	v_add_f32_e32 v4, v4, v9
	ds_bpermute_b32 v14, v15, v4
	v_add_f32_e32 v7, v7, v11
	ds_bpermute_b32 v11, v15, v8
	v_add_f32_e32 v5, v5, v10
	s_waitcnt lgkmcnt(1)
	v_add_f32_e32 v4, v4, v14
	ds_bpermute_b32 v10, v15, v7
	s_waitcnt lgkmcnt(1)
	v_add_f32_e32 v8, v8, v11
	ds_bpermute_b32 v9, v15, v5
	v_cndmask_b32_e32 v15, v6, v75, vcc_lo
	v_cmp_lt_i32_e32 vcc_lo, v74, v33
	v_cndmask_b32_e32 v6, v6, v74, vcc_lo
	s_and_b32 vcc_lo, exec_lo, s3
	s_delay_alu instid0(VALU_DEP_1)
	v_lshlrev_b32_e32 v6, 2, v6
	v_lshlrev_b32_e32 v15, 2, v15
	ds_bpermute_b32 v14, v15, v4
	s_waitcnt lgkmcnt(1)
	v_add_f32_e32 v5, v5, v9
	ds_bpermute_b32 v9, v15, v5
	s_waitcnt lgkmcnt(0)
	v_add_f32_e32 v5, v5, v9
	v_add_f32_e32 v9, v4, v14
	ds_bpermute_b32 v4, v6, v5
	ds_bpermute_b32 v14, v6, v9
	s_waitcnt lgkmcnt(1)
	v_add_f32_e32 v4, v5, v4
	ds_bpermute_b32 v11, v15, v8
	s_waitcnt lgkmcnt(0)
	v_dual_add_f32 v7, v7, v10 :: v_dual_add_f32 v8, v8, v11
	ds_bpermute_b32 v10, v15, v7
	ds_bpermute_b32 v11, v6, v8
	s_waitcnt lgkmcnt(1)
	v_add_f32_e32 v7, v7, v10
	ds_bpermute_b32 v10, v6, v7
	s_waitcnt lgkmcnt(0)
	v_dual_add_f32 v6, v8, v11 :: v_dual_add_f32 v5, v7, v10
	v_add_f32_e32 v7, v9, v14
	s_cbranch_vccz .LBB61_47
; %bb.45:
	s_ashr_i32 s3, s2, 31
	v_dual_mov_b32 v8, 0 :: v_dual_max_f32 v15, v1, v1
	s_lshl_b64 s[4:5], s[2:3], 2
	s_delay_alu instid0(SALU_CYCLE_1)
	s_add_u32 s4, s24, s4
	s_addc_u32 s5, s25, s5
	global_load_b128 v[8:11], v8, s[4:5]
	v_max_f32_e32 v14, v0, v0
	s_waitcnt vmcnt(0)
	v_dual_max_f32 v16, v2, v2 :: v_dual_max_f32 v17, v8, v8
	v_dual_max_f32 v19, v9, v9 :: v_dual_max_f32 v20, v10, v10
	s_delay_alu instid0(VALU_DEP_2) | instskip(NEXT) | instid1(VALU_DEP_2)
	v_dual_max_f32 v21, v11, v11 :: v_dual_max_f32 v14, v14, v17
	v_dual_max_f32 v15, v15, v19 :: v_dual_max_f32 v16, v16, v20
	v_max_f32_e32 v18, v3, v3
	s_delay_alu instid0(VALU_DEP_2) | instskip(SKIP_1) | instid1(VALU_DEP_3)
	v_dual_sub_f32 v8, v8, v14 :: v_dual_sub_f32 v9, v9, v15
	v_sub_f32_e32 v19, v1, v15
	v_dual_max_f32 v17, v18, v21 :: v_dual_sub_f32 v18, v0, v14
	v_sub_f32_e32 v20, v2, v16
	s_delay_alu instid0(VALU_DEP_2)
	v_dual_sub_f32 v10, v10, v16 :: v_dual_sub_f32 v11, v11, v17
	v_dual_sub_f32 v21, v3, v17 :: v_dual_mov_b32 v0, v14
	v_dual_mov_b32 v1, v15 :: v_dual_mov_b32 v2, v16
	v_mov_b32_e32 v3, v17
	v_dual_mul_f32 v15, 0x3fb8aa3b, v8 :: v_dual_mul_f32 v14, 0x3fb8aa3b, v18
	v_dual_mul_f32 v17, 0x3fb8aa3b, v9 :: v_dual_mul_f32 v16, 0x3fb8aa3b, v19
	v_mul_f32_e32 v23, 0x3fb8aa3b, v10
	s_delay_alu instid0(VALU_DEP_3) | instskip(NEXT) | instid1(VALU_DEP_4)
	v_fma_f32 v28, 0x3fb8aa3b, v8, -v15
	v_fma_f32 v26, 0x3fb8aa3b, v18, -v14
	v_rndne_f32_e32 v27, v14
	v_rndne_f32_e32 v29, v15
	v_fma_f32 v33, 0x3fb8aa3b, v9, -v17
	v_fma_f32 v37, 0x3fb8aa3b, v10, -v23
	v_fmac_f32_e32 v26, 0x32a5705f, v18
	v_sub_f32_e32 v14, v14, v27
	v_dual_mul_f32 v22, 0x3fb8aa3b, v20 :: v_dual_mul_f32 v25, 0x3fb8aa3b, v11
	v_fma_f32 v30, 0x3fb8aa3b, v19, -v16
	v_rndne_f32_e32 v32, v16
	v_dual_fmac_f32 v28, 0x32a5705f, v8 :: v_dual_fmac_f32 v37, 0x32a5705f, v10
	v_sub_f32_e32 v15, v15, v29
	v_dual_fmac_f32 v33, 0x32a5705f, v9 :: v_dual_add_f32 v14, v14, v26
	v_rndne_f32_e32 v34, v17
	v_mul_f32_e32 v24, 0x3fb8aa3b, v21
	v_fma_f32 v35, 0x3fb8aa3b, v20, -v22
	v_rndne_f32_e32 v38, v23
	v_fmac_f32_e32 v30, 0x32a5705f, v19
	v_sub_f32_e32 v16, v16, v32
	v_add_f32_e32 v15, v15, v28
	v_exp_f32_e32 v14, v14
	v_sub_f32_e32 v23, v23, v38
	v_rndne_f32_e32 v36, v22
	v_fma_f32 v41, 0x3fb8aa3b, v11, -v25
	v_rndne_f32_e32 v42, v25
	v_cvt_i32_f32_e32 v27, v27
	v_sub_f32_e32 v17, v17, v34
	v_fma_f32 v39, 0x3fb8aa3b, v21, -v24
	v_rndne_f32_e32 v40, v24
	v_dual_fmac_f32 v35, 0x32a5705f, v20 :: v_dual_add_f32 v16, v16, v30
	s_delay_alu instid0(VALU_DEP_4) | instskip(SKIP_4) | instid1(VALU_DEP_2)
	v_add_f32_e32 v17, v17, v33
	v_exp_f32_e32 v15, v15
	v_cvt_i32_f32_e32 v29, v29
	v_dual_sub_f32 v22, v22, v36 :: v_dual_fmac_f32 v39, 0x32a5705f, v21
	v_dual_sub_f32 v24, v24, v40 :: v_dual_fmac_f32 v41, 0x32a5705f, v11
	v_dual_sub_f32 v25, v25, v42 :: v_dual_add_f32 v22, v22, v35
	v_exp_f32_e32 v16, v16
	v_ldexp_f32 v14, v14, v27
	v_cmp_ngt_f32_e32 vcc_lo, 0xc2ce8ed0, v18
	v_cvt_i32_f32_e32 v32, v32
	v_add_f32_e32 v25, v25, v41
	v_exp_f32_e32 v17, v17
	v_ldexp_f32 v15, v15, v29
	v_cndmask_b32_e32 v14, 0, v14, vcc_lo
	v_cmp_ngt_f32_e32 vcc_lo, 0xc2ce8ed0, v8
	v_cvt_i32_f32_e32 v34, v34
	v_dual_add_f32 v23, v23, v37 :: v_dual_add_f32 v24, v24, v39
	v_exp_f32_e32 v22, v22
	v_ldexp_f32 v16, v16, v32
	v_cndmask_b32_e32 v15, 0, v15, vcc_lo
	v_cmp_ngt_f32_e32 vcc_lo, 0xc2ce8ed0, v19
	v_cvt_i32_f32_e32 v36, v36
	v_exp_f32_e32 v23, v23
	v_ldexp_f32 v17, v17, v34
	v_cvt_i32_f32_e32 v38, v38
	v_cndmask_b32_e32 v16, 0, v16, vcc_lo
	v_cmp_ngt_f32_e32 vcc_lo, 0xc2ce8ed0, v9
	v_exp_f32_e32 v24, v24
	v_ldexp_f32 v22, v22, v36
	v_exp_f32_e32 v25, v25
	v_cvt_i32_f32_e32 v26, v40
	v_cndmask_b32_e32 v17, 0, v17, vcc_lo
	v_cmp_ngt_f32_e32 vcc_lo, 0xc2ce8ed0, v20
	v_ldexp_f32 v23, v23, v38
	v_cvt_i32_f32_e32 v28, v42
	v_cndmask_b32_e32 v22, 0, v22, vcc_lo
	v_cmp_ngt_f32_e32 vcc_lo, 0xc2ce8ed0, v10
	v_ldexp_f32 v24, v24, v26
	s_delay_alu instid0(TRANS32_DEP_1) | instid1(VALU_DEP_4)
	v_ldexp_f32 v25, v25, v28
	v_cndmask_b32_e32 v23, 0, v23, vcc_lo
	v_cmp_ngt_f32_e32 vcc_lo, 0xc2ce8ed0, v21
	s_delay_alu instid0(VALU_DEP_4)
	v_cndmask_b32_e32 v24, 0, v24, vcc_lo
	v_cmp_ngt_f32_e32 vcc_lo, 0xc2ce8ed0, v11
	v_cndmask_b32_e32 v25, 0, v25, vcc_lo
	v_cmp_nlt_f32_e32 vcc_lo, 0x42b17218, v18
	v_cndmask_b32_e32 v14, 0x7f800000, v14, vcc_lo
	v_cmp_nlt_f32_e32 vcc_lo, 0x42b17218, v8
	v_cndmask_b32_e32 v8, 0x7f800000, v15, vcc_lo
	v_cmp_nlt_f32_e32 vcc_lo, 0x42b17218, v19
	v_cndmask_b32_e32 v15, 0x7f800000, v16, vcc_lo
	v_cmp_nlt_f32_e32 vcc_lo, 0x42b17218, v9
	v_cndmask_b32_e32 v9, 0x7f800000, v17, vcc_lo
	v_cmp_nlt_f32_e32 vcc_lo, 0x42b17218, v20
	v_cndmask_b32_e32 v16, 0x7f800000, v22, vcc_lo
	v_cmp_nlt_f32_e32 vcc_lo, 0x42b17218, v10
	v_cndmask_b32_e32 v10, 0x7f800000, v23, vcc_lo
	v_cmp_nlt_f32_e32 vcc_lo, 0x42b17218, v21
	s_delay_alu instid0(VALU_DEP_2) | instskip(SKIP_4) | instid1(VALU_DEP_3)
	v_dual_fmac_f32 v10, v6, v16 :: v_dual_fmac_f32 v9, v5, v15
	v_fmac_f32_e32 v8, v4, v14
	v_cvt_f16_f32_e32 v4, v14
	v_cndmask_b32_e32 v17, 0x7f800000, v24, vcc_lo
	v_cmp_nlt_f32_e32 vcc_lo, 0x42b17218, v11
	v_pk_mul_f16 v59, v4, v59 op_sel_hi:[0,1]
	v_pk_mul_f16 v63, v4, v63 op_sel_hi:[0,1]
	;; [unrolled: 1-line block ×4, first 2 shown]
	v_mov_b32_e32 v4, v8
	v_cvt_f16_f32_e32 v5, v15
	v_cndmask_b32_e32 v11, 0x7f800000, v25, vcc_lo
	s_delay_alu instid0(VALU_DEP_2)
	v_pk_mul_f16 v56, v5, v56 op_sel_hi:[0,1]
	v_pk_mul_f16 v60, v5, v60 op_sel_hi:[0,1]
	;; [unrolled: 1-line block ×4, first 2 shown]
	v_mov_b32_e32 v5, v9
	v_cvt_f16_f32_e32 v6, v16
	s_delay_alu instid0(VALU_DEP_1)
	v_pk_mul_f16 v52, v6, v52 op_sel_hi:[0,1]
	v_pk_mul_f16 v55, v6, v55 op_sel_hi:[0,1]
	;; [unrolled: 1-line block ×4, first 2 shown]
	v_dual_mov_b32 v6, v10 :: v_dual_fmac_f32 v11, v7, v17
	v_cvt_f16_f32_e32 v7, v17
	s_delay_alu instid0(VALU_DEP_1)
	v_pk_mul_f16 v50, v7, v50 op_sel_hi:[0,1]
	v_pk_mul_f16 v51, v7, v51 op_sel_hi:[0,1]
	;; [unrolled: 1-line block ×4, first 2 shown]
	v_mov_b32_e32 v7, v11
	s_mov_b32 s3, exec_lo
	v_cmpx_gt_i32_e64 s6, v12
	s_cbranch_execnz .LBB61_48
.LBB61_46:
	s_nop 0
	s_sendmsg sendmsg(MSG_DEALLOC_VGPRS)
	s_endpgm
.LBB61_47:
	s_delay_alu instid0(VALU_DEP_1) | instskip(NEXT) | instid1(VALU_DEP_3)
	v_dual_mov_b32 v11, v7 :: v_dual_mov_b32 v10, v6
	v_dual_mov_b32 v9, v5 :: v_dual_mov_b32 v8, v4
	s_mov_b32 s3, exec_lo
	v_cmpx_gt_i32_e64 s6, v12
	s_cbranch_execz .LBB61_46
.LBB61_48:
	s_load_b32 s1, s[0:1], 0xd4
	v_mov_b32_e32 v14, 1.0
	s_waitcnt lgkmcnt(0)
	s_cmp_lg_u32 s1, 1
	s_cselect_b32 s4, -1, 0
	s_cmp_eq_u32 s1, 1
	s_cselect_b32 s3, -1, 0
	s_and_b32 vcc_lo, exec_lo, s4
	s_cbranch_vccnz .LBB61_50
; %bb.49:
	v_div_scale_f32 v14, null, v4, v4, 1.0
	s_delay_alu instid0(VALU_DEP_1) | instskip(SKIP_2) | instid1(VALU_DEP_1)
	v_rcp_f32_e32 v15, v14
	s_waitcnt_depctr 0xfff
	v_fma_f32 v16, -v14, v15, 1.0
	v_fmac_f32_e32 v15, v16, v15
	v_div_scale_f32 v16, vcc_lo, 1.0, v4, 1.0
	s_delay_alu instid0(VALU_DEP_1) | instskip(NEXT) | instid1(VALU_DEP_1)
	v_mul_f32_e32 v17, v16, v15
	v_fma_f32 v18, -v14, v17, v16
	s_delay_alu instid0(VALU_DEP_1) | instskip(NEXT) | instid1(VALU_DEP_1)
	v_fmac_f32_e32 v17, v18, v15
	v_fma_f32 v14, -v14, v17, v16
	s_delay_alu instid0(VALU_DEP_1) | instskip(NEXT) | instid1(VALU_DEP_1)
	v_div_fmas_f32 v14, v14, v15, v17
	v_div_fixup_f32 v14, v14, v4, 1.0
.LBB61_50:
	v_mad_u64_u32 v[15:16], null, s12, s6, v[12:13]
	v_cmp_eq_u32_e32 vcc_lo, 0, v13
	v_lshrrev_b32_e32 v4, 16, v63
	v_lshrrev_b32_e32 v18, 16, v59
	;; [unrolled: 1-line block ×3, first 2 shown]
	v_cvt_f32_f16_e32 v19, v59
	v_cvt_f32_f16_e32 v22, v61
	v_mad_u64_u32 v[16:17], null, v15, s7, s[2:3]
	v_cvt_f32_f16_e32 v15, v63
	v_mov_b32_e32 v24, 0
	v_cvt_f32_f16_e32 v4, v4
	v_cvt_f32_f16_e32 v27, v18
	;; [unrolled: 1-line block ×3, first 2 shown]
	v_mul_f32_e32 v17, v14, v15
	v_mad_u64_u32 v[12:13], null, s1, v16, s[14:15]
	v_cvt_f32_f16_e32 v13, v62
	v_lshrrev_b32_e32 v16, 16, v61
	v_mul_f32_e32 v15, v14, v19
	v_mul_f32_e32 v19, v14, v22
	;; [unrolled: 1-line block ×4, first 2 shown]
	v_lshl_add_u32 v23, v12, 8, v31
	v_cvt_f32_f16_e32 v13, v16
	v_mul_f32_e32 v16, v14, v27
	v_mul_f32_e32 v18, v14, v4
	s_delay_alu instid0(VALU_DEP_4) | instskip(NEXT) | instid1(VALU_DEP_4)
	v_lshlrev_b64 v[25:26], 2, v[23:24]
	v_dual_mul_f32 v20, v14, v13 :: v_dual_add_nc_u32 v23, 0x80, v23
	s_delay_alu instid0(VALU_DEP_1) | instskip(NEXT) | instid1(VALU_DEP_3)
	v_lshlrev_b64 v[13:14], 2, v[23:24]
	v_add_co_u32 v23, s0, s28, v25
	s_delay_alu instid0(VALU_DEP_1) | instskip(NEXT) | instid1(VALU_DEP_3)
	v_add_co_ci_u32_e64 v24, s0, s29, v26, s0
	v_add_co_u32 v13, s0, s28, v13
	s_delay_alu instid0(VALU_DEP_1)
	v_add_co_ci_u32_e64 v14, s0, s29, v14, s0
	s_and_b32 s0, vcc_lo, s4
	s_clause 0x1
	global_store_b128 v[23:24], v[15:18], off
	global_store_b128 v[13:14], v[19:22], off
	s_and_saveexec_b32 s2, s0
	s_cbranch_execz .LBB61_52
; %bb.51:
	v_ashrrev_i32_e32 v13, 31, v12
	v_mov_b32_e32 v15, v0
	v_mov_b32_e32 v16, v8
	s_delay_alu instid0(VALU_DEP_3) | instskip(NEXT) | instid1(VALU_DEP_1)
	v_lshlrev_b64 v[13:14], 3, v[12:13]
	v_add_co_u32 v13, vcc_lo, s30, v13
	s_delay_alu instid0(VALU_DEP_2)
	v_add_co_ci_u32_e32 v14, vcc_lo, s31, v14, vcc_lo
	global_store_b64 v[13:14], v[15:16], off
.LBB61_52:
	s_or_b32 exec_lo, exec_lo, s2
	v_cndmask_b32_e64 v13, 0, 1, s3
	v_mov_b32_e32 v0, 1.0
	s_and_not1_b32 vcc_lo, exec_lo, s3
	s_cbranch_vccnz .LBB61_54
; %bb.53:
	v_div_scale_f32 v0, null, v5, v5, 1.0
	s_delay_alu instid0(VALU_DEP_1) | instskip(SKIP_2) | instid1(VALU_DEP_1)
	v_rcp_f32_e32 v4, v0
	s_waitcnt_depctr 0xfff
	v_fma_f32 v8, -v0, v4, 1.0
	v_fmac_f32_e32 v4, v8, v4
	v_div_scale_f32 v8, vcc_lo, 1.0, v5, 1.0
	s_delay_alu instid0(VALU_DEP_1) | instskip(NEXT) | instid1(VALU_DEP_1)
	v_mul_f32_e32 v14, v8, v4
	v_fma_f32 v15, -v0, v14, v8
	s_delay_alu instid0(VALU_DEP_1) | instskip(NEXT) | instid1(VALU_DEP_1)
	v_fmac_f32_e32 v14, v15, v4
	v_fma_f32 v0, -v0, v14, v8
	s_delay_alu instid0(VALU_DEP_1) | instskip(NEXT) | instid1(VALU_DEP_1)
	v_div_fmas_f32 v0, v0, v4, v14
	v_div_fixup_f32 v0, v0, v5, 1.0
.LBB61_54:
	v_lshrrev_b32_e32 v5, 16, v60
	v_dual_mov_b32 v19, 0 :: v_dual_add_nc_u32 v4, s1, v12
	v_lshrrev_b32_e32 v8, 16, v56
	v_cvt_f32_f16_e32 v12, v60
	s_delay_alu instid0(VALU_DEP_4) | instskip(NEXT) | instid1(VALU_DEP_4)
	v_cvt_f32_f16_e32 v5, v5
	v_lshl_add_u32 v18, v4, 8, v31
	v_cvt_f32_f16_e32 v14, v56
	v_cvt_f32_f16_e32 v8, v8
	v_mul_f32_e32 v16, v0, v12
	v_mul_f32_e32 v17, v0, v5
	v_lshlrev_b64 v[20:21], 2, v[18:19]
	s_delay_alu instid0(VALU_DEP_4) | instskip(SKIP_3) | instid1(VALU_DEP_4)
	v_dual_mul_f32 v15, v0, v8 :: v_dual_add_nc_u32 v18, 0x80, v18
	v_lshrrev_b32_e32 v5, 16, v57
	v_lshrrev_b32_e32 v8, 16, v58
	v_cvt_f32_f16_e32 v12, v57
	v_lshlrev_b64 v[24:25], 2, v[18:19]
	v_add_co_u32 v22, vcc_lo, s28, v20
	v_cvt_f32_f16_e32 v5, v5
	v_cvt_f32_f16_e32 v8, v8
	;; [unrolled: 1-line block ×3, first 2 shown]
	v_add_co_ci_u32_e32 v23, vcc_lo, s29, v21, vcc_lo
	v_add_co_u32 v24, vcc_lo, s28, v24
	v_mul_f32_e32 v14, v0, v14
	v_mul_f32_e32 v21, v0, v5
	;; [unrolled: 1-line block ×5, first 2 shown]
	v_add_co_ci_u32_e32 v25, vcc_lo, s29, v25, vcc_lo
	s_clause 0x1
	global_store_b128 v[22:23], v[14:17], off
	global_store_b128 v[24:25], v[18:21], off
	s_and_saveexec_b32 s2, s0
	s_cbranch_execz .LBB61_56
; %bb.55:
	v_ashrrev_i32_e32 v5, 31, v4
	v_mov_b32_e32 v8, v1
	s_delay_alu instid0(VALU_DEP_2) | instskip(NEXT) | instid1(VALU_DEP_1)
	v_lshlrev_b64 v[14:15], 3, v[4:5]
	v_add_co_u32 v14, vcc_lo, s30, v14
	s_delay_alu instid0(VALU_DEP_2)
	v_add_co_ci_u32_e32 v15, vcc_lo, s31, v15, vcc_lo
	global_store_b64 v[14:15], v[8:9], off
.LBB61_56:
	s_or_b32 exec_lo, exec_lo, s2
	v_cmp_ne_u32_e32 vcc_lo, 1, v13
	v_mov_b32_e32 v1, 1.0
	s_cbranch_vccnz .LBB61_58
; %bb.57:
	v_div_scale_f32 v0, null, v6, v6, 1.0
	s_delay_alu instid0(VALU_DEP_1) | instskip(SKIP_2) | instid1(VALU_DEP_1)
	v_rcp_f32_e32 v1, v0
	s_waitcnt_depctr 0xfff
	v_fma_f32 v5, -v0, v1, 1.0
	v_fmac_f32_e32 v1, v5, v1
	v_div_scale_f32 v5, vcc_lo, 1.0, v6, 1.0
	s_delay_alu instid0(VALU_DEP_1) | instskip(NEXT) | instid1(VALU_DEP_1)
	v_mul_f32_e32 v8, v5, v1
	v_fma_f32 v9, -v0, v8, v5
	s_delay_alu instid0(VALU_DEP_1) | instskip(NEXT) | instid1(VALU_DEP_1)
	v_fmac_f32_e32 v8, v9, v1
	v_fma_f32 v0, -v0, v8, v5
	s_delay_alu instid0(VALU_DEP_1) | instskip(NEXT) | instid1(VALU_DEP_1)
	v_div_fmas_f32 v0, v0, v1, v8
	v_div_fixup_f32 v1, v0, v6, 1.0
.LBB61_58:
	v_lshrrev_b32_e32 v6, 16, v55
	v_dual_mov_b32 v5, 0 :: v_dual_add_nc_u32 v0, s1, v4
	v_lshrrev_b32_e32 v8, 16, v52
	v_cvt_f32_f16_e32 v9, v55
	s_delay_alu instid0(VALU_DEP_4) | instskip(NEXT) | instid1(VALU_DEP_4)
	v_cvt_f32_f16_e32 v6, v6
	v_lshl_add_u32 v4, v0, 8, v31
	v_cvt_f32_f16_e32 v14, v52
	v_cvt_f32_f16_e32 v12, v8
	v_mul_f32_e32 v16, v1, v9
	v_mul_f32_e32 v17, v1, v6
	v_lshlrev_b64 v[8:9], 2, v[4:5]
	v_add_nc_u32_e32 v4, 0x80, v4
	v_mul_f32_e32 v15, v1, v12
	v_lshrrev_b32_e32 v6, 16, v54
	v_lshrrev_b32_e32 v12, 16, v53
	v_cvt_f32_f16_e32 v18, v54
	v_lshlrev_b64 v[4:5], 2, v[4:5]
	v_add_co_u32 v8, vcc_lo, s28, v8
	v_cvt_f32_f16_e32 v6, v6
	v_cvt_f32_f16_e32 v12, v12
	;; [unrolled: 1-line block ×3, first 2 shown]
	v_add_co_ci_u32_e32 v9, vcc_lo, s29, v9, vcc_lo
	v_add_co_u32 v4, vcc_lo, s28, v4
	v_mul_f32_e32 v14, v1, v14
	v_mul_f32_e32 v21, v1, v6
	;; [unrolled: 1-line block ×5, first 2 shown]
	v_add_co_ci_u32_e32 v5, vcc_lo, s29, v5, vcc_lo
	s_clause 0x1
	global_store_b128 v[8:9], v[14:17], off
	global_store_b128 v[4:5], v[18:21], off
	s_and_saveexec_b32 s2, s0
	s_cbranch_execz .LBB61_60
; %bb.59:
	v_ashrrev_i32_e32 v1, 31, v0
	v_mov_b32_e32 v9, v2
	s_delay_alu instid0(VALU_DEP_2) | instskip(NEXT) | instid1(VALU_DEP_1)
	v_lshlrev_b64 v[4:5], 3, v[0:1]
	v_add_co_u32 v4, vcc_lo, s30, v4
	s_delay_alu instid0(VALU_DEP_2)
	v_add_co_ci_u32_e32 v5, vcc_lo, s31, v5, vcc_lo
	global_store_b64 v[4:5], v[9:10], off
.LBB61_60:
	s_or_b32 exec_lo, exec_lo, s2
	v_cmp_ne_u32_e32 vcc_lo, 1, v13
	v_mov_b32_e32 v1, 1.0
	s_cbranch_vccnz .LBB61_62
; %bb.61:
	v_div_scale_f32 v1, null, v7, v7, 1.0
	s_delay_alu instid0(VALU_DEP_1) | instskip(SKIP_2) | instid1(VALU_DEP_1)
	v_rcp_f32_e32 v2, v1
	s_waitcnt_depctr 0xfff
	v_fma_f32 v4, -v1, v2, 1.0
	v_fmac_f32_e32 v2, v4, v2
	v_div_scale_f32 v4, vcc_lo, 1.0, v7, 1.0
	s_delay_alu instid0(VALU_DEP_1) | instskip(NEXT) | instid1(VALU_DEP_1)
	v_mul_f32_e32 v5, v4, v2
	v_fma_f32 v6, -v1, v5, v4
	s_delay_alu instid0(VALU_DEP_1) | instskip(NEXT) | instid1(VALU_DEP_1)
	v_fmac_f32_e32 v5, v6, v2
	v_fma_f32 v1, -v1, v5, v4
	s_delay_alu instid0(VALU_DEP_1) | instskip(NEXT) | instid1(VALU_DEP_1)
	v_div_fmas_f32 v1, v1, v2, v5
	v_div_fixup_f32 v1, v1, v7, 1.0
.LBB61_62:
	v_lshrrev_b32_e32 v2, 16, v51
	v_dual_mov_b32 v9, 0 :: v_dual_add_nc_u32 v0, s1, v0
	v_lshrrev_b32_e32 v4, 16, v50
	v_cvt_f32_f16_e32 v5, v51
	s_delay_alu instid0(VALU_DEP_4) | instskip(NEXT) | instid1(VALU_DEP_4)
	v_cvt_f32_f16_e32 v2, v2
	v_lshl_add_u32 v8, v0, 8, v31
	v_cvt_f32_f16_e32 v10, v50
	v_cvt_f32_f16_e32 v4, v4
	v_mul_f32_e32 v6, v1, v5
	v_mul_f32_e32 v7, v1, v2
	v_lshlrev_b64 v[12:13], 2, v[8:9]
	v_add_nc_u32_e32 v8, 0x80, v8
	v_mul_f32_e32 v5, v1, v4
	v_mul_f32_e32 v4, v1, v10
	v_lshrrev_b32_e32 v2, 16, v48
	v_lshrrev_b32_e32 v10, 16, v49
	v_lshlrev_b64 v[8:9], 2, v[8:9]
	v_add_co_u32 v16, vcc_lo, s28, v12
	s_delay_alu instid0(VALU_DEP_4)
	v_cvt_f32_f16_e32 v2, v2
	v_cvt_f32_f16_e32 v12, v48
	;; [unrolled: 1-line block ×4, first 2 shown]
	v_add_co_ci_u32_e32 v17, vcc_lo, s29, v13, vcc_lo
	v_mul_f32_e32 v15, v1, v2
	v_mul_f32_e32 v14, v1, v12
	;; [unrolled: 1-line block ×4, first 2 shown]
	v_add_co_u32 v1, vcc_lo, s28, v8
	v_add_co_ci_u32_e32 v2, vcc_lo, s29, v9, vcc_lo
	s_clause 0x1
	global_store_b128 v[16:17], v[4:7], off
	global_store_b128 v[1:2], v[12:15], off
	s_and_b32 exec_lo, exec_lo, s0
	s_cbranch_execz .LBB61_46
; %bb.63:
	v_ashrrev_i32_e32 v1, 31, v0
	v_mov_b32_e32 v10, v3
	s_delay_alu instid0(VALU_DEP_2) | instskip(NEXT) | instid1(VALU_DEP_1)
	v_lshlrev_b64 v[0:1], 3, v[0:1]
	v_add_co_u32 v0, vcc_lo, s30, v0
	s_delay_alu instid0(VALU_DEP_2)
	v_add_co_ci_u32_e32 v1, vcc_lo, s31, v1, vcc_lo
	global_store_b64 v[0:1], v[10:11], off
	s_nop 0
	s_sendmsg sendmsg(MSG_DEALLOC_VGPRS)
	s_endpgm
	.section	.rodata,"a",@progbits
	.p2align	6, 0x0
	.amdhsa_kernel _ZL15flash_attn_tileILi256ELi256ELi8ELi4ELb1EEvPKcS1_S1_S1_S1_PKiPfP15HIP_vector_typeIfLj2EEffffjfiS5_IjLj3EEiiiiiiiiiiiliiliiiiil
		.amdhsa_group_segment_fixed_size 37888
		.amdhsa_private_segment_fixed_size 0
		.amdhsa_kernarg_size 464
		.amdhsa_user_sgpr_count 13
		.amdhsa_user_sgpr_dispatch_ptr 0
		.amdhsa_user_sgpr_queue_ptr 0
		.amdhsa_user_sgpr_kernarg_segment_ptr 1
		.amdhsa_user_sgpr_dispatch_id 0
		.amdhsa_user_sgpr_private_segment_size 0
		.amdhsa_wavefront_size32 1
		.amdhsa_uses_dynamic_stack 0
		.amdhsa_enable_private_segment 0
		.amdhsa_system_sgpr_workgroup_id_x 1
		.amdhsa_system_sgpr_workgroup_id_y 1
		.amdhsa_system_sgpr_workgroup_id_z 1
		.amdhsa_system_sgpr_workgroup_info 0
		.amdhsa_system_vgpr_workitem_id 1
		.amdhsa_next_free_vgpr 213
		.amdhsa_next_free_sgpr 40
		.amdhsa_reserve_vcc 1
		.amdhsa_float_round_mode_32 0
		.amdhsa_float_round_mode_16_64 0
		.amdhsa_float_denorm_mode_32 3
		.amdhsa_float_denorm_mode_16_64 3
		.amdhsa_dx10_clamp 1
		.amdhsa_ieee_mode 1
		.amdhsa_fp16_overflow 0
		.amdhsa_workgroup_processor_mode 1
		.amdhsa_memory_ordered 1
		.amdhsa_forward_progress 0
		.amdhsa_shared_vgpr_count 0
		.amdhsa_exception_fp_ieee_invalid_op 0
		.amdhsa_exception_fp_denorm_src 0
		.amdhsa_exception_fp_ieee_div_zero 0
		.amdhsa_exception_fp_ieee_overflow 0
		.amdhsa_exception_fp_ieee_underflow 0
		.amdhsa_exception_fp_ieee_inexact 0
		.amdhsa_exception_int_div_zero 0
	.end_amdhsa_kernel
	.section	.text._ZL15flash_attn_tileILi256ELi256ELi8ELi4ELb1EEvPKcS1_S1_S1_S1_PKiPfP15HIP_vector_typeIfLj2EEffffjfiS5_IjLj3EEiiiiiiiiiiiliiliiiiil,"axG",@progbits,_ZL15flash_attn_tileILi256ELi256ELi8ELi4ELb1EEvPKcS1_S1_S1_S1_PKiPfP15HIP_vector_typeIfLj2EEffffjfiS5_IjLj3EEiiiiiiiiiiiliiliiiiil,comdat
.Lfunc_end61:
	.size	_ZL15flash_attn_tileILi256ELi256ELi8ELi4ELb1EEvPKcS1_S1_S1_S1_PKiPfP15HIP_vector_typeIfLj2EEffffjfiS5_IjLj3EEiiiiiiiiiiiliiliiiiil, .Lfunc_end61-_ZL15flash_attn_tileILi256ELi256ELi8ELi4ELb1EEvPKcS1_S1_S1_S1_PKiPfP15HIP_vector_typeIfLj2EEffffjfiS5_IjLj3EEiiiiiiiiiiiliiliiiiil
                                        ; -- End function
	.section	.AMDGPU.csdata,"",@progbits
; Kernel info:
; codeLenInByte = 42028
; NumSgprs: 42
; NumVgprs: 213
; ScratchSize: 0
; MemoryBound: 0
; FloatMode: 240
; IeeeMode: 1
; LDSByteSize: 37888 bytes/workgroup (compile time only)
; SGPRBlocks: 5
; VGPRBlocks: 26
; NumSGPRsForWavesPerEU: 42
; NumVGPRsForWavesPerEU: 213
; Occupancy: 6
; WaveLimiterHint : 1
; COMPUTE_PGM_RSRC2:SCRATCH_EN: 0
; COMPUTE_PGM_RSRC2:USER_SGPR: 13
; COMPUTE_PGM_RSRC2:TRAP_HANDLER: 0
; COMPUTE_PGM_RSRC2:TGID_X_EN: 1
; COMPUTE_PGM_RSRC2:TGID_Y_EN: 1
; COMPUTE_PGM_RSRC2:TGID_Z_EN: 1
; COMPUTE_PGM_RSRC2:TIDIG_COMP_CNT: 1
	.section	.text._ZL15flash_attn_tileILi256ELi256ELi4ELi4ELb1EEvPKcS1_S1_S1_S1_PKiPfP15HIP_vector_typeIfLj2EEffffjfiS5_IjLj3EEiiiiiiiiiiiliiliiiiil,"axG",@progbits,_ZL15flash_attn_tileILi256ELi256ELi4ELi4ELb1EEvPKcS1_S1_S1_S1_PKiPfP15HIP_vector_typeIfLj2EEffffjfiS5_IjLj3EEiiiiiiiiiiiliiliiiiil,comdat
	.globl	_ZL15flash_attn_tileILi256ELi256ELi4ELi4ELb1EEvPKcS1_S1_S1_S1_PKiPfP15HIP_vector_typeIfLj2EEffffjfiS5_IjLj3EEiiiiiiiiiiiliiliiiiil ; -- Begin function _ZL15flash_attn_tileILi256ELi256ELi4ELi4ELb1EEvPKcS1_S1_S1_S1_PKiPfP15HIP_vector_typeIfLj2EEffffjfiS5_IjLj3EEiiiiiiiiiiiliiliiiiil
	.p2align	8
	.type	_ZL15flash_attn_tileILi256ELi256ELi4ELi4ELb1EEvPKcS1_S1_S1_S1_PKiPfP15HIP_vector_typeIfLj2EEffffjfiS5_IjLj3EEiiiiiiiiiiiliiliiiiil,@function
_ZL15flash_attn_tileILi256ELi256ELi4ELi4ELb1EEvPKcS1_S1_S1_S1_PKiPfP15HIP_vector_typeIfLj2EEffffjfiS5_IjLj3EEiiiiiiiiiiiliiliiiiil: ; @_ZL15flash_attn_tileILi256ELi256ELi4ELi4ELb1EEvPKcS1_S1_S1_S1_PKiPfP15HIP_vector_typeIfLj2EEffffjfiS5_IjLj3EEiiiiiiiiiiiliiliiiiil
; %bb.0:
	s_clause 0x1
	s_load_b128 s[4:7], s[0:1], 0x5c
	s_load_b64 s[2:3], s[0:1], 0x80
	s_mov_b64 s[34:35], 0
	s_waitcnt lgkmcnt(0)
	s_ashr_i32 s8, s7, 31
	s_delay_alu instid0(SALU_CYCLE_1) | instskip(NEXT) | instid1(SALU_CYCLE_1)
	s_lshr_b32 s8, s8, 30
	s_add_i32 s8, s7, s8
	s_delay_alu instid0(SALU_CYCLE_1) | instskip(NEXT) | instid1(SALU_CYCLE_1)
	s_ashr_i32 s8, s8, 2
	v_cvt_f32_u32_e32 v1, s8
	s_sub_i32 s10, 0, s8
	s_delay_alu instid0(VALU_DEP_1) | instskip(SKIP_2) | instid1(VALU_DEP_1)
	v_rcp_iflag_f32_e32 v1, v1
	s_waitcnt_depctr 0xfff
	v_mul_f32_e32 v1, 0x4f7ffffe, v1
	v_cvt_u32_f32_e32 v1, v1
	s_delay_alu instid0(VALU_DEP_1) | instskip(NEXT) | instid1(VALU_DEP_1)
	v_readfirstlane_b32 s9, v1
	s_mul_i32 s10, s10, s9
	s_delay_alu instid0(SALU_CYCLE_1) | instskip(NEXT) | instid1(SALU_CYCLE_1)
	s_mul_hi_u32 s10, s9, s10
	s_add_i32 s9, s9, s10
	s_delay_alu instid0(SALU_CYCLE_1) | instskip(NEXT) | instid1(SALU_CYCLE_1)
	s_mul_hi_u32 s9, s15, s9
	s_mul_i32 s10, s9, s8
	s_add_i32 s11, s9, 1
	s_sub_i32 s10, s15, s10
	s_delay_alu instid0(SALU_CYCLE_1)
	s_sub_i32 s12, s10, s8
	s_cmp_ge_u32 s10, s8
	s_cselect_b32 s9, s11, s9
	s_cselect_b32 s10, s12, s10
	s_add_i32 s11, s9, 1
	s_cmp_ge_u32 s10, s8
	s_cselect_b32 s12, s11, s9
	s_abs_i32 s8, s3
	s_abs_i32 s16, s7
	v_cvt_f32_u32_e32 v1, s8
	s_sub_i32 s10, 0, s8
	s_lshl_b32 s11, s15, 2
	s_mul_i32 s15, s12, s7
	s_xor_b32 s3, s7, s3
	v_rcp_iflag_f32_e32 v1, v1
	s_sub_i32 s15, s11, s15
	s_ashr_i32 s3, s3, 31
	s_waitcnt_depctr 0xfff
	v_mul_f32_e32 v1, 0x4f7ffffe, v1
	s_delay_alu instid0(VALU_DEP_1) | instskip(NEXT) | instid1(VALU_DEP_1)
	v_cvt_u32_f32_e32 v1, v1
	v_readfirstlane_b32 s9, v1
	s_delay_alu instid0(VALU_DEP_1) | instskip(NEXT) | instid1(SALU_CYCLE_1)
	s_mul_i32 s10, s10, s9
	s_mul_hi_u32 s10, s9, s10
	s_delay_alu instid0(SALU_CYCLE_1) | instskip(NEXT) | instid1(SALU_CYCLE_1)
	s_add_i32 s9, s9, s10
	s_mul_hi_u32 s9, s16, s9
	s_delay_alu instid0(SALU_CYCLE_1) | instskip(SKIP_2) | instid1(SALU_CYCLE_1)
	s_mul_i32 s10, s9, s8
	s_add_i32 s11, s9, 1
	s_sub_i32 s10, s16, s10
	s_sub_i32 s16, s10, s8
	s_cmp_ge_u32 s10, s8
	s_cselect_b32 s9, s11, s9
	s_cselect_b32 s10, s16, s10
	s_add_i32 s11, s9, 1
	s_cmp_ge_u32 s10, s8
	s_clause 0x1
	s_load_b512 s[16:31], s[0:1], 0x0
	s_load_b64 s[36:37], s[0:1], 0xb8
	s_cselect_b32 s8, s11, s9
	s_delay_alu instid0(SALU_CYCLE_1) | instskip(NEXT) | instid1(SALU_CYCLE_1)
	s_xor_b32 s8, s8, s3
	s_sub_i32 s38, s8, s3
	s_delay_alu instid0(SALU_CYCLE_1) | instskip(NEXT) | instid1(SALU_CYCLE_1)
	s_abs_i32 s33, s38
	v_cvt_f32_u32_e32 v1, s33
	s_delay_alu instid0(VALU_DEP_1) | instskip(SKIP_4) | instid1(VALU_DEP_1)
	v_rcp_iflag_f32_e32 v1, v1
	s_waitcnt lgkmcnt(0)
	s_cmp_eq_u64 s[22:23], 0
	s_waitcnt_depctr 0xfff
	v_mul_f32_e32 v1, 0x4f7ffffe, v1
	v_cvt_u32_f32_e32 v1, v1
	s_delay_alu instid0(VALU_DEP_1)
	v_readfirstlane_b32 s39, v1
	s_cbranch_scc1 .LBB62_2
; %bb.1:
	s_abs_i32 s3, s36
	s_abs_i32 s10, s12
	v_cvt_f32_u32_e32 v1, s3
	s_sub_i32 s9, 0, s3
	s_delay_alu instid0(VALU_DEP_1) | instskip(SKIP_2) | instid1(VALU_DEP_1)
	v_rcp_iflag_f32_e32 v1, v1
	s_waitcnt_depctr 0xfff
	v_mul_f32_e32 v1, 0x4f7ffffe, v1
	v_cvt_u32_f32_e32 v1, v1
	s_delay_alu instid0(VALU_DEP_1) | instskip(NEXT) | instid1(VALU_DEP_1)
	v_readfirstlane_b32 s8, v1
	s_mul_i32 s9, s9, s8
	s_delay_alu instid0(SALU_CYCLE_1) | instskip(NEXT) | instid1(SALU_CYCLE_1)
	s_mul_hi_u32 s9, s8, s9
	s_add_i32 s11, s8, s9
	s_load_b64 s[8:9], s[0:1], 0xc8
	s_mul_hi_u32 s11, s10, s11
	s_delay_alu instid0(SALU_CYCLE_1) | instskip(NEXT) | instid1(SALU_CYCLE_1)
	s_mul_i32 s11, s11, s3
	s_sub_i32 s10, s10, s11
	s_ashr_i32 s11, s12, 31
	s_sub_i32 s34, s10, s3
	s_cmp_ge_u32 s10, s3
	s_cselect_b32 s10, s34, s10
	s_delay_alu instid0(SALU_CYCLE_1) | instskip(SKIP_2) | instid1(SALU_CYCLE_1)
	s_sub_i32 s34, s10, s3
	s_cmp_ge_u32 s10, s3
	s_cselect_b32 s3, s34, s10
	s_xor_b32 s3, s3, s11
	s_delay_alu instid0(SALU_CYCLE_1)
	s_sub_i32 s3, s3, s11
	s_waitcnt lgkmcnt(0)
	s_mul_i32 s9, s3, s9
	s_mul_hi_u32 s10, s3, s8
	s_ashr_i32 s11, s3, 31
	s_add_i32 s9, s10, s9
	s_mul_i32 s11, s11, s8
	s_mul_i32 s3, s3, s8
	s_add_i32 s9, s9, s11
	s_add_u32 s34, s22, s3
	s_addc_u32 s35, s23, s9
.LBB62_2:
	v_bfe_u32 v1, v0, 10, 10
	s_load_b128 s[8:11], s[0:1], 0x70
	v_and_b32_e32 v17, 0x3ff, v0
	s_delay_alu instid0(VALU_DEP_2) | instskip(SKIP_2) | instid1(VALU_DEP_4)
	v_lshrrev_b32_e32 v2, 1, v1
	v_lshlrev_b32_e32 v5, 1, v1
	v_lshlrev_b32_e32 v22, 8, v1
	v_lshlrev_b32_e32 v0, 4, v17
	s_delay_alu instid0(VALU_DEP_4) | instskip(NEXT) | instid1(VALU_DEP_4)
	v_lshl_add_u32 v16, s13, 2, v2
	v_or_b32_e32 v15, 1, v5
	v_and_b32_e32 v38, 2, v5
	s_delay_alu instid0(VALU_DEP_3) | instskip(NEXT) | instid1(VALU_DEP_3)
	v_mul_hi_u32 v2, s4, v16
	v_and_b32_e32 v12, 3, v15
	v_lshlrev_b32_e32 v15, 7, v15
	s_waitcnt lgkmcnt(0)
	s_mul_i32 s3, s12, s10
	s_mul_i32 s4, s15, s9
	s_delay_alu instid0(VALU_DEP_3) | instskip(NEXT) | instid1(VALU_DEP_1)
	v_add_nc_u32_e32 v2, v16, v2
	v_lshrrev_b32_e32 v2, s5, v2
	s_ashr_i32 s5, s3, 31
	s_add_u32 s3, s16, s3
	s_addc_u32 s5, s17, s5
	s_ashr_i32 s10, s4, 31
	v_mul_lo_u32 v2, v2, s6
	s_add_u32 s3, s3, s4
	s_addc_u32 s4, s5, s10
	s_ashr_i32 s5, s8, 31
	s_delay_alu instid0(SALU_CYCLE_1) | instskip(SKIP_2) | instid1(VALU_DEP_2)
	v_alignbit_b32 v6, s5, s8, 2
	s_ashr_i32 s8, s9, 31
	s_lshr_b32 s5, s5, 2
	v_sub_nc_u32_e32 v2, v16, v2
	v_alignbit_b32 v10, s8, s9, 2
	s_lshr_b32 s10, s8, 2
	s_cmp_eq_u64 s[26:27], 0
	v_mul_lo_u32 v11, s10, v38
	v_mad_u64_u32 v[3:4], null, v6, v2, 0
	v_mad_u64_u32 v[8:9], null, v10, v38, 0
	s_delay_alu instid0(VALU_DEP_2) | instskip(SKIP_1) | instid1(VALU_DEP_3)
	v_mad_u64_u32 v[5:6], null, s5, v2, v[4:5]
	v_mad_u64_u32 v[6:7], null, v10, v12, 0
	v_or_b32_e32 v9, v9, v11
	s_delay_alu instid0(VALU_DEP_3) | instskip(NEXT) | instid1(VALU_DEP_2)
	v_mov_b32_e32 v4, v5
	v_lshlrev_b64 v[8:9], 2, v[8:9]
	s_delay_alu instid0(VALU_DEP_4) | instskip(NEXT) | instid1(VALU_DEP_3)
	v_mov_b32_e32 v5, v7
	v_lshlrev_b64 v[3:4], 2, v[3:4]
	s_delay_alu instid0(VALU_DEP_2) | instskip(NEXT) | instid1(VALU_DEP_2)
	v_mad_u64_u32 v[10:11], null, s10, v12, v[5:6]
	v_add_co_u32 v3, vcc_lo, s3, v3
	s_delay_alu instid0(VALU_DEP_3) | instskip(NEXT) | instid1(VALU_DEP_3)
	v_add_co_ci_u32_e32 v4, vcc_lo, s4, v4, vcc_lo
	v_mov_b32_e32 v7, v10
	s_delay_alu instid0(VALU_DEP_3) | instskip(NEXT) | instid1(VALU_DEP_3)
	v_add_co_u32 v0, vcc_lo, v3, v0
	v_add_co_ci_u32_e32 v5, vcc_lo, 0, v4, vcc_lo
	s_delay_alu instid0(VALU_DEP_3) | instskip(NEXT) | instid1(VALU_DEP_3)
	v_lshlrev_b64 v[3:4], 2, v[6:7]
	v_add_co_u32 v7, vcc_lo, v0, v8
	s_delay_alu instid0(VALU_DEP_3) | instskip(SKIP_1) | instid1(VALU_DEP_3)
	v_add_co_ci_u32_e32 v8, vcc_lo, v5, v9, vcc_lo
	s_load_b32 s3, s[0:1], 0x40
	v_add_co_u32 v18, vcc_lo, v0, v3
	s_delay_alu instid0(VALU_DEP_4)
	v_add_co_ci_u32_e32 v19, vcc_lo, v5, v4, vcc_lo
	s_clause 0x3
	global_load_b128 v[3:6], v[7:8], off
	global_load_b128 v[7:10], v[7:8], off offset:512
	global_load_b128 v[11:14], v[18:19], off
	global_load_b128 v[18:21], v[18:19], off offset:512
	v_lshlrev_b32_e32 v0, 1, v17
	s_delay_alu instid0(VALU_DEP_1) | instskip(SKIP_1) | instid1(VALU_DEP_2)
	v_add_lshl_u32 v22, v22, v0, 2
	v_add_lshl_u32 v15, v15, v0, 2
	v_add_nc_u32_e32 v30, 0x4000, v22
	s_delay_alu instid0(VALU_DEP_2)
	v_add_nc_u32_e32 v15, 0x4000, v15
	s_waitcnt vmcnt(3) lgkmcnt(0)
	v_fma_mixlo_f16 v22, v3, s3, 0
	v_fma_mixlo_f16 v23, v5, s3, 0
	s_waitcnt vmcnt(2)
	v_fma_mixlo_f16 v24, v7, s3, 0
	v_fma_mixlo_f16 v25, v9, s3, 0
	s_waitcnt vmcnt(1)
	;; [unrolled: 3-line block ×3, first 2 shown]
	v_fma_mixlo_f16 v28, v18, s3, 0
	v_fma_mixlo_f16 v29, v20, s3, 0
	v_fma_mixhi_f16 v23, v6, s3, 0
	v_fma_mixhi_f16 v22, v4, s3, 0
	;; [unrolled: 1-line block ×8, first 2 shown]
	s_mov_b32 s3, 0
	ds_store_2addr_b64 v30, v[22:23], v[24:25] offset0:64 offset1:96
	ds_store_2addr_b64 v15, v[26:27], v[28:29] offset0:64 offset1:96
	s_waitcnt lgkmcnt(0)
	s_barrier
	buffer_gl0_inv
	s_cbranch_scc1 .LBB62_4
; %bb.3:
	s_load_b32 s2, s[0:1], 0xd0
	s_waitcnt lgkmcnt(0)
	s_mul_i32 s2, s2, s12
	s_delay_alu instid0(SALU_CYCLE_1) | instskip(NEXT) | instid1(SALU_CYCLE_1)
	s_add_i32 s2, s2, s13
	s_lshl_b64 s[2:3], s[2:3], 2
	s_delay_alu instid0(SALU_CYCLE_1)
	s_add_u32 s2, s26, s2
	s_addc_u32 s3, s27, s3
	s_load_b32 s2, s[2:3], 0x0
.LBB62_4:
	v_lshlrev_b32_e32 v37, 2, v17
	v_mbcnt_lo_u32_b32 v39, -1, 0
	s_lshl_b32 s3, s14, 5
	s_waitcnt lgkmcnt(0)
	s_cmp_lt_i32 s3, s2
	s_cbranch_scc1 .LBB62_6
; %bb.5:
	v_mbcnt_lo_u32_b32 v3, -1, 0
	v_mov_b32_e32 v44, 32
	s_mov_b32 s4, 0
	s_mov_b32 s5, 0xfeffffff
	s_delay_alu instid0(VALU_DEP_2)
	v_xor_b32_e32 v71, 16, v3
	v_xor_b32_e32 v67, 8, v3
	;; [unrolled: 1-line block ×5, first 2 shown]
	s_branch .LBB62_7
.LBB62_6:
	s_mov_b32 s4, -1
                                        ; implicit-def: $sgpr5
                                        ; implicit-def: $vgpr3
                                        ; implicit-def: $vgpr44
                                        ; implicit-def: $vgpr71
                                        ; implicit-def: $vgpr67
                                        ; implicit-def: $vgpr68
                                        ; implicit-def: $vgpr69
                                        ; implicit-def: $vgpr70
.LBB62_7:
	s_delay_alu instid0(SALU_CYCLE_1) | instskip(SKIP_2) | instid1(VALU_DEP_3)
	v_cndmask_b32_e64 v4, 0, 1, s4
	v_dual_mov_b32 v36, s5 :: v_dual_mov_b32 v73, s4
	v_dual_mov_b32 v45, s4 :: v_dual_mov_b32 v46, s4
	v_cmp_ne_u32_e32 vcc_lo, 1, v4
	v_dual_mov_b32 v35, s5 :: v_dual_mov_b32 v40, s4
	v_dual_mov_b32 v47, s4 :: v_dual_mov_b32 v42, s4
	v_mov_b32_e32 v49, s4
	v_mov_b32_e32 v51, s4
	;; [unrolled: 1-line block ×4, first 2 shown]
	s_cbranch_vccnz .LBB62_20
; %bb.8:
	s_clause 0x1
	s_load_b128 s[8:11], s[0:1], 0x98
	s_load_b64 s[4:5], s[0:1], 0x8c
	s_sub_i32 s13, 0, s33
	s_abs_i32 s22, s15
	s_mul_i32 s13, s13, s39
	s_ashr_i32 s27, s37, 1
	s_mul_hi_u32 s13, s39, s13
	s_ashr_i32 s37, s12, 31
	s_add_i32 s39, s39, s13
	s_ashr_i32 s23, s15, 31
	s_mul_hi_u32 s36, s22, s39
	s_ashr_i32 s26, s38, 31
	s_load_b64 s[16:17], s[0:1], 0xa8
	s_mul_i32 s38, s36, s33
	v_dual_mov_b32 v41, 0 :: v_dual_lshlrev_b32 v48, 2, v37
	v_lshl_add_u32 v56, v1, 10, 0x4200
	v_lshl_add_u32 v57, v1, 7, 0x6200
	v_mad_u64_u32 v[18:19], null, v2, s27, v[17:18]
	s_waitcnt lgkmcnt(0)
	s_mul_i32 s39, s37, s8
	s_ashr_i32 s13, s4, 2
	s_mul_i32 s4, s12, s9
	s_mul_hi_u32 s9, s12, s8
	s_mul_i32 s8, s12, s8
	s_add_i32 s4, s9, s4
	s_ashr_i32 s10, s10, 2
	s_add_i32 s4, s4, s39
	s_add_u32 s8, s18, s8
	s_addc_u32 s4, s19, s4
	s_sub_i32 s18, s22, s38
	s_xor_b32 s9, s23, s26
	s_add_i32 s19, s36, 1
	s_sub_i32 s22, s18, s33
	s_cmp_ge_u32 s18, s33
	s_mul_i32 s17, s12, s17
	s_cselect_b32 s19, s19, s36
	s_cselect_b32 s18, s22, s18
	s_add_i32 s22, s19, 1
	s_cmp_ge_u32 s18, s33
	s_mul_i32 s37, s37, s16
	s_cselect_b32 s18, s22, s19
	s_mul_hi_u32 s19, s12, s16
	s_xor_b32 s18, s18, s9
	v_mul_lo_u32 v3, s13, v1
	s_sub_i32 s18, s18, s9
	v_mul_lo_u32 v7, s10, v1
	s_mul_i32 s5, s18, s5
	s_mul_i32 s16, s12, s16
	s_ashr_i32 s9, s5, 31
	s_add_u32 s8, s8, s5
	s_addc_u32 s9, s4, s9
	s_add_i32 s4, s19, s17
	s_mul_i32 s18, s18, s11
	s_add_i32 s4, s4, s37
	s_add_u32 s5, s20, s16
	s_addc_u32 s4, s21, s4
	s_ashr_i32 s16, s18, 31
	s_add_u32 s11, s5, s18
	s_addc_u32 s16, s4, s16
	s_lshl_b32 s4, s13, 3
	s_lshl_b32 s5, s10, 3
	v_dual_mov_b32 v66, 0xfeffffff :: v_dual_add_nc_u32 v5, s4, v3
	v_dual_mov_b32 v46, 0 :: v_dual_add_nc_u32 v13, s5, v7
	v_mad_u32_u24 v50, 0x210, v1, v48
	s_delay_alu instid0(VALU_DEP_3) | instskip(SKIP_1) | instid1(VALU_DEP_4)
	v_dual_mov_b32 v44, 32 :: v_dual_add_nc_u32 v9, s4, v5
	v_lshl_add_u32 v58, v1, 9, v48
	v_dual_mov_b32 v64, 0 :: v_dual_add_nc_u32 v1, s5, v13
	s_load_b32 s17, s[0:1], 0x54
	s_delay_alu instid0(VALU_DEP_3) | instskip(NEXT) | instid1(VALU_DEP_2)
	v_dual_mov_b32 v40, 0 :: v_dual_add_nc_u32 v11, s4, v9
	v_add_nc_u32_e32 v33, s5, v1
	v_ashrrev_i32_e32 v4, 31, v3
	v_ashrrev_i32_e32 v6, 31, v5
	;; [unrolled: 1-line block ×8, first 2 shown]
	v_lshlrev_b64 v[19:20], 2, v[3:4]
	v_lshlrev_b64 v[21:22], 2, v[5:6]
	v_lshlrev_b64 v[23:24], 2, v[9:10]
	v_lshlrev_b64 v[25:26], 2, v[11:12]
	v_lshlrev_b64 v[27:28], 2, v[7:8]
	v_lshlrev_b64 v[29:30], 2, v[13:14]
	v_lshlrev_b64 v[31:32], 2, v[1:2]
	v_lshlrev_b64 v[33:34], 2, v[33:34]
	v_dual_mov_b32 v47, 0 :: v_dual_add_nc_u32 v52, 0x1080, v50
	v_dual_mov_b32 v42, 0 :: v_dual_add_nc_u32 v53, 0x2100, v50
	;; [unrolled: 1-line block ×3, first 2 shown]
	v_mul_u32_u24_e32 v55, 0x210, v17
	v_lshl_add_u32 v59, v0, 1, v57
	v_dual_mov_b32 v51, 0 :: v_dual_add_nc_u32 v60, 0x1000, v58
	v_add_nc_u32_e32 v61, 0x2000, v58
	v_dual_mov_b32 v49, 0 :: v_dual_add_nc_u32 v62, 0x3000, v58
	v_lshlrev_b32_e32 v63, 2, v0
	v_mov_b32_e32 v45, 0
	v_mov_b32_e32 v65, 0xfeffffff
	s_add_u32 s4, s0, 0xd0
	s_addc_u32 s5, s1, 0
	s_mov_b32 s18, 0xbbbac73d
.LBB62_9:                               ; =>This Inner Loop Header: Depth=1
	s_mul_hi_i32 s21, s3, s13
	s_mul_i32 s20, s3, s13
	v_mov_b32_e32 v35, 0
	s_lshl_b64 s[20:21], s[20:21], 2
	s_delay_alu instid0(SALU_CYCLE_1)
	s_add_u32 s19, s8, s20
	s_addc_u32 s20, s9, s21
	v_add_co_u32 v0, vcc_lo, s19, v19
	v_add_co_ci_u32_e32 v1, vcc_lo, s20, v20, vcc_lo
	v_add_co_u32 v2, vcc_lo, s19, v21
	v_add_co_ci_u32_e32 v3, vcc_lo, s20, v22, vcc_lo
	s_delay_alu instid0(VALU_DEP_4) | instskip(NEXT) | instid1(VALU_DEP_4)
	v_add_co_u32 v0, vcc_lo, v0, v48
	v_add_co_ci_u32_e32 v1, vcc_lo, 0, v1, vcc_lo
	s_delay_alu instid0(VALU_DEP_4) | instskip(NEXT) | instid1(VALU_DEP_4)
	v_add_co_u32 v4, vcc_lo, v2, v48
	v_add_co_ci_u32_e32 v5, vcc_lo, 0, v3, vcc_lo
	v_add_co_u32 v2, vcc_lo, s19, v23
	v_add_co_ci_u32_e32 v3, vcc_lo, s20, v24, vcc_lo
	v_add_co_u32 v6, vcc_lo, s19, v25
	v_add_co_ci_u32_e32 v7, vcc_lo, s20, v26, vcc_lo
	s_delay_alu instid0(VALU_DEP_4) | instskip(NEXT) | instid1(VALU_DEP_4)
	v_add_co_u32 v8, vcc_lo, v2, v48
	v_add_co_ci_u32_e32 v9, vcc_lo, 0, v3, vcc_lo
	s_delay_alu instid0(VALU_DEP_4) | instskip(NEXT) | instid1(VALU_DEP_4)
	v_add_co_u32 v12, vcc_lo, v6, v48
	v_add_co_ci_u32_e32 v13, vcc_lo, 0, v7, vcc_lo
	s_clause 0x3
	global_load_b128 v[0:3], v[0:1], off
	global_load_b128 v[4:7], v[4:5], off
	;; [unrolled: 1-line block ×4, first 2 shown]
	s_waitcnt vmcnt(3)
	ds_store_b128 v50, v[0:3]
	s_waitcnt vmcnt(2)
	ds_store_b128 v52, v[4:7]
	;; [unrolled: 2-line block ×4, first 2 shown]
	s_waitcnt lgkmcnt(0)
	s_barrier
	buffer_gl0_inv
	ds_load_b128 v[1:4], v55
	ds_load_b128 v[5:8], v56
	ds_load_b128 v[9:12], v56 offset:512
	v_dual_mov_b32 v0, 0 :: v_dual_add_nc_u32 v13, s3, v18
	s_waitcnt lgkmcnt(1)
	;;#ASMSTART
	v_dot2_f32_f16 v0, v1, v5, v0
	;;#ASMEND
	;;#ASMSTART
	v_dot2_f32_f16 v0, v2, v6, v0
	;;#ASMEND
	;; [unrolled: 3-line block ×4, first 2 shown]
	s_waitcnt lgkmcnt(0)
	;;#ASMSTART
	v_dot2_f32_f16 v35, v1, v9, v35
	;;#ASMEND
	;;#ASMSTART
	v_dot2_f32_f16 v35, v2, v10, v35
	;;#ASMEND
	;; [unrolled: 3-line block ×4, first 2 shown]
	ds_load_b128 v[1:4], v55 offset:16
	ds_load_b128 v[5:8], v56 offset:16
	;; [unrolled: 1-line block ×3, first 2 shown]
	v_ashrrev_i32_e32 v14, 31, v13
	s_waitcnt lgkmcnt(1)
	;;#ASMSTART
	v_dot2_f32_f16 v0, v1, v5, v0
	;;#ASMEND
	;;#ASMSTART
	v_dot2_f32_f16 v0, v2, v6, v0
	;;#ASMEND
	;; [unrolled: 3-line block ×4, first 2 shown]
	s_waitcnt lgkmcnt(0)
	;;#ASMSTART
	v_dot2_f32_f16 v35, v1, v9, v35
	;;#ASMEND
	;;#ASMSTART
	v_dot2_f32_f16 v35, v2, v10, v35
	;;#ASMEND
	;; [unrolled: 3-line block ×4, first 2 shown]
	ds_load_b128 v[1:4], v55 offset:32
	ds_load_b128 v[5:8], v56 offset:32
	;; [unrolled: 1-line block ×3, first 2 shown]
	v_lshlrev_b64 v[13:14], 1, v[13:14]
	s_waitcnt lgkmcnt(1)
	;;#ASMSTART
	v_dot2_f32_f16 v0, v1, v5, v0
	;;#ASMEND
	;;#ASMSTART
	v_dot2_f32_f16 v0, v2, v6, v0
	;;#ASMEND
	;;#ASMSTART
	v_dot2_f32_f16 v0, v3, v7, v0
	;;#ASMEND
	;;#ASMSTART
	v_dot2_f32_f16 v0, v4, v8, v0
	;;#ASMEND
	s_waitcnt lgkmcnt(0)
	;;#ASMSTART
	v_dot2_f32_f16 v35, v1, v9, v35
	;;#ASMEND
	;;#ASMSTART
	v_dot2_f32_f16 v35, v2, v10, v35
	;;#ASMEND
	;;#ASMSTART
	v_dot2_f32_f16 v35, v3, v11, v35
	;;#ASMEND
	;;#ASMSTART
	v_dot2_f32_f16 v35, v4, v12, v35
	;;#ASMEND
	ds_load_b128 v[1:4], v55 offset:48
	ds_load_b128 v[5:8], v56 offset:48
	ds_load_b128 v[9:12], v56 offset:560
	s_waitcnt lgkmcnt(1)
	;;#ASMSTART
	v_dot2_f32_f16 v0, v1, v5, v0
	;;#ASMEND
	;;#ASMSTART
	v_dot2_f32_f16 v0, v2, v6, v0
	;;#ASMEND
	;;#ASMSTART
	v_dot2_f32_f16 v0, v3, v7, v0
	;;#ASMEND
	;;#ASMSTART
	v_dot2_f32_f16 v0, v4, v8, v0
	;;#ASMEND
	s_waitcnt lgkmcnt(0)
	;;#ASMSTART
	v_dot2_f32_f16 v35, v1, v9, v35
	;;#ASMEND
	;;#ASMSTART
	v_dot2_f32_f16 v35, v2, v10, v35
	;;#ASMEND
	;;#ASMSTART
	v_dot2_f32_f16 v35, v3, v11, v35
	;;#ASMEND
	;;#ASMSTART
	v_dot2_f32_f16 v35, v4, v12, v35
	;;#ASMEND
	ds_load_b128 v[1:4], v55 offset:64
	ds_load_b128 v[5:8], v56 offset:64
	ds_load_b128 v[9:12], v56 offset:576
	;; [unrolled: 29-line block ×28, first 2 shown]
	s_waitcnt lgkmcnt(1)
	;;#ASMSTART
	v_dot2_f32_f16 v0, v1, v5, v0
	;;#ASMEND
	;;#ASMSTART
	v_dot2_f32_f16 v0, v2, v6, v0
	;;#ASMEND
	;; [unrolled: 3-line block ×4, first 2 shown]
	s_waitcnt lgkmcnt(0)
	;;#ASMSTART
	v_dot2_f32_f16 v35, v1, v9, v35
	;;#ASMEND
	;;#ASMSTART
	v_dot2_f32_f16 v35, v2, v10, v35
	;;#ASMEND
	;; [unrolled: 3-line block ×4, first 2 shown]
	ds_load_b128 v[1:4], v55 offset:496
	ds_load_b128 v[5:8], v56 offset:496
	v_add_co_u32 v13, vcc_lo, s34, v13
	ds_load_b128 v[9:12], v56 offset:1008
	s_waitcnt lgkmcnt(1)
	;;#ASMSTART
	v_dot2_f32_f16 v0, v1, v5, v0
	;;#ASMEND
	v_add_co_ci_u32_e32 v14, vcc_lo, s35, v14, vcc_lo
	;;#ASMSTART
	v_dot2_f32_f16 v0, v2, v6, v0
	;;#ASMEND
	;;#ASMSTART
	v_dot2_f32_f16 v0, v3, v7, v0
	;;#ASMEND
	;; [unrolled: 3-line block ×3, first 2 shown]
	s_waitcnt lgkmcnt(0)
	;;#ASMSTART
	v_dot2_f32_f16 v35, v1, v9, v35
	;;#ASMEND
	;;#ASMSTART
	v_dot2_f32_f16 v35, v2, v10, v35
	;;#ASMEND
	;; [unrolled: 3-line block ×4, first 2 shown]
	flat_load_u16 v72, v[13:14]
	v_cmp_ngt_f32_e64 s19, 0x3f200000, |v0|
                                        ; implicit-def: $vgpr1
	s_delay_alu instid0(VALU_DEP_1) | instskip(NEXT) | instid1(SALU_CYCLE_1)
	s_and_saveexec_b32 s20, s19
	s_xor_b32 s19, exec_lo, s20
	s_cbranch_execz .LBB62_11
; %bb.10:                               ;   in Loop: Header=BB62_9 Depth=1
	v_add_f32_e64 v1, |v0|, |v0|
	s_delay_alu instid0(VALU_DEP_1) | instskip(SKIP_1) | instid1(VALU_DEP_2)
	v_mul_f32_e32 v2, 0x3fb8aa3b, v1
	v_cmp_ngt_f32_e32 vcc_lo, 0xc2ce8ed0, v1
	v_rndne_f32_e32 v3, v2
	v_fma_f32 v4, 0x3fb8aa3b, v1, -v2
	s_delay_alu instid0(VALU_DEP_2) | instskip(NEXT) | instid1(VALU_DEP_2)
	v_sub_f32_e32 v2, v2, v3
	v_fmac_f32_e32 v4, 0x32a5705f, v1
	v_cvt_i32_f32_e32 v3, v3
	s_delay_alu instid0(VALU_DEP_2) | instskip(NEXT) | instid1(VALU_DEP_1)
	v_add_f32_e32 v2, v2, v4
	v_exp_f32_e32 v2, v2
	s_waitcnt_depctr 0xfff
	v_ldexp_f32 v2, v2, v3
	s_delay_alu instid0(VALU_DEP_1) | instskip(SKIP_1) | instid1(VALU_DEP_2)
	v_cndmask_b32_e32 v2, 0, v2, vcc_lo
	v_cmp_nlt_f32_e32 vcc_lo, 0x42b17218, v1
	v_cndmask_b32_e32 v1, 0x7f800000, v2, vcc_lo
	s_delay_alu instid0(VALU_DEP_1) | instskip(NEXT) | instid1(VALU_DEP_1)
	v_add_f32_e32 v1, 1.0, v1
	v_rcp_f32_e32 v1, v1
	s_waitcnt_depctr 0xfff
	v_fma_f32 v1, v1, -2.0, 1.0
.LBB62_11:                              ;   in Loop: Header=BB62_9 Depth=1
	s_and_not1_saveexec_b32 s19, s19
; %bb.12:                               ;   in Loop: Header=BB62_9 Depth=1
	v_mul_f32_e32 v1, v0, v0
	s_delay_alu instid0(VALU_DEP_1) | instskip(NEXT) | instid1(VALU_DEP_1)
	v_fmaak_f32 v2, s18, v1, 0x3ca908c9
	v_fmaak_f32 v2, v1, v2, 0xbd5c1c4e
	s_delay_alu instid0(VALU_DEP_1) | instskip(NEXT) | instid1(VALU_DEP_1)
	v_fmaak_f32 v2, v1, v2, 0x3e088382
	v_fmaak_f32 v2, v1, v2, 0xbeaaaa99
	s_delay_alu instid0(VALU_DEP_1) | instskip(NEXT) | instid1(VALU_DEP_1)
	v_mul_f32_e64 v2, |v0|, v2
	v_fma_f32 v1, v1, v2, |v0|
; %bb.13:                               ;   in Loop: Header=BB62_9 Depth=1
	s_or_b32 exec_lo, exec_lo, s19
	s_delay_alu instid0(VALU_DEP_1)
	v_bfi_b32 v0, 0x7fffffff, v1, v0
	v_xor_b32_e32 v71, 16, v39
	v_xor_b32_e32 v67, 8, v39
	;; [unrolled: 1-line block ×4, first 2 shown]
	s_waitcnt vmcnt(0) lgkmcnt(0)
	v_fma_mix_f32 v36, v0, s17, v72 op_sel_hi:[0,0,1]
	v_cmp_gt_i32_e32 vcc_lo, 32, v71
	v_xor_b32_e32 v70, 1, v39
	v_cmp_ngt_f32_e64 s19, 0x3f200000, |v35|
                                        ; implicit-def: $vgpr80
	s_delay_alu instid0(VALU_DEP_4) | instskip(SKIP_2) | instid1(VALU_DEP_2)
	v_dual_add_f32 v1, 0x40051340, v36 :: v_dual_cndmask_b32 v0, v39, v71
	v_max_f32_e32 v2, v66, v66
	v_cmp_gt_i32_e32 vcc_lo, 32, v67
	v_dual_max_f32 v0, v2, v1 :: v_dual_lshlrev_b32 v73, 2, v0
	v_cndmask_b32_e32 v2, v39, v67, vcc_lo
	v_cmp_gt_i32_e32 vcc_lo, 32, v68
	s_delay_alu instid0(VALU_DEP_2) | instskip(SKIP_2) | instid1(VALU_DEP_2)
	v_lshlrev_b32_e32 v74, 2, v2
	v_cndmask_b32_e32 v2, v39, v68, vcc_lo
	v_cmp_gt_i32_e32 vcc_lo, 32, v69
	v_lshlrev_b32_e32 v75, 2, v2
	ds_bpermute_b32 v1, v73, v0
	v_cndmask_b32_e32 v2, v39, v69, vcc_lo
	v_cmp_gt_i32_e32 vcc_lo, 32, v70
	s_waitcnt lgkmcnt(0)
	s_delay_alu instid0(VALU_DEP_2) | instskip(NEXT) | instid1(VALU_DEP_1)
	v_dual_max_f32 v1, v1, v1 :: v_dual_lshlrev_b32 v76, 2, v2
	v_max_f32_e32 v0, v0, v1
	ds_bpermute_b32 v1, v74, v0
	s_waitcnt lgkmcnt(0)
	v_max_f32_e32 v1, v1, v1
	s_delay_alu instid0(VALU_DEP_1) | instskip(SKIP_3) | instid1(VALU_DEP_1)
	v_max_f32_e32 v0, v0, v1
	ds_bpermute_b32 v1, v75, v0
	s_waitcnt lgkmcnt(0)
	v_max_f32_e32 v1, v1, v1
	v_max_f32_e32 v0, v0, v1
	ds_bpermute_b32 v1, v76, v0
	s_waitcnt lgkmcnt(0)
	v_dual_max_f32 v1, v1, v1 :: v_dual_cndmask_b32 v2, v39, v70
	s_delay_alu instid0(VALU_DEP_1) | instskip(SKIP_2) | instid1(SALU_CYCLE_1)
	v_dual_max_f32 v77, v0, v1 :: v_dual_lshlrev_b32 v78, 2, v2
	ds_bpermute_b32 v79, v78, v77
	s_and_saveexec_b32 s20, s19
	s_xor_b32 s19, exec_lo, s20
	s_cbranch_execz .LBB62_15
; %bb.14:                               ;   in Loop: Header=BB62_9 Depth=1
	v_add_f32_e64 v0, |v35|, |v35|
	s_delay_alu instid0(VALU_DEP_1) | instskip(SKIP_1) | instid1(VALU_DEP_2)
	v_mul_f32_e32 v1, 0x3fb8aa3b, v0
	v_cmp_ngt_f32_e32 vcc_lo, 0xc2ce8ed0, v0
	v_rndne_f32_e32 v2, v1
	v_fma_f32 v3, 0x3fb8aa3b, v0, -v1
	s_delay_alu instid0(VALU_DEP_2) | instskip(NEXT) | instid1(VALU_DEP_2)
	v_sub_f32_e32 v1, v1, v2
	v_fmac_f32_e32 v3, 0x32a5705f, v0
	v_cvt_i32_f32_e32 v2, v2
	s_delay_alu instid0(VALU_DEP_2) | instskip(NEXT) | instid1(VALU_DEP_1)
	v_add_f32_e32 v1, v1, v3
	v_exp_f32_e32 v1, v1
	s_waitcnt_depctr 0xfff
	v_ldexp_f32 v1, v1, v2
	s_delay_alu instid0(VALU_DEP_1) | instskip(SKIP_1) | instid1(VALU_DEP_2)
	v_cndmask_b32_e32 v1, 0, v1, vcc_lo
	v_cmp_nlt_f32_e32 vcc_lo, 0x42b17218, v0
	v_cndmask_b32_e32 v0, 0x7f800000, v1, vcc_lo
	s_delay_alu instid0(VALU_DEP_1) | instskip(NEXT) | instid1(VALU_DEP_1)
	v_add_f32_e32 v0, 1.0, v0
	v_rcp_f32_e32 v0, v0
	s_waitcnt_depctr 0xfff
	v_fma_f32 v80, v0, -2.0, 1.0
.LBB62_15:                              ;   in Loop: Header=BB62_9 Depth=1
	s_and_not1_saveexec_b32 s19, s19
; %bb.16:                               ;   in Loop: Header=BB62_9 Depth=1
	v_mul_f32_e32 v0, v35, v35
	s_delay_alu instid0(VALU_DEP_1) | instskip(NEXT) | instid1(VALU_DEP_1)
	v_fmaak_f32 v1, s18, v0, 0x3ca908c9
	v_fmaak_f32 v1, v0, v1, 0xbd5c1c4e
	s_delay_alu instid0(VALU_DEP_1) | instskip(NEXT) | instid1(VALU_DEP_1)
	v_fmaak_f32 v1, v0, v1, 0x3e088382
	v_fmaak_f32 v1, v0, v1, 0xbeaaaa99
	s_delay_alu instid0(VALU_DEP_1) | instskip(NEXT) | instid1(VALU_DEP_1)
	v_mul_f32_e64 v1, |v35|, v1
	v_fma_f32 v80, v0, v1, |v35|
; %bb.17:                               ;   in Loop: Header=BB62_9 Depth=1
	s_or_b32 exec_lo, exec_lo, s19
	s_mul_hi_i32 s21, s3, s10
	s_mul_i32 s20, s3, s10
	s_waitcnt lgkmcnt(0)
	s_lshl_b64 s[20:21], s[20:21], 2
	s_barrier
	s_add_u32 s19, s11, s20
	s_addc_u32 s20, s16, s21
	v_add_co_u32 v0, vcc_lo, s19, v27
	v_add_co_ci_u32_e32 v1, vcc_lo, s20, v28, vcc_lo
	v_add_co_u32 v2, vcc_lo, s19, v29
	v_add_co_ci_u32_e32 v3, vcc_lo, s20, v30, vcc_lo
	s_delay_alu instid0(VALU_DEP_4) | instskip(NEXT) | instid1(VALU_DEP_4)
	v_add_co_u32 v0, vcc_lo, v0, v48
	v_add_co_ci_u32_e32 v1, vcc_lo, 0, v1, vcc_lo
	s_delay_alu instid0(VALU_DEP_4) | instskip(NEXT) | instid1(VALU_DEP_4)
	v_add_co_u32 v4, vcc_lo, v2, v48
	v_add_co_ci_u32_e32 v5, vcc_lo, 0, v3, vcc_lo
	v_add_co_u32 v2, vcc_lo, s19, v31
	v_add_co_ci_u32_e32 v3, vcc_lo, s20, v32, vcc_lo
	;; [unrolled: 2-line block ×3, first 2 shown]
	s_delay_alu instid0(VALU_DEP_4) | instskip(NEXT) | instid1(VALU_DEP_4)
	v_add_co_u32 v8, vcc_lo, v2, v48
	v_add_co_ci_u32_e32 v9, vcc_lo, 0, v3, vcc_lo
	s_delay_alu instid0(VALU_DEP_4) | instskip(NEXT) | instid1(VALU_DEP_4)
	v_add_co_u32 v12, vcc_lo, v6, v48
	v_add_co_ci_u32_e32 v13, vcc_lo, 0, v7, vcc_lo
	buffer_gl0_inv
	s_clause 0x3
	global_load_b128 v[0:3], v[0:1], off
	global_load_b128 v[4:7], v[4:5], off
	;; [unrolled: 1-line block ×4, first 2 shown]
	v_cvt_f32_f16_e32 v81, v72
	v_bfi_b32 v35, 0x7fffffff, v80, v35
	v_add_nc_u32_e32 v189, 0x3800, v63
	s_delay_alu instid0(VALU_DEP_2) | instskip(SKIP_1) | instid1(VALU_DEP_2)
	v_fmac_f32_e32 v81, s17, v35
	v_max_f32_e32 v35, v65, v65
	v_add_f32_e32 v72, 0x40051340, v81
	s_delay_alu instid0(VALU_DEP_1) | instskip(SKIP_3) | instid1(VALU_DEP_1)
	v_max_f32_e32 v35, v35, v72
	ds_bpermute_b32 v72, v73, v35
	s_waitcnt lgkmcnt(0)
	v_max_f32_e32 v72, v72, v72
	v_max_f32_e32 v35, v35, v72
	ds_bpermute_b32 v72, v74, v35
	s_waitcnt lgkmcnt(0)
	v_max_f32_e32 v72, v72, v72
	s_delay_alu instid0(VALU_DEP_1) | instskip(SKIP_3) | instid1(VALU_DEP_1)
	v_max_f32_e32 v35, v35, v72
	ds_bpermute_b32 v72, v75, v35
	s_waitcnt lgkmcnt(0)
	v_dual_max_f32 v72, v72, v72 :: v_dual_add_nc_u32 v75, 0x2000, v63
	v_max_f32_e32 v35, v35, v72
	ds_bpermute_b32 v72, v76, v35
	s_waitcnt lgkmcnt(0)
	v_max_f32_e32 v72, v72, v72
	s_delay_alu instid0(VALU_DEP_1) | instskip(SKIP_1) | instid1(VALU_DEP_1)
	v_max_f32_e32 v73, v35, v72
	v_dual_max_f32 v35, v79, v79 :: v_dual_max_f32 v72, v77, v77
	v_max_f32_e32 v35, v72, v35
	v_add_nc_u32_e32 v72, 0x800, v63
	s_delay_alu instid0(VALU_DEP_2) | instskip(SKIP_4) | instid1(VALU_DEP_2)
	v_sub_f32_e32 v76, v66, v35
	ds_bpermute_b32 v74, v78, v73
	v_add_nc_u32_e32 v66, 0x1000, v63
	v_dual_mul_f32 v78, 0x3fb8aa3b, v76 :: v_dual_sub_f32 v77, v36, v35
	v_cmp_ngt_f32_e32 vcc_lo, 0xc2ce8ed0, v76
	v_rndne_f32_e32 v80, v78
	s_waitcnt lgkmcnt(0)
	v_max_f32_e32 v36, v74, v74
	s_delay_alu instid0(VALU_DEP_1) | instskip(SKIP_3) | instid1(VALU_DEP_4)
	v_max_f32_e32 v36, v73, v36
	v_add_nc_u32_e32 v74, 0x1800, v63
	v_mul_f32_e32 v79, 0x3fb8aa3b, v77
	v_fma_f32 v73, 0x3fb8aa3b, v76, -v78
	v_dual_sub_f32 v65, v65, v36 :: v_dual_add_nc_u32 v176, 0x2800, v63
	v_sub_f32_e32 v81, v81, v36
	s_delay_alu instid0(VALU_DEP_4) | instskip(SKIP_3) | instid1(VALU_DEP_3)
	v_fma_f32 v82, 0x3fb8aa3b, v77, -v79
	v_rndne_f32_e32 v83, v79
	v_fmac_f32_e32 v73, 0x32a5705f, v76
	v_dual_sub_f32 v78, v78, v80 :: v_dual_mul_f32 v85, 0x3fb8aa3b, v65
	v_dual_mul_f32 v84, 0x3fb8aa3b, v81 :: v_dual_sub_f32 v79, v79, v83
	v_fmac_f32_e32 v82, 0x32a5705f, v77
	v_cvt_i32_f32_e32 v80, v80
	v_cvt_i32_f32_e32 v83, v83
	s_delay_alu instid0(VALU_DEP_4)
	v_rndne_f32_e32 v86, v84
	v_add_f32_e32 v73, v78, v73
	v_fma_f32 v78, 0x3fb8aa3b, v81, -v84
	v_add_f32_e32 v79, v79, v82
	v_fma_f32 v87, 0x3fb8aa3b, v65, -v85
	v_sub_f32_e32 v82, v84, v86
	v_exp_f32_e32 v73, v73
	v_fmac_f32_e32 v78, 0x32a5705f, v81
	v_exp_f32_e32 v79, v79
	v_rndne_f32_e32 v88, v85
	s_delay_alu instid0(VALU_DEP_2) | instskip(NEXT) | instid1(VALU_DEP_2)
	v_dual_fmac_f32 v87, 0x32a5705f, v65 :: v_dual_add_f32 v78, v82, v78
	v_sub_f32_e32 v84, v85, v88
	s_waitcnt_depctr 0xfff
	v_ldexp_f32 v73, v73, v80
	v_add_nc_u32_e32 v188, 0x3000, v63
	v_exp_f32_e32 v78, v78
	v_ldexp_f32 v79, v79, v83
	v_cvt_i32_f32_e32 v80, v86
	v_cndmask_b32_e32 v73, 0, v73, vcc_lo
	v_cmp_ngt_f32_e32 vcc_lo, 0xc2ce8ed0, v77
	v_cvt_i32_f32_e32 v83, v88
	v_cndmask_b32_e32 v79, 0, v79, vcc_lo
	v_cmp_nlt_f32_e32 vcc_lo, 0x42b17218, v76
	s_delay_alu instid0(TRANS32_DEP_1) | instskip(SKIP_3) | instid1(VALU_DEP_3)
	v_ldexp_f32 v78, v78, v80
	v_cndmask_b32_e32 v76, 0x7f800000, v73, vcc_lo
	v_cmp_ngt_f32_e32 vcc_lo, 0xc2ce8ed0, v81
	v_add_f32_e32 v82, v84, v87
	v_cvt_f16_f32_e64 v190, v76
	v_cndmask_b32_e32 v73, 0, v78, vcc_lo
	s_delay_alu instid0(VALU_DEP_3) | instskip(SKIP_1) | instid1(VALU_DEP_3)
	v_exp_f32_e32 v82, v82
	v_cmp_ngt_f32_e32 vcc_lo, 0xc2ce8ed0, v65
	v_pk_mul_f16 v49, v190, v49 op_sel_hi:[0,1]
	v_pk_mul_f16 v51, v190, v51 op_sel_hi:[0,1]
	s_waitcnt_depctr 0xfff
	v_ldexp_f32 v80, v82, v83
	s_delay_alu instid0(VALU_DEP_1) | instskip(SKIP_3) | instid1(VALU_DEP_2)
	v_cndmask_b32_e32 v78, 0, v80, vcc_lo
	v_cmp_nlt_f32_e32 vcc_lo, 0x42b17218, v77
	v_cndmask_b32_e32 v77, 0x7f800000, v79, vcc_lo
	v_cmp_nlt_f32_e32 vcc_lo, 0x42b17218, v81
	v_fma_f32 v47, v47, v76, v77
	v_cndmask_b32_e32 v73, 0x7f800000, v73, vcc_lo
	v_cmp_nlt_f32_e32 vcc_lo, 0x42b17218, v65
	s_delay_alu instid0(VALU_DEP_2) | instskip(SKIP_2) | instid1(VALU_DEP_2)
	v_cvt_f16_f32_e32 v79, v73
	v_cndmask_b32_e32 v65, 0x7f800000, v78, vcc_lo
	v_cvt_f16_f32_e32 v78, v77
	v_cvt_f16_f32_e64 v191, v65
	s_delay_alu instid0(VALU_DEP_2)
	v_pack_b32_f16 v76, v78, v79
	v_fmac_f32_e32 v73, v64, v65
	ds_store_b32 v59, v76
	s_waitcnt vmcnt(3)
	ds_store_b128 v58, v[0:3]
	s_waitcnt vmcnt(2)
	ds_store_b128 v60, v[4:7]
	;; [unrolled: 2-line block ×4, first 2 shown]
	v_pk_mul_f16 v43, v191, v43 op_sel_hi:[0,1]
	v_pk_mul_f16 v42, v191, v42 op_sel_hi:[0,1]
	;; [unrolled: 1-line block ×3, first 2 shown]
	s_waitcnt lgkmcnt(0)
	s_barrier
	buffer_gl0_inv
	ds_load_2addr_b64 v[0:3], v63 offset1:32
	ds_load_b128 v[4:7], v57
	ds_load_b128 v[8:11], v57 offset:16
	ds_load_b128 v[12:15], v57 offset:32
	;; [unrolled: 1-line block ×3, first 2 shown]
	ds_load_2addr_b64 v[80:83], v63 offset0:64 offset1:96
	ds_load_2addr_b64 v[84:87], v63 offset0:128 offset1:160
	ds_load_2addr_b64 v[88:91], v63 offset0:192 offset1:224
	ds_load_2addr_b64 v[92:95], v72 offset1:32
	ds_load_2addr_b64 v[96:99], v72 offset0:64 offset1:96
	ds_load_2addr_b64 v[100:103], v72 offset0:128 offset1:160
	ds_load_2addr_b64 v[104:107], v72 offset0:192 offset1:224
	ds_load_2addr_b64 v[108:111], v66 offset1:32
	;; [unrolled: 4-line block ×5, first 2 shown]
	ds_load_b128 v[160:163], v57 offset:64
	ds_load_b128 v[164:167], v57 offset:80
	ds_load_2addr_b64 v[168:171], v176 offset0:64 offset1:96
	ds_load_2addr_b64 v[172:175], v176 offset0:128 offset1:160
	;; [unrolled: 1-line block ×3, first 2 shown]
	ds_load_2addr_b64 v[180:183], v188 offset1:32
	ds_load_2addr_b64 v[184:187], v188 offset0:64 offset1:96
	s_waitcnt lgkmcnt(30)
	v_pk_mul_f16 v64, v0, v4 op_sel_hi:[1,0]
	v_pk_mul_f16 v65, v0, v4 op_sel:[0,1]
	v_pk_mul_f16 v66, v1, v4 op_sel_hi:[1,0]
	v_pk_fma_f16 v72, v1, v4, v43 op_sel:[0,1,0]
	v_pk_fma_f16 v49, v2, v4, v49 op_sel_hi:[1,0,1]
	v_pk_fma_f16 v74, v2, v4, v42 op_sel:[0,1,0]
	v_pk_fma_f16 v51, v3, v4, v51 op_sel_hi:[1,0,1]
	;; [unrolled: 2-line block ×3, first 2 shown]
	v_pk_fma_f16 v45, v190, v45, v64 op_sel_hi:[0,1,1]
	v_pk_fma_f16 v46, v190, v46, v66 op_sel_hi:[0,1,1]
	s_waitcnt lgkmcnt(26)
	v_pk_fma_f16 v64, v81, v5, v72 op_sel:[0,1,0]
	v_pk_fma_f16 v49, v82, v5, v49 op_sel_hi:[1,0,1]
	v_pk_fma_f16 v66, v82, v5, v74 op_sel:[0,1,0]
	v_pk_fma_f16 v51, v83, v5, v51 op_sel_hi:[1,0,1]
	v_pk_fma_f16 v4, v83, v5, v4 op_sel:[0,1,0]
	v_pk_fma_f16 v45, v80, v5, v45 op_sel_hi:[1,0,1]
	v_pk_fma_f16 v65, v80, v5, v65 op_sel:[0,1,0]
	v_pk_fma_f16 v5, v81, v5, v46 op_sel_hi:[1,0,1]
	s_waitcnt lgkmcnt(25)
	v_pk_fma_f16 v46, v85, v6, v64 op_sel:[0,1,0]
	v_pk_fma_f16 v49, v86, v6, v49 op_sel_hi:[1,0,1]
	v_pk_fma_f16 v64, v86, v6, v66 op_sel:[0,1,0]
	v_pk_fma_f16 v51, v87, v6, v51 op_sel_hi:[1,0,1]
	v_pk_fma_f16 v4, v87, v6, v4 op_sel:[0,1,0]
	v_pk_fma_f16 v45, v84, v6, v45 op_sel_hi:[1,0,1]
	v_pk_fma_f16 v65, v84, v6, v65 op_sel:[0,1,0]
	;; [unrolled: 9-line block ×16, first 2 shown]
	v_pk_fma_f16 v8, v141, v160, v8 op_sel_hi:[1,0,1]
	v_pk_fma_f16 v9, v145, v161, v9 op_sel:[0,1,0]
	v_pk_fma_f16 v10, v146, v161, v10 op_sel_hi:[1,0,1]
	v_pk_fma_f16 v11, v146, v161, v11 op_sel:[0,1,0]
	;; [unrolled: 2-line block ×12, first 2 shown]
	v_pk_fma_f16 v8, v153, v163, v8 op_sel_hi:[1,0,1]
	s_waitcnt lgkmcnt(5)
	v_pk_fma_f16 v9, v157, v164, v9 op_sel:[0,1,0]
	v_pk_fma_f16 v10, v158, v164, v10 op_sel_hi:[1,0,1]
	v_pk_fma_f16 v11, v158, v164, v11 op_sel:[0,1,0]
	v_pk_fma_f16 v12, v159, v164, v12 op_sel_hi:[1,0,1]
	v_pk_fma_f16 v13, v159, v164, v13 op_sel:[0,1,0]
	v_pk_fma_f16 v14, v156, v164, v14 op_sel_hi:[1,0,1]
	v_pk_fma_f16 v15, v156, v164, v15 op_sel:[0,1,0]
	v_pk_fma_f16 v8, v157, v164, v8 op_sel_hi:[1,0,1]
	ds_load_2addr_b64 v[0:3], v188 offset0:128 offset1:160
	ds_load_2addr_b64 v[40:43], v188 offset0:192 offset1:224
	ds_load_2addr_b64 v[80:83], v189 offset1:32
	ds_load_b128 v[4:7], v57 offset:96
	ds_load_b128 v[84:87], v57 offset:112
	ds_load_2addr_b64 v[88:91], v189 offset0:64 offset1:96
	s_waitcnt lgkmcnt(10)
	v_pk_fma_f16 v9, v169, v165, v9 op_sel:[0,1,0]
	v_pk_fma_f16 v10, v170, v165, v10 op_sel_hi:[1,0,1]
	v_pk_fma_f16 v11, v170, v165, v11 op_sel:[0,1,0]
	v_pk_fma_f16 v12, v171, v165, v12 op_sel_hi:[1,0,1]
	v_pk_fma_f16 v13, v171, v165, v13 op_sel:[0,1,0]
	v_pk_fma_f16 v14, v168, v165, v14 op_sel_hi:[1,0,1]
	v_pk_fma_f16 v15, v168, v165, v15 op_sel:[0,1,0]
	v_pk_fma_f16 v8, v169, v165, v8 op_sel_hi:[1,0,1]
	s_waitcnt lgkmcnt(9)
	v_pk_fma_f16 v9, v173, v166, v9 op_sel:[0,1,0]
	v_pk_fma_f16 v10, v174, v166, v10 op_sel_hi:[1,0,1]
	v_pk_fma_f16 v11, v174, v166, v11 op_sel:[0,1,0]
	v_pk_fma_f16 v12, v175, v166, v12 op_sel_hi:[1,0,1]
	v_pk_fma_f16 v13, v175, v166, v13 op_sel:[0,1,0]
	v_pk_fma_f16 v14, v172, v166, v14 op_sel_hi:[1,0,1]
	v_pk_fma_f16 v15, v172, v166, v15 op_sel:[0,1,0]
	v_pk_fma_f16 v8, v173, v166, v8 op_sel_hi:[1,0,1]
	;; [unrolled: 9-line block ×4, first 2 shown]
	v_pk_fma_f16 v8, v185, v5, v9 op_sel:[0,1,0]
	v_pk_fma_f16 v9, v186, v5, v10 op_sel_hi:[1,0,1]
	v_pk_fma_f16 v10, v186, v5, v11 op_sel:[0,1,0]
	v_pk_fma_f16 v11, v187, v5, v12 op_sel_hi:[1,0,1]
	;; [unrolled: 2-line block ×8, first 2 shown]
	ds_load_2addr_b64 v[92:95], v189 offset0:128 offset1:160
	ds_load_2addr_b64 v[188:191], v189 offset0:192 offset1:224
	s_waitcnt lgkmcnt(0)
	s_barrier
	buffer_gl0_inv
	s_load_b32 s19, s[4:5], 0x4
	v_pk_fma_f16 v4, v41, v7, v5 op_sel:[0,1,0]
	v_pk_fma_f16 v5, v42, v7, v8 op_sel_hi:[1,0,1]
	v_pk_fma_f16 v2, v42, v7, v2 op_sel:[0,1,0]
	v_pk_fma_f16 v6, v43, v7, v9 op_sel_hi:[1,0,1]
	v_pk_fma_f16 v3, v43, v7, v3 op_sel:[0,1,0]
	v_pk_fma_f16 v8, v40, v7, v10 op_sel_hi:[1,0,1]
	v_pk_fma_f16 v0, v40, v7, v0 op_sel:[0,1,0]
	v_pk_fma_f16 v1, v41, v7, v1 op_sel_hi:[1,0,1]
	v_pk_fma_f16 v4, v81, v84, v4 op_sel:[0,1,0]
	v_pk_fma_f16 v5, v82, v84, v5 op_sel_hi:[1,0,1]
	v_pk_fma_f16 v2, v82, v84, v2 op_sel:[0,1,0]
	v_pk_fma_f16 v6, v83, v84, v6 op_sel_hi:[1,0,1]
	v_pk_fma_f16 v3, v83, v84, v3 op_sel:[0,1,0]
	v_pk_fma_f16 v7, v80, v84, v8 op_sel_hi:[1,0,1]
	v_pk_fma_f16 v0, v80, v84, v0 op_sel:[0,1,0]
	v_pk_fma_f16 v1, v81, v84, v1 op_sel_hi:[1,0,1]
	v_pk_fma_f16 v4, v89, v85, v4 op_sel:[0,1,0]
	v_pk_fma_f16 v5, v90, v85, v5 op_sel_hi:[1,0,1]
	v_pk_fma_f16 v2, v90, v85, v2 op_sel:[0,1,0]
	v_pk_fma_f16 v6, v91, v85, v6 op_sel_hi:[1,0,1]
	v_pk_fma_f16 v3, v91, v85, v3 op_sel:[0,1,0]
	v_pk_fma_f16 v7, v88, v85, v7 op_sel_hi:[1,0,1]
	v_pk_fma_f16 v0, v88, v85, v0 op_sel:[0,1,0]
	v_pk_fma_f16 v1, v89, v85, v1 op_sel_hi:[1,0,1]
	v_pk_fma_f16 v4, v93, v86, v4 op_sel:[0,1,0]
	v_pk_fma_f16 v5, v94, v86, v5 op_sel_hi:[1,0,1]
	v_pk_fma_f16 v2, v94, v86, v2 op_sel:[0,1,0]
	v_pk_fma_f16 v6, v95, v86, v6 op_sel_hi:[1,0,1]
	v_pk_fma_f16 v3, v95, v86, v3 op_sel:[0,1,0]
	v_pk_fma_f16 v7, v92, v86, v7 op_sel_hi:[1,0,1]
	v_pk_fma_f16 v0, v92, v86, v0 op_sel:[0,1,0]
	v_pk_fma_f16 v1, v93, v86, v1 op_sel_hi:[1,0,1]
	s_waitcnt lgkmcnt(0)
	s_lshl_b32 s19, s19, 5
	v_pk_fma_f16 v43, v189, v87, v4 op_sel:[0,1,0]
	v_pk_fma_f16 v49, v190, v87, v5 op_sel_hi:[1,0,1]
	v_pk_fma_f16 v42, v190, v87, v2 op_sel:[0,1,0]
	v_pk_fma_f16 v51, v191, v87, v6 op_sel_hi:[1,0,1]
	;; [unrolled: 2-line block ×4, first 2 shown]
	s_add_i32 s3, s19, s3
	s_delay_alu instid0(SALU_CYCLE_1)
	s_cmp_ge_i32 s3, s2
	s_cbranch_scc1 .LBB62_19
; %bb.18:                               ;   in Loop: Header=BB62_9 Depth=1
	v_dual_mov_b32 v66, v35 :: v_dual_mov_b32 v65, v36
	v_mov_b32_e32 v64, v73
	s_branch .LBB62_9
.LBB62_19:
	v_mov_b32_e32 v3, v39
.LBB62_20:
	v_cmp_lt_i32_e32 vcc_lo, v71, v44
	s_cmp_lg_u64 s[24:25], 0
	s_cselect_b32 s2, -1, 0
	s_cmp_eq_u32 s14, 0
	v_cndmask_b32_e32 v0, v3, v71, vcc_lo
	v_cmp_lt_i32_e32 vcc_lo, v67, v44
	s_cselect_b32 s3, -1, 0
	s_delay_alu instid0(SALU_CYCLE_1) | instskip(SKIP_2) | instid1(VALU_DEP_2)
	s_and_b32 s2, s3, s2
	v_cndmask_b32_e32 v2, v3, v67, vcc_lo
	v_cmp_lt_i32_e32 vcc_lo, v68, v44
	v_dual_cndmask_b32 v5, v3, v68 :: v_dual_lshlrev_b32 v2, 2, v2
	v_cmp_lt_i32_e32 vcc_lo, v69, v44
	s_delay_alu instid0(VALU_DEP_2)
	v_lshlrev_b32_e32 v5, 2, v5
	v_lshlrev_b32_e32 v0, 2, v0
	ds_bpermute_b32 v1, v0, v47
	s_waitcnt lgkmcnt(0)
	v_add_f32_e32 v1, v47, v1
	ds_bpermute_b32 v0, v0, v73
	ds_bpermute_b32 v4, v2, v1
	s_waitcnt lgkmcnt(1)
	v_add_f32_e32 v0, v73, v0
	s_waitcnt lgkmcnt(0)
	v_add_f32_e32 v1, v1, v4
	ds_bpermute_b32 v2, v2, v0
	s_waitcnt lgkmcnt(0)
	v_add_f32_e32 v0, v0, v2
	ds_bpermute_b32 v2, v5, v1
	ds_bpermute_b32 v4, v5, v0
	v_cndmask_b32_e32 v5, v3, v69, vcc_lo
	v_cmp_lt_i32_e32 vcc_lo, v70, v44
	s_delay_alu instid0(VALU_DEP_2)
	v_lshlrev_b32_e32 v5, 2, v5
	s_waitcnt lgkmcnt(0)
	v_dual_add_f32 v1, v1, v2 :: v_dual_add_f32 v0, v0, v4
	ds_bpermute_b32 v2, v5, v1
	ds_bpermute_b32 v4, v5, v0
	v_cndmask_b32_e32 v3, v3, v70, vcc_lo
	s_and_b32 vcc_lo, exec_lo, s2
	s_waitcnt lgkmcnt(0)
	v_dual_add_f32 v1, v1, v2 :: v_dual_add_f32 v2, v0, v4
	s_delay_alu instid0(VALU_DEP_2)
	v_lshlrev_b32_e32 v3, 2, v3
	ds_bpermute_b32 v0, v3, v1
	s_waitcnt lgkmcnt(0)
	v_add_f32_e32 v0, v1, v0
	ds_bpermute_b32 v3, v3, v2
	s_waitcnt lgkmcnt(0)
	v_add_f32_e32 v1, v2, v3
	s_cbranch_vccz .LBB62_23
; %bb.21:
	v_add_nc_u32_e32 v2, s15, v38
	s_delay_alu instid0(VALU_DEP_1) | instskip(NEXT) | instid1(VALU_DEP_1)
	v_ashrrev_i32_e32 v3, 31, v2
	v_lshlrev_b64 v[2:3], 2, v[2:3]
	s_delay_alu instid0(VALU_DEP_1) | instskip(NEXT) | instid1(VALU_DEP_2)
	v_add_co_u32 v2, vcc_lo, s24, v2
	v_add_co_ci_u32_e32 v3, vcc_lo, s25, v3, vcc_lo
	global_load_b64 v[2:3], v[2:3], off
	v_max_f32_e32 v4, v35, v35
	s_waitcnt vmcnt(0)
	v_dual_max_f32 v6, v36, v36 :: v_dual_max_f32 v5, v2, v2
	s_delay_alu instid0(VALU_DEP_1) | instskip(NEXT) | instid1(VALU_DEP_1)
	v_dual_max_f32 v7, v3, v3 :: v_dual_max_f32 v4, v4, v5
	v_dual_max_f32 v5, v6, v7 :: v_dual_sub_f32 v6, v35, v4
	s_delay_alu instid0(VALU_DEP_1) | instskip(SKIP_2) | instid1(VALU_DEP_4)
	v_sub_f32_e32 v7, v36, v5
	v_dual_sub_f32 v3, v3, v5 :: v_dual_sub_f32 v2, v2, v4
	v_mov_b32_e32 v36, v5
	v_cmp_ngt_f32_e32 vcc_lo, 0xc2ce8ed0, v6
	s_delay_alu instid0(VALU_DEP_4) | instskip(NEXT) | instid1(VALU_DEP_4)
	v_mul_f32_e32 v10, 0x3fb8aa3b, v7
	v_mul_f32_e32 v11, 0x3fb8aa3b, v3
	;; [unrolled: 1-line block ×3, first 2 shown]
	v_mov_b32_e32 v35, v4
	s_delay_alu instid0(VALU_DEP_4) | instskip(NEXT) | instid1(VALU_DEP_4)
	v_fma_f32 v18, 0x3fb8aa3b, v7, -v10
	v_fma_f32 v20, 0x3fb8aa3b, v3, -v11
	s_delay_alu instid0(VALU_DEP_4)
	v_rndne_f32_e32 v15, v9
	v_mul_f32_e32 v8, 0x3fb8aa3b, v6
	v_fma_f32 v14, 0x3fb8aa3b, v2, -v9
	v_rndne_f32_e32 v21, v11
	v_fmac_f32_e32 v20, 0x32a5705f, v3
	v_sub_f32_e32 v9, v9, v15
	v_fma_f32 v12, 0x3fb8aa3b, v6, -v8
	v_rndne_f32_e32 v13, v8
	v_dual_sub_f32 v11, v11, v21 :: v_dual_fmac_f32 v14, 0x32a5705f, v2
	v_rndne_f32_e32 v19, v10
	s_delay_alu instid0(VALU_DEP_2) | instskip(NEXT) | instid1(VALU_DEP_3)
	v_dual_fmac_f32 v12, 0x32a5705f, v6 :: v_dual_add_f32 v11, v11, v20
	v_dual_sub_f32 v8, v8, v13 :: v_dual_add_f32 v9, v9, v14
	s_delay_alu instid0(VALU_DEP_3) | instskip(SKIP_1) | instid1(VALU_DEP_4)
	v_sub_f32_e32 v10, v10, v19
	v_cvt_i32_f32_e32 v14, v19
	v_exp_f32_e32 v11, v11
	s_delay_alu instid0(VALU_DEP_3)
	v_add_f32_e32 v8, v8, v12
	v_exp_f32_e32 v9, v9
	v_cvt_i32_f32_e32 v12, v13
	v_cvt_i32_f32_e32 v13, v15
	;; [unrolled: 1-line block ×3, first 2 shown]
	v_exp_f32_e32 v8, v8
	s_delay_alu instid0(TRANS32_DEP_3) | instid1(VALU_DEP_1)
	v_ldexp_f32 v11, v11, v15
	s_waitcnt_depctr 0xfff
	v_ldexp_f32 v9, v9, v13
	v_ldexp_f32 v8, v8, v12
	s_delay_alu instid0(VALU_DEP_1) | instskip(SKIP_1) | instid1(VALU_DEP_4)
	v_cndmask_b32_e32 v8, 0, v8, vcc_lo
	v_cmp_ngt_f32_e32 vcc_lo, 0xc2ce8ed0, v2
	v_dual_fmac_f32 v18, 0x32a5705f, v7 :: v_dual_cndmask_b32 v9, 0, v9
	s_delay_alu instid0(VALU_DEP_1) | instskip(SKIP_1) | instid1(VALU_DEP_2)
	v_add_f32_e32 v10, v10, v18
	v_cmp_ngt_f32_e32 vcc_lo, 0xc2ce8ed0, v7
	v_exp_f32_e32 v10, v10
	s_waitcnt_depctr 0xfff
	v_ldexp_f32 v10, v10, v14
	s_delay_alu instid0(VALU_DEP_1)
	v_cndmask_b32_e32 v10, 0, v10, vcc_lo
	v_cmp_ngt_f32_e32 vcc_lo, 0xc2ce8ed0, v3
	v_cndmask_b32_e32 v11, 0, v11, vcc_lo
	v_cmp_nlt_f32_e32 vcc_lo, 0x42b17218, v6
	v_cndmask_b32_e32 v6, 0x7f800000, v8, vcc_lo
	v_cmp_nlt_f32_e32 vcc_lo, 0x42b17218, v2
	s_delay_alu instid0(VALU_DEP_2) | instskip(SKIP_2) | instid1(VALU_DEP_3)
	v_cvt_f16_f32_e32 v8, v6
	v_cndmask_b32_e32 v2, 0x7f800000, v9, vcc_lo
	v_cmp_nlt_f32_e32 vcc_lo, 0x42b17218, v7
	v_pk_mul_f16 v45, v8, v45 op_sel_hi:[0,1]
	s_delay_alu instid0(VALU_DEP_3)
	v_fmac_f32_e32 v2, v0, v6
	v_cndmask_b32_e32 v7, 0x7f800000, v10, vcc_lo
	v_cmp_nlt_f32_e32 vcc_lo, 0x42b17218, v3
	v_pk_mul_f16 v46, v8, v46 op_sel_hi:[0,1]
	v_pk_mul_f16 v49, v8, v49 op_sel_hi:[0,1]
	;; [unrolled: 1-line block ×3, first 2 shown]
	v_cvt_f16_f32_e32 v0, v7
	v_cndmask_b32_e32 v3, 0x7f800000, v11, vcc_lo
	s_delay_alu instid0(VALU_DEP_2) | instskip(SKIP_4) | instid1(VALU_DEP_1)
	v_pk_mul_f16 v40, v0, v40 op_sel_hi:[0,1]
	v_pk_mul_f16 v43, v0, v43 op_sel_hi:[0,1]
	;; [unrolled: 1-line block ×4, first 2 shown]
	v_dual_mov_b32 v0, v2 :: v_dual_fmac_f32 v3, v1, v7
	v_mov_b32_e32 v1, v3
	s_mov_b32 s2, exec_lo
	v_cmpx_gt_i32_e64 s6, v16
	s_cbranch_execnz .LBB62_24
.LBB62_22:
	s_nop 0
	s_sendmsg sendmsg(MSG_DEALLOC_VGPRS)
	s_endpgm
.LBB62_23:
	s_delay_alu instid0(VALU_DEP_1)
	v_dual_mov_b32 v3, v1 :: v_dual_mov_b32 v2, v0
	s_mov_b32 s2, exec_lo
	v_cmpx_gt_i32_e64 s6, v16
	s_cbranch_execz .LBB62_22
.LBB62_24:
	s_load_b32 s1, s[0:1], 0xd4
	v_mov_b32_e32 v6, 1.0
	s_waitcnt lgkmcnt(0)
	s_cmp_lg_u32 s1, 1
	s_cselect_b32 s3, -1, 0
	s_cmp_eq_u32 s1, 1
	s_cselect_b32 s2, -1, 0
	s_and_b32 vcc_lo, exec_lo, s3
	s_cbranch_vccnz .LBB62_26
; %bb.25:
	v_div_scale_f32 v4, null, v0, v0, 1.0
	s_delay_alu instid0(VALU_DEP_1) | instskip(SKIP_2) | instid1(VALU_DEP_1)
	v_rcp_f32_e32 v5, v4
	s_waitcnt_depctr 0xfff
	v_fma_f32 v6, -v4, v5, 1.0
	v_fmac_f32_e32 v5, v6, v5
	v_div_scale_f32 v6, vcc_lo, 1.0, v0, 1.0
	s_delay_alu instid0(VALU_DEP_1) | instskip(NEXT) | instid1(VALU_DEP_1)
	v_mul_f32_e32 v7, v6, v5
	v_fma_f32 v8, -v4, v7, v6
	s_delay_alu instid0(VALU_DEP_1) | instskip(NEXT) | instid1(VALU_DEP_1)
	v_fmac_f32_e32 v7, v8, v5
	v_fma_f32 v4, -v4, v7, v6
	s_delay_alu instid0(VALU_DEP_1) | instskip(NEXT) | instid1(VALU_DEP_1)
	v_div_fmas_f32 v4, v4, v5, v7
	v_div_fixup_f32 v6, v4, v0, 1.0
.LBB62_26:
	v_mad_u64_u32 v[4:5], null, s12, s6, v[16:17]
	v_lshrrev_b32_e32 v7, 16, v46
	v_cvt_f32_f16_e32 v8, v46
	v_lshrrev_b32_e32 v10, 16, v45
	v_mov_b32_e32 v16, 0
	v_lshrrev_b32_e32 v12, 16, v51
	v_cmp_eq_u32_e32 vcc_lo, 0, v17
	v_mul_f32_e32 v9, v6, v8
	v_mul_lo_u32 v0, v4, s7
	v_cvt_f32_f16_e32 v11, v45
	v_cvt_f32_f16_e32 v14, v49
	;; [unrolled: 1-line block ×5, first 2 shown]
	v_mul_f32_e32 v7, v6, v11
	v_mul_f32_e32 v11, v6, v14
	v_add3_u32 v0, s15, v38, v0
	v_mul_f32_e32 v10, v6, v19
	v_mul_f32_e32 v14, v6, v12
	v_mul_f32_e32 v8, v6, v8
	s_delay_alu instid0(VALU_DEP_4) | instskip(SKIP_2) | instid1(VALU_DEP_2)
	v_mad_u64_u32 v[4:5], null, s1, v0, s[14:15]
	v_cvt_f32_f16_e32 v0, v51
	v_lshrrev_b32_e32 v5, 16, v49
	v_mul_f32_e32 v13, v6, v0
	s_delay_alu instid0(VALU_DEP_4) | instskip(NEXT) | instid1(VALU_DEP_3)
	v_lshl_add_u32 v15, v4, 8, v37
	v_cvt_f32_f16_e32 v0, v5
	s_delay_alu instid0(VALU_DEP_2) | instskip(NEXT) | instid1(VALU_DEP_2)
	v_lshlrev_b64 v[17:18], 2, v[15:16]
	v_dual_mul_f32 v12, v6, v0 :: v_dual_add_nc_u32 v15, 0x80, v15
	s_delay_alu instid0(VALU_DEP_1) | instskip(NEXT) | instid1(VALU_DEP_3)
	v_lshlrev_b64 v[5:6], 2, v[15:16]
	v_add_co_u32 v15, s0, s28, v17
	s_delay_alu instid0(VALU_DEP_1) | instskip(NEXT) | instid1(VALU_DEP_3)
	v_add_co_ci_u32_e64 v16, s0, s29, v18, s0
	v_add_co_u32 v5, s0, s28, v5
	s_delay_alu instid0(VALU_DEP_1)
	v_add_co_ci_u32_e64 v6, s0, s29, v6, s0
	s_and_b32 s0, vcc_lo, s3
	s_clause 0x1
	global_store_b128 v[15:16], v[7:10], off
	global_store_b128 v[5:6], v[11:14], off
	s_and_saveexec_b32 s3, s0
	s_cbranch_execz .LBB62_28
; %bb.27:
	v_ashrrev_i32_e32 v5, 31, v4
	v_dual_mov_b32 v7, v35 :: v_dual_mov_b32 v8, v2
	s_delay_alu instid0(VALU_DEP_2) | instskip(NEXT) | instid1(VALU_DEP_1)
	v_lshlrev_b64 v[5:6], 3, v[4:5]
	v_add_co_u32 v5, vcc_lo, s30, v5
	s_delay_alu instid0(VALU_DEP_2)
	v_add_co_ci_u32_e32 v6, vcc_lo, s31, v6, vcc_lo
	global_store_b64 v[5:6], v[7:8], off
.LBB62_28:
	s_or_b32 exec_lo, exec_lo, s3
	v_mov_b32_e32 v2, 1.0
	s_and_not1_b32 vcc_lo, exec_lo, s2
	s_cbranch_vccnz .LBB62_30
; %bb.29:
	v_div_scale_f32 v0, null, v1, v1, 1.0
	s_delay_alu instid0(VALU_DEP_1) | instskip(SKIP_2) | instid1(VALU_DEP_1)
	v_rcp_f32_e32 v2, v0
	s_waitcnt_depctr 0xfff
	v_fma_f32 v5, -v0, v2, 1.0
	v_fmac_f32_e32 v2, v5, v2
	v_div_scale_f32 v5, vcc_lo, 1.0, v1, 1.0
	s_delay_alu instid0(VALU_DEP_1) | instskip(NEXT) | instid1(VALU_DEP_1)
	v_mul_f32_e32 v6, v5, v2
	v_fma_f32 v7, -v0, v6, v5
	s_delay_alu instid0(VALU_DEP_1) | instskip(NEXT) | instid1(VALU_DEP_1)
	v_fmac_f32_e32 v6, v7, v2
	v_fma_f32 v0, -v0, v6, v5
	s_delay_alu instid0(VALU_DEP_1) | instskip(NEXT) | instid1(VALU_DEP_1)
	v_div_fmas_f32 v0, v0, v2, v6
	v_div_fixup_f32 v2, v0, v1, 1.0
.LBB62_30:
	v_lshrrev_b32_e32 v1, 16, v43
	v_dual_mov_b32 v9, 0 :: v_dual_add_nc_u32 v0, s1, v4
	v_lshrrev_b32_e32 v4, 16, v40
	v_lshrrev_b32_e32 v14, 16, v42
	s_delay_alu instid0(VALU_DEP_4) | instskip(NEXT) | instid1(VALU_DEP_4)
	v_cvt_f32_f16_e32 v1, v1
	v_lshl_add_u32 v8, v0, 8, v37
	v_cvt_f32_f16_e32 v5, v43
	v_cvt_f32_f16_e32 v4, v4
	;; [unrolled: 1-line block ×3, first 2 shown]
	v_mul_f32_e32 v7, v2, v1
	v_lshlrev_b64 v[10:11], 2, v[8:9]
	v_add_nc_u32_e32 v8, 0x80, v8
	v_lshrrev_b32_e32 v1, 16, v41
	v_cvt_f32_f16_e32 v16, v14
	v_mul_f32_e32 v6, v2, v5
	v_mul_f32_e32 v5, v2, v4
	v_lshlrev_b64 v[14:15], 2, v[8:9]
	v_cvt_f32_f16_e32 v1, v1
	v_mul_f32_e32 v4, v2, v12
	v_add_co_u32 v12, vcc_lo, s28, v10
	v_cvt_f32_f16_e32 v10, v41
	v_cvt_f32_f16_e32 v17, v42
	v_add_co_ci_u32_e32 v13, vcc_lo, s29, v11, vcc_lo
	v_mul_f32_e32 v11, v2, v1
	v_add_co_u32 v1, vcc_lo, s28, v14
	v_mul_f32_e32 v10, v2, v10
	v_mul_f32_e32 v9, v2, v16
	;; [unrolled: 1-line block ×3, first 2 shown]
	v_add_co_ci_u32_e32 v2, vcc_lo, s29, v15, vcc_lo
	s_clause 0x1
	global_store_b128 v[12:13], v[4:7], off
	global_store_b128 v[1:2], v[8:11], off
	s_and_b32 exec_lo, exec_lo, s0
	s_cbranch_execz .LBB62_22
; %bb.31:
	v_ashrrev_i32_e32 v1, 31, v0
	v_mov_b32_e32 v2, v36
	s_delay_alu instid0(VALU_DEP_2) | instskip(NEXT) | instid1(VALU_DEP_1)
	v_lshlrev_b64 v[0:1], 3, v[0:1]
	v_add_co_u32 v0, vcc_lo, s30, v0
	s_delay_alu instid0(VALU_DEP_2)
	v_add_co_ci_u32_e32 v1, vcc_lo, s31, v1, vcc_lo
	global_store_b64 v[0:1], v[2:3], off
	s_nop 0
	s_sendmsg sendmsg(MSG_DEALLOC_VGPRS)
	s_endpgm
	.section	.rodata,"a",@progbits
	.p2align	6, 0x0
	.amdhsa_kernel _ZL15flash_attn_tileILi256ELi256ELi4ELi4ELb1EEvPKcS1_S1_S1_S1_PKiPfP15HIP_vector_typeIfLj2EEffffjfiS5_IjLj3EEiiiiiiiiiiiliiliiiiil
		.amdhsa_group_segment_fixed_size 26112
		.amdhsa_private_segment_fixed_size 0
		.amdhsa_kernarg_size 464
		.amdhsa_user_sgpr_count 13
		.amdhsa_user_sgpr_dispatch_ptr 0
		.amdhsa_user_sgpr_queue_ptr 0
		.amdhsa_user_sgpr_kernarg_segment_ptr 1
		.amdhsa_user_sgpr_dispatch_id 0
		.amdhsa_user_sgpr_private_segment_size 0
		.amdhsa_wavefront_size32 1
		.amdhsa_uses_dynamic_stack 0
		.amdhsa_enable_private_segment 0
		.amdhsa_system_sgpr_workgroup_id_x 1
		.amdhsa_system_sgpr_workgroup_id_y 1
		.amdhsa_system_sgpr_workgroup_id_z 1
		.amdhsa_system_sgpr_workgroup_info 0
		.amdhsa_system_vgpr_workitem_id 1
		.amdhsa_next_free_vgpr 192
		.amdhsa_next_free_sgpr 40
		.amdhsa_reserve_vcc 1
		.amdhsa_float_round_mode_32 0
		.amdhsa_float_round_mode_16_64 0
		.amdhsa_float_denorm_mode_32 3
		.amdhsa_float_denorm_mode_16_64 3
		.amdhsa_dx10_clamp 1
		.amdhsa_ieee_mode 1
		.amdhsa_fp16_overflow 0
		.amdhsa_workgroup_processor_mode 1
		.amdhsa_memory_ordered 1
		.amdhsa_forward_progress 0
		.amdhsa_shared_vgpr_count 0
		.amdhsa_exception_fp_ieee_invalid_op 0
		.amdhsa_exception_fp_denorm_src 0
		.amdhsa_exception_fp_ieee_div_zero 0
		.amdhsa_exception_fp_ieee_overflow 0
		.amdhsa_exception_fp_ieee_underflow 0
		.amdhsa_exception_fp_ieee_inexact 0
		.amdhsa_exception_int_div_zero 0
	.end_amdhsa_kernel
	.section	.text._ZL15flash_attn_tileILi256ELi256ELi4ELi4ELb1EEvPKcS1_S1_S1_S1_PKiPfP15HIP_vector_typeIfLj2EEffffjfiS5_IjLj3EEiiiiiiiiiiiliiliiiiil,"axG",@progbits,_ZL15flash_attn_tileILi256ELi256ELi4ELi4ELb1EEvPKcS1_S1_S1_S1_PKiPfP15HIP_vector_typeIfLj2EEffffjfiS5_IjLj3EEiiiiiiiiiiiliiliiiiil,comdat
.Lfunc_end62:
	.size	_ZL15flash_attn_tileILi256ELi256ELi4ELi4ELb1EEvPKcS1_S1_S1_S1_PKiPfP15HIP_vector_typeIfLj2EEffffjfiS5_IjLj3EEiiiiiiiiiiiliiliiiiil, .Lfunc_end62-_ZL15flash_attn_tileILi256ELi256ELi4ELi4ELb1EEvPKcS1_S1_S1_S1_PKiPfP15HIP_vector_typeIfLj2EEffffjfiS5_IjLj3EEiiiiiiiiiiiliiliiiiil
                                        ; -- End function
	.section	.AMDGPU.csdata,"",@progbits
; Kernel info:
; codeLenInByte = 14264
; NumSgprs: 42
; NumVgprs: 192
; ScratchSize: 0
; MemoryBound: 0
; FloatMode: 240
; IeeeMode: 1
; LDSByteSize: 26112 bytes/workgroup (compile time only)
; SGPRBlocks: 5
; VGPRBlocks: 23
; NumSGPRsForWavesPerEU: 42
; NumVGPRsForWavesPerEU: 192
; Occupancy: 8
; WaveLimiterHint : 1
; COMPUTE_PGM_RSRC2:SCRATCH_EN: 0
; COMPUTE_PGM_RSRC2:USER_SGPR: 13
; COMPUTE_PGM_RSRC2:TRAP_HANDLER: 0
; COMPUTE_PGM_RSRC2:TGID_X_EN: 1
; COMPUTE_PGM_RSRC2:TGID_Y_EN: 1
; COMPUTE_PGM_RSRC2:TGID_Z_EN: 1
; COMPUTE_PGM_RSRC2:TIDIG_COMP_CNT: 1
	.section	.text._ZL15flash_attn_tileILi256ELi256ELi2ELi4ELb1EEvPKcS1_S1_S1_S1_PKiPfP15HIP_vector_typeIfLj2EEffffjfiS5_IjLj3EEiiiiiiiiiiiliiliiiiil,"axG",@progbits,_ZL15flash_attn_tileILi256ELi256ELi2ELi4ELb1EEvPKcS1_S1_S1_S1_PKiPfP15HIP_vector_typeIfLj2EEffffjfiS5_IjLj3EEiiiiiiiiiiiliiliiiiil,comdat
	.globl	_ZL15flash_attn_tileILi256ELi256ELi2ELi4ELb1EEvPKcS1_S1_S1_S1_PKiPfP15HIP_vector_typeIfLj2EEffffjfiS5_IjLj3EEiiiiiiiiiiiliiliiiiil ; -- Begin function _ZL15flash_attn_tileILi256ELi256ELi2ELi4ELb1EEvPKcS1_S1_S1_S1_PKiPfP15HIP_vector_typeIfLj2EEffffjfiS5_IjLj3EEiiiiiiiiiiiliiliiiiil
	.p2align	8
	.type	_ZL15flash_attn_tileILi256ELi256ELi2ELi4ELb1EEvPKcS1_S1_S1_S1_PKiPfP15HIP_vector_typeIfLj2EEffffjfiS5_IjLj3EEiiiiiiiiiiiliiliiiiil,@function
_ZL15flash_attn_tileILi256ELi256ELi2ELi4ELb1EEvPKcS1_S1_S1_S1_PKiPfP15HIP_vector_typeIfLj2EEffffjfiS5_IjLj3EEiiiiiiiiiiiliiliiiiil: ; @_ZL15flash_attn_tileILi256ELi256ELi2ELi4ELb1EEvPKcS1_S1_S1_S1_PKiPfP15HIP_vector_typeIfLj2EEffffjfiS5_IjLj3EEiiiiiiiiiiiliiliiiiil
; %bb.0:
	s_clause 0x1
	s_load_b128 s[4:7], s[0:1], 0x5c
	s_load_b64 s[34:35], s[0:1], 0x80
	s_mov_b64 s[36:37], 0
	s_waitcnt lgkmcnt(0)
	s_ashr_i32 s2, s7, 31
	s_delay_alu instid0(SALU_CYCLE_1) | instskip(NEXT) | instid1(SALU_CYCLE_1)
	s_lshr_b32 s2, s2, 30
	s_add_i32 s2, s7, s2
	s_delay_alu instid0(SALU_CYCLE_1) | instskip(NEXT) | instid1(SALU_CYCLE_1)
	s_ashr_i32 s2, s2, 2
	v_cvt_f32_u32_e32 v1, s2
	s_sub_i32 s8, 0, s2
	s_delay_alu instid0(VALU_DEP_1) | instskip(SKIP_2) | instid1(VALU_DEP_1)
	v_rcp_iflag_f32_e32 v1, v1
	s_waitcnt_depctr 0xfff
	v_mul_f32_e32 v1, 0x4f7ffffe, v1
	v_cvt_u32_f32_e32 v1, v1
	s_delay_alu instid0(VALU_DEP_1) | instskip(NEXT) | instid1(VALU_DEP_1)
	v_readfirstlane_b32 s3, v1
	s_mul_i32 s8, s8, s3
	s_delay_alu instid0(SALU_CYCLE_1) | instskip(NEXT) | instid1(SALU_CYCLE_1)
	s_mul_hi_u32 s8, s3, s8
	s_add_i32 s3, s3, s8
	s_delay_alu instid0(SALU_CYCLE_1) | instskip(NEXT) | instid1(SALU_CYCLE_1)
	s_mul_hi_u32 s3, s15, s3
	s_mul_i32 s8, s3, s2
	s_add_i32 s9, s3, 1
	s_sub_i32 s8, s15, s8
	s_delay_alu instid0(SALU_CYCLE_1)
	s_sub_i32 s10, s8, s2
	s_cmp_ge_u32 s8, s2
	s_cselect_b32 s3, s9, s3
	s_cselect_b32 s8, s10, s8
	s_add_i32 s9, s3, 1
	s_cmp_ge_u32 s8, s2
	s_cselect_b32 s12, s9, s3
	s_abs_i32 s2, s35
	s_abs_i32 s11, s7
	v_cvt_f32_u32_e32 v1, s2
	s_sub_i32 s8, 0, s2
	s_lshl_b32 s9, s15, 2
	s_mul_i32 s10, s12, s7
	s_delay_alu instid0(VALU_DEP_1) | instskip(SKIP_3) | instid1(VALU_DEP_1)
	v_rcp_iflag_f32_e32 v1, v1
	s_sub_i32 s15, s9, s10
	s_waitcnt_depctr 0xfff
	v_mul_f32_e32 v1, 0x4f7ffffe, v1
	v_cvt_u32_f32_e32 v1, v1
	s_delay_alu instid0(VALU_DEP_1) | instskip(NEXT) | instid1(VALU_DEP_1)
	v_readfirstlane_b32 s3, v1
	s_mul_i32 s8, s8, s3
	s_delay_alu instid0(SALU_CYCLE_1) | instskip(NEXT) | instid1(SALU_CYCLE_1)
	s_mul_hi_u32 s8, s3, s8
	s_add_i32 s3, s3, s8
	s_xor_b32 s8, s7, s35
	s_mul_hi_u32 s3, s11, s3
	s_ashr_i32 s8, s8, 31
	s_mul_i32 s9, s3, s2
	s_add_i32 s10, s3, 1
	s_sub_i32 s9, s11, s9
	s_delay_alu instid0(SALU_CYCLE_1)
	s_sub_i32 s11, s9, s2
	s_cmp_ge_u32 s9, s2
	s_cselect_b32 s3, s10, s3
	s_cselect_b32 s9, s11, s9
	s_add_i32 s10, s3, 1
	s_cmp_ge_u32 s9, s2
	s_cselect_b32 s2, s10, s3
	s_delay_alu instid0(SALU_CYCLE_1) | instskip(NEXT) | instid1(SALU_CYCLE_1)
	s_xor_b32 s2, s2, s8
	s_sub_i32 s35, s2, s8
	s_clause 0x1
	s_load_b512 s[16:31], s[0:1], 0x0
	s_load_b64 s[2:3], s[0:1], 0xb8
	s_abs_i32 s33, s35
	s_delay_alu instid0(SALU_CYCLE_1) | instskip(NEXT) | instid1(VALU_DEP_1)
	v_cvt_f32_u32_e32 v1, s33
	v_rcp_iflag_f32_e32 v1, v1
	s_waitcnt_depctr 0xfff
	v_mul_f32_e32 v1, 0x4f7ffffe, v1
	s_waitcnt lgkmcnt(0)
	s_cmp_eq_u64 s[22:23], 0
	s_delay_alu instid0(VALU_DEP_1) | instskip(NEXT) | instid1(VALU_DEP_1)
	v_cvt_u32_f32_e32 v1, v1
	v_readfirstlane_b32 s38, v1
	s_cbranch_scc1 .LBB63_2
; %bb.1:
	s_abs_i32 s2, s2
	s_abs_i32 s10, s12
	v_cvt_f32_u32_e32 v1, s2
	s_sub_i32 s9, 0, s2
	s_delay_alu instid0(VALU_DEP_1) | instskip(SKIP_2) | instid1(VALU_DEP_1)
	v_rcp_iflag_f32_e32 v1, v1
	s_waitcnt_depctr 0xfff
	v_mul_f32_e32 v1, 0x4f7ffffe, v1
	v_cvt_u32_f32_e32 v1, v1
	s_delay_alu instid0(VALU_DEP_1) | instskip(NEXT) | instid1(VALU_DEP_1)
	v_readfirstlane_b32 s8, v1
	s_mul_i32 s9, s9, s8
	s_delay_alu instid0(SALU_CYCLE_1) | instskip(NEXT) | instid1(SALU_CYCLE_1)
	s_mul_hi_u32 s9, s8, s9
	s_add_i32 s11, s8, s9
	s_load_b64 s[8:9], s[0:1], 0xc8
	s_mul_hi_u32 s11, s10, s11
	s_delay_alu instid0(SALU_CYCLE_1) | instskip(NEXT) | instid1(SALU_CYCLE_1)
	s_mul_i32 s11, s11, s2
	s_sub_i32 s10, s10, s11
	s_ashr_i32 s11, s12, 31
	s_sub_i32 s36, s10, s2
	s_cmp_ge_u32 s10, s2
	s_cselect_b32 s10, s36, s10
	s_delay_alu instid0(SALU_CYCLE_1) | instskip(SKIP_2) | instid1(SALU_CYCLE_1)
	s_sub_i32 s36, s10, s2
	s_cmp_ge_u32 s10, s2
	s_cselect_b32 s2, s36, s10
	s_xor_b32 s2, s2, s11
	s_delay_alu instid0(SALU_CYCLE_1)
	s_sub_i32 s2, s2, s11
	s_waitcnt lgkmcnt(0)
	s_mul_i32 s9, s2, s9
	s_mul_hi_u32 s10, s2, s8
	s_ashr_i32 s11, s2, 31
	s_add_i32 s9, s10, s9
	s_mul_i32 s11, s11, s8
	s_mul_i32 s2, s2, s8
	s_add_i32 s9, s9, s11
	s_add_u32 s36, s22, s2
	s_addc_u32 s37, s23, s9
.LBB63_2:
	v_bfe_u32 v2, v0, 10, 10
	s_load_b128 s[8:11], s[0:1], 0x70
	v_and_b32_e32 v0, 0x3ff, v0
	s_delay_alu instid0(VALU_DEP_2) | instskip(SKIP_1) | instid1(VALU_DEP_2)
	v_lshrrev_b32_e32 v1, 1, v2
	v_lshlrev_b32_e32 v7, 1, v2
	v_lshl_add_u32 v1, s13, 1, v1
	s_delay_alu instid0(VALU_DEP_2) | instskip(NEXT) | instid1(VALU_DEP_2)
	v_or_b32_e32 v22, 1, v7
	v_mul_hi_u32 v3, s4, v1
	s_delay_alu instid0(VALU_DEP_2) | instskip(SKIP_4) | instid1(VALU_DEP_3)
	v_and_b32_e32 v13, 3, v22
	v_lshlrev_b32_e32 v22, 7, v22
	s_waitcnt lgkmcnt(0)
	s_mul_i32 s2, s12, s10
	s_mul_i32 s4, s15, s9
	v_add_nc_u32_e32 v3, v1, v3
	s_delay_alu instid0(VALU_DEP_1)
	v_lshrrev_b32_e32 v3, s5, v3
	s_ashr_i32 s5, s2, 31
	s_add_u32 s2, s16, s2
	s_addc_u32 s5, s17, s5
	s_ashr_i32 s10, s4, 31
	v_mul_lo_u32 v3, v3, s6
	s_add_u32 s2, s2, s4
	s_addc_u32 s4, s5, s10
	s_ashr_i32 s5, s8, 31
	s_delay_alu instid0(SALU_CYCLE_1) | instskip(SKIP_2) | instid1(VALU_DEP_2)
	v_alignbit_b32 v8, s5, s8, 2
	s_ashr_i32 s8, s9, 31
	s_lshr_b32 s5, s5, 2
	v_sub_nc_u32_e32 v4, v1, v3
	v_alignbit_b32 v11, s8, s9, 2
	s_lshr_b32 s10, s8, 2
	s_cmp_eq_u64 s[26:27], 0
	s_delay_alu instid0(VALU_DEP_2) | instskip(NEXT) | instid1(VALU_DEP_1)
	v_mad_u64_u32 v[5:6], null, v8, v4, 0
	v_dual_mov_b32 v3, v6 :: v_dual_and_b32 v38, 2, v7
	s_delay_alu instid0(VALU_DEP_1) | instskip(SKIP_1) | instid1(VALU_DEP_3)
	v_mul_lo_u32 v12, s10, v38
	v_mad_u64_u32 v[9:10], null, v11, v38, 0
	v_mad_u64_u32 v[6:7], null, s5, v4, v[3:4]
	;; [unrolled: 1-line block ×3, first 2 shown]
	s_mov_b32 s5, 0
	s_delay_alu instid0(VALU_DEP_3) | instskip(NEXT) | instid1(VALU_DEP_3)
	v_or_b32_e32 v10, v10, v12
	v_lshlrev_b64 v[5:6], 2, v[5:6]
	s_delay_alu instid0(VALU_DEP_3) | instskip(NEXT) | instid1(VALU_DEP_3)
	v_mov_b32_e32 v3, v8
	v_lshlrev_b64 v[9:10], 2, v[9:10]
	s_delay_alu instid0(VALU_DEP_3) | instskip(NEXT) | instid1(VALU_DEP_3)
	v_add_co_u32 v5, vcc_lo, s2, v5
	v_mad_u64_u32 v[11:12], null, s10, v13, v[3:4]
	v_lshlrev_b32_e32 v3, 4, v0
	v_add_co_ci_u32_e32 v6, vcc_lo, s4, v6, vcc_lo
	s_load_b32 s2, s[0:1], 0x40
	s_delay_alu instid0(VALU_DEP_2) | instskip(NEXT) | instid1(VALU_DEP_4)
	v_add_co_u32 v3, vcc_lo, v5, v3
	v_mov_b32_e32 v8, v11
	s_delay_alu instid0(VALU_DEP_3) | instskip(NEXT) | instid1(VALU_DEP_3)
	v_add_co_ci_u32_e32 v13, vcc_lo, 0, v6, vcc_lo
	v_add_co_u32 v11, vcc_lo, v3, v9
	s_delay_alu instid0(VALU_DEP_3) | instskip(NEXT) | instid1(VALU_DEP_3)
	v_lshlrev_b64 v[5:6], 2, v[7:8]
	v_add_co_ci_u32_e32 v12, vcc_lo, v13, v10, vcc_lo
	s_delay_alu instid0(VALU_DEP_2) | instskip(NEXT) | instid1(VALU_DEP_3)
	v_add_co_u32 v18, vcc_lo, v3, v5
	v_add_co_ci_u32_e32 v19, vcc_lo, v13, v6, vcc_lo
	s_clause 0x3
	global_load_b128 v[6:9], v[11:12], off
	global_load_b128 v[10:13], v[11:12], off offset:512
	global_load_b128 v[14:17], v[18:19], off
	global_load_b128 v[18:21], v[18:19], off offset:512
	v_lshlrev_b32_e32 v5, 1, v0
	v_lshlrev_b32_e32 v3, 3, v0
	s_delay_alu instid0(VALU_DEP_2) | instskip(NEXT) | instid1(VALU_DEP_2)
	v_add_lshl_u32 v22, v22, v5, 2
	v_lshl_or_b32 v3, v2, 10, v3
	s_delay_alu instid0(VALU_DEP_2) | instskip(NEXT) | instid1(VALU_DEP_2)
	v_add_nc_u32_e32 v30, 0x4000, v22
	v_add_nc_u32_e32 v3, 0x4000, v3
	s_waitcnt vmcnt(3) lgkmcnt(0)
	v_fma_mixlo_f16 v22, v6, s2, 0
	v_fma_mixlo_f16 v23, v8, s2, 0
	s_waitcnt vmcnt(2)
	v_fma_mixlo_f16 v24, v10, s2, 0
	v_fma_mixlo_f16 v25, v12, s2, 0
	s_waitcnt vmcnt(1)
	v_fma_mixlo_f16 v26, v14, s2, 0
	v_fma_mixlo_f16 v27, v16, s2, 0
	s_waitcnt vmcnt(0)
	v_fma_mixlo_f16 v28, v18, s2, 0
	v_fma_mixlo_f16 v29, v20, s2, 0
	v_fma_mixhi_f16 v23, v9, s2, 0
	v_fma_mixhi_f16 v22, v7, s2, 0
	;; [unrolled: 1-line block ×8, first 2 shown]
	ds_store_2addr_b64 v3, v[22:23], v[24:25] offset0:64 offset1:96
	ds_store_2addr_b64 v30, v[26:27], v[28:29] offset0:64 offset1:96
	s_waitcnt lgkmcnt(0)
	s_barrier
	buffer_gl0_inv
	s_cbranch_scc1 .LBB63_4
; %bb.3:
	s_load_b32 s2, s[0:1], 0xd0
	s_waitcnt lgkmcnt(0)
	s_mul_i32 s2, s2, s12
	s_delay_alu instid0(SALU_CYCLE_1) | instskip(NEXT) | instid1(SALU_CYCLE_1)
	s_add_i32 s4, s2, s13
	s_lshl_b64 s[4:5], s[4:5], 2
	s_delay_alu instid0(SALU_CYCLE_1)
	s_add_u32 s4, s26, s4
	s_addc_u32 s5, s27, s5
	s_load_b32 s34, s[4:5], 0x0
.LBB63_4:
	v_lshlrev_b32_e32 v37, 2, v0
	v_mbcnt_lo_u32_b32 v39, -1, 0
	s_lshl_b32 s5, s14, 5
	s_waitcnt lgkmcnt(0)
	s_cmp_lt_i32 s5, s34
	s_cbranch_scc1 .LBB63_6
; %bb.5:
	v_mbcnt_lo_u32_b32 v3, -1, 0
	v_mov_b32_e32 v40, 32
	s_mov_b32 s2, 0
	s_mov_b32 s4, 0xfeffffff
	s_delay_alu instid0(VALU_DEP_2)
	v_xor_b32_e32 v79, 16, v3
	v_xor_b32_e32 v74, 8, v3
	;; [unrolled: 1-line block ×5, first 2 shown]
	s_branch .LBB63_7
.LBB63_6:
	s_mov_b32 s2, -1
                                        ; implicit-def: $sgpr4
                                        ; implicit-def: $vgpr3
                                        ; implicit-def: $vgpr40
                                        ; implicit-def: $vgpr79
                                        ; implicit-def: $vgpr74
                                        ; implicit-def: $vgpr76
                                        ; implicit-def: $vgpr77
                                        ; implicit-def: $vgpr78
.LBB63_7:
	s_delay_alu instid0(SALU_CYCLE_1) | instskip(SKIP_2) | instid1(VALU_DEP_3)
	v_cndmask_b32_e64 v6, 0, 1, s2
	v_dual_mov_b32 v36, s4 :: v_dual_mov_b32 v69, s2
	v_dual_mov_b32 v80, s2 :: v_dual_mov_b32 v35, s4
	v_cmp_ne_u32_e32 vcc_lo, 1, v6
	v_dual_mov_b32 v43, s2 :: v_dual_mov_b32 v70, s2
	v_dual_mov_b32 v71, s2 :: v_dual_mov_b32 v72, s2
	;; [unrolled: 1-line block ×4, first 2 shown]
	s_cbranch_vccnz .LBB63_20
; %bb.8:
	s_clause 0x1
	s_load_b128 s[8:11], s[0:1], 0x98
	s_load_b64 s[22:23], s[0:1], 0x8c
	s_sub_i32 s2, 0, s33
	s_abs_i32 s4, s15
	s_mul_i32 s2, s2, s38
	s_ashr_i32 s26, s35, 31
	s_mul_hi_u32 s2, s38, s2
	s_ashr_i32 s17, s15, 31
	s_add_i32 s38, s38, s2
	s_ashr_i32 s27, s3, 1
	s_mul_hi_u32 s35, s4, s38
	s_ashr_i32 s38, s12, 31
	s_load_b64 s[2:3], s[0:1], 0xa8
	s_mul_i32 s39, s35, s33
	v_dual_mov_b32 v40, 32 :: v_dual_lshlrev_b32 v41, 2, v37
	v_lshl_add_u32 v46, v2, 7, 0x5200
	v_lshl_add_u32 v44, v2, 10, 0x4200
	v_lshlrev_b32_e32 v63, 2, v5
	s_delay_alu instid0(VALU_DEP_4)
	v_mad_u32_u24 v45, 0x210, v2, v41
	s_waitcnt lgkmcnt(0)
	s_mul_i32 s9, s12, s9
	s_mul_hi_u32 s40, s12, s8
	s_mul_i32 s41, s38, s8
	s_add_i32 s9, s40, s9
	s_mul_i32 s8, s12, s8
	s_ashr_i32 s13, s10, 2
	s_ashr_i32 s16, s22, 2
	s_add_i32 s9, s9, s41
	s_add_u32 s8, s18, s8
	s_addc_u32 s9, s19, s9
	s_sub_i32 s4, s4, s39
	s_xor_b32 s17, s17, s26
	s_add_i32 s18, s35, 1
	s_sub_i32 s19, s4, s33
	s_cmp_ge_u32 s4, s33
	s_mul_i32 s3, s12, s3
	s_cselect_b32 s18, s18, s35
	s_cselect_b32 s4, s19, s4
	s_add_i32 s19, s18, 1
	s_cmp_ge_u32 s4, s33
	s_mul_i32 s38, s38, s2
	s_cselect_b32 s4, s19, s18
	s_mul_hi_u32 s19, s12, s2
	s_xor_b32 s4, s4, s17
	v_mul_lo_u32 v6, s16, v2
	s_sub_i32 s4, s4, s17
	v_mul_lo_u32 v19, s13, v2
	s_mul_i32 s17, s4, s23
	s_mul_i32 s2, s12, s2
	s_ashr_i32 s18, s17, 31
	s_add_u32 s17, s8, s17
	s_addc_u32 s18, s9, s18
	s_add_i32 s3, s19, s3
	s_mul_i32 s4, s4, s11
	s_add_i32 s3, s3, s38
	s_add_u32 s2, s20, s2
	s_addc_u32 s3, s21, s3
	s_ashr_i32 s8, s4, 31
	s_add_u32 s11, s2, s4
	s_addc_u32 s19, s3, s8
	s_and_b32 s2, s22, -4
	s_and_b32 s3, s10, -4
	v_dual_mov_b32 v65, 0 :: v_dual_add_nc_u32 v8, s2, v6
	v_dual_mov_b32 v68, 0 :: v_dual_add_nc_u32 v21, s3, v19
	s_delay_alu instid0(VALU_DEP_2) | instskip(NEXT) | instid1(VALU_DEP_2)
	v_dual_mov_b32 v73, 0xfeffffff :: v_dual_add_nc_u32 v10, s2, v8
	v_dual_mov_b32 v70, 0 :: v_dual_add_nc_u32 v23, s3, v21
	v_mov_b32_e32 v43, 0
	s_delay_alu instid0(VALU_DEP_3) | instskip(SKIP_1) | instid1(VALU_DEP_3)
	v_dual_mov_b32 v71, 0 :: v_dual_add_nc_u32 v12, s2, v10
	s_load_b32 s20, s[0:1], 0x54
	v_add_nc_u32_e32 v27, s3, v23
	v_mov_b32_e32 v75, 0xfeffffff
	v_ashrrev_i32_e32 v7, 31, v6
	v_add_nc_u32_e32 v14, s2, v12
	v_ashrrev_i32_e32 v9, 31, v8
	v_add_nc_u32_e32 v31, s3, v27
	v_ashrrev_i32_e32 v11, 31, v10
	v_ashrrev_i32_e32 v13, 31, v12
	v_add_nc_u32_e32 v16, s2, v14
	v_ashrrev_i32_e32 v15, 31, v14
	v_add_nc_u32_e32 v33, s3, v31
	v_ashrrev_i32_e32 v20, 31, v19
	;; [unrolled: 5-line block ×4, first 2 shown]
	v_ashrrev_i32_e32 v34, 31, v33
	v_ashrrev_i32_e32 v30, 31, v29
	;; [unrolled: 1-line block ×4, first 2 shown]
	v_lshl_add_u32 v47, v2, 9, v41
	v_mad_u64_u32 v[2:3], null, v4, s27, v[0:1]
	v_lshl_add_u32 v55, v5, 1, v46
	v_lshlrev_b64 v[3:4], 2, v[6:7]
	v_lshlrev_b64 v[5:6], 2, v[8:9]
	;; [unrolled: 1-line block ×16, first 2 shown]
	v_mul_u32_u24_e32 v42, 0x210, v0
	v_dual_mov_b32 v67, 0 :: v_dual_add_nc_u32 v48, 0x840, v45
	v_dual_mov_b32 v66, 0 :: v_dual_add_nc_u32 v49, 0x1080, v45
	;; [unrolled: 1-line block ×4, first 2 shown]
	v_add_nc_u32_e32 v52, 0x2940, v45
	v_dual_mov_b32 v64, 0 :: v_dual_add_nc_u32 v53, 0x3180, v45
	v_add_nc_u32_e32 v54, 0x39c0, v45
	v_add_nc_u32_e32 v56, 0x800, v47
	;; [unrolled: 1-line block ×8, first 2 shown]
	s_add_u32 s8, s0, 0xd0
	s_addc_u32 s9, s1, 0
	s_mov_b32 s10, 0xbbbac73d
.LBB63_9:                               ; =>This Inner Loop Header: Depth=1
	s_mul_hi_i32 s3, s5, s16
	s_mul_i32 s2, s5, s16
	s_delay_alu instid0(SALU_CYCLE_1) | instskip(NEXT) | instid1(SALU_CYCLE_1)
	s_lshl_b64 s[2:3], s[2:3], 2
	s_add_u32 s2, s17, s2
	s_addc_u32 s3, s18, s3
	v_add_co_u32 v35, vcc_lo, s2, v3
	v_add_co_ci_u32_e32 v36, vcc_lo, s3, v4, vcc_lo
	v_add_co_u32 v74, vcc_lo, s2, v5
	v_add_co_ci_u32_e32 v76, vcc_lo, s3, v6, vcc_lo
	s_delay_alu instid0(VALU_DEP_4) | instskip(NEXT) | instid1(VALU_DEP_4)
	v_add_co_u32 v35, vcc_lo, v35, v41
	v_add_co_ci_u32_e32 v36, vcc_lo, 0, v36, vcc_lo
	s_delay_alu instid0(VALU_DEP_4) | instskip(NEXT) | instid1(VALU_DEP_4)
	v_add_co_u32 v80, vcc_lo, v74, v41
	v_add_co_ci_u32_e32 v81, vcc_lo, 0, v76, vcc_lo
	s_clause 0x1
	global_load_b128 v[76:79], v[35:36], off
	global_load_b128 v[80:83], v[80:81], off
	v_add_co_u32 v35, vcc_lo, s2, v7
	v_add_co_ci_u32_e32 v36, vcc_lo, s3, v8, vcc_lo
	v_add_co_u32 v74, vcc_lo, s2, v9
	v_add_co_ci_u32_e32 v84, vcc_lo, s3, v10, vcc_lo
	s_delay_alu instid0(VALU_DEP_4) | instskip(NEXT) | instid1(VALU_DEP_4)
	v_add_co_u32 v35, vcc_lo, v35, v41
	v_add_co_ci_u32_e32 v36, vcc_lo, 0, v36, vcc_lo
	s_delay_alu instid0(VALU_DEP_4) | instskip(NEXT) | instid1(VALU_DEP_4)
	v_add_co_u32 v88, vcc_lo, v74, v41
	v_add_co_ci_u32_e32 v89, vcc_lo, 0, v84, vcc_lo
	v_add_co_u32 v74, vcc_lo, s2, v11
	v_add_co_ci_u32_e32 v84, vcc_lo, s3, v12, vcc_lo
	v_add_co_u32 v85, vcc_lo, s2, v13
	v_add_co_ci_u32_e32 v86, vcc_lo, s3, v14, vcc_lo
	s_delay_alu instid0(VALU_DEP_4) | instskip(NEXT) | instid1(VALU_DEP_4)
	v_add_co_u32 v92, vcc_lo, v74, v41
	v_add_co_ci_u32_e32 v93, vcc_lo, 0, v84, vcc_lo
	s_delay_alu instid0(VALU_DEP_4) | instskip(NEXT) | instid1(VALU_DEP_4)
	v_add_co_u32 v96, vcc_lo, v85, v41
	v_add_co_ci_u32_e32 v97, vcc_lo, 0, v86, vcc_lo
	;; [unrolled: 10-line block ×3, first 2 shown]
	s_clause 0x5
	global_load_b128 v[84:87], v[35:36], off
	global_load_b128 v[88:91], v[88:89], off
	;; [unrolled: 1-line block ×6, first 2 shown]
	v_dual_mov_b32 v36, 0 :: v_dual_mov_b32 v35, 0
                                        ; implicit-def: $vgpr74
	s_waitcnt vmcnt(7)
	ds_store_b128 v45, v[76:79]
	s_waitcnt vmcnt(6)
	ds_store_b128 v48, v[80:83]
	;; [unrolled: 2-line block ×8, first 2 shown]
	s_waitcnt lgkmcnt(0)
	s_barrier
	buffer_gl0_inv
	ds_load_b128 v[76:79], v42
	ds_load_b128 v[80:83], v44
	ds_load_b128 v[84:87], v44 offset:512
	s_waitcnt lgkmcnt(1)
	;;#ASMSTART
	v_dot2_f32_f16 v36, v76, v80, v36
	;;#ASMEND
	;;#ASMSTART
	v_dot2_f32_f16 v36, v77, v81, v36
	;;#ASMEND
	;;#ASMSTART
	v_dot2_f32_f16 v36, v78, v82, v36
	;;#ASMEND
	;;#ASMSTART
	v_dot2_f32_f16 v36, v79, v83, v36
	;;#ASMEND
	s_waitcnt lgkmcnt(0)
	;;#ASMSTART
	v_dot2_f32_f16 v35, v76, v84, v35
	;;#ASMEND
	;;#ASMSTART
	v_dot2_f32_f16 v35, v77, v85, v35
	;;#ASMEND
	;;#ASMSTART
	v_dot2_f32_f16 v35, v78, v86, v35
	;;#ASMEND
	;;#ASMSTART
	v_dot2_f32_f16 v35, v79, v87, v35
	;;#ASMEND
	ds_load_b128 v[76:79], v42 offset:16
	ds_load_b128 v[80:83], v44 offset:16
	ds_load_b128 v[84:87], v44 offset:528
	s_waitcnt lgkmcnt(1)
	;;#ASMSTART
	v_dot2_f32_f16 v36, v76, v80, v36
	;;#ASMEND
	;;#ASMSTART
	v_dot2_f32_f16 v36, v77, v81, v36
	;;#ASMEND
	;;#ASMSTART
	v_dot2_f32_f16 v36, v78, v82, v36
	;;#ASMEND
	;;#ASMSTART
	v_dot2_f32_f16 v36, v79, v83, v36
	;;#ASMEND
	s_waitcnt lgkmcnt(0)
	;;#ASMSTART
	v_dot2_f32_f16 v35, v76, v84, v35
	;;#ASMEND
	;;#ASMSTART
	v_dot2_f32_f16 v35, v77, v85, v35
	;;#ASMEND
	;;#ASMSTART
	v_dot2_f32_f16 v35, v78, v86, v35
	;;#ASMEND
	;;#ASMSTART
	v_dot2_f32_f16 v35, v79, v87, v35
	;;#ASMEND
	ds_load_b128 v[76:79], v42 offset:32
	ds_load_b128 v[80:83], v44 offset:32
	;; [unrolled: 29-line block ×31, first 2 shown]
	v_add_nc_u32_e32 v88, s5, v2
	ds_load_b128 v[84:87], v44 offset:1008
	s_waitcnt lgkmcnt(1)
	;;#ASMSTART
	v_dot2_f32_f16 v36, v76, v80, v36
	;;#ASMEND
	v_ashrrev_i32_e32 v89, 31, v88
	;;#ASMSTART
	v_dot2_f32_f16 v36, v77, v81, v36
	;;#ASMEND
	;;#ASMSTART
	v_dot2_f32_f16 v36, v78, v82, v36
	;;#ASMEND
	;; [unrolled: 3-line block ×3, first 2 shown]
	s_waitcnt lgkmcnt(0)
	;;#ASMSTART
	v_dot2_f32_f16 v35, v76, v84, v35
	;;#ASMEND
	v_lshlrev_b64 v[88:89], 1, v[88:89]
	;;#ASMSTART
	v_dot2_f32_f16 v35, v77, v85, v35
	;;#ASMEND
	;;#ASMSTART
	v_dot2_f32_f16 v35, v78, v86, v35
	;;#ASMEND
	;; [unrolled: 3-line block ×3, first 2 shown]
	v_cmp_ngt_f32_e64 s2, 0x3f200000, |v36|
	s_delay_alu instid0(VALU_DEP_2) | instskip(SKIP_3) | instid1(SALU_CYCLE_1)
	v_add_co_u32 v88, vcc_lo, s36, v88
	v_add_co_ci_u32_e32 v89, vcc_lo, s37, v89, vcc_lo
	flat_load_u16 v80, v[88:89]
	s_and_saveexec_b32 s3, s2
	s_xor_b32 s2, exec_lo, s3
	s_cbranch_execz .LBB63_11
; %bb.10:                               ;   in Loop: Header=BB63_9 Depth=1
	v_add_f32_e64 v74, |v36|, |v36|
	s_delay_alu instid0(VALU_DEP_1) | instskip(SKIP_1) | instid1(VALU_DEP_2)
	v_mul_f32_e32 v76, 0x3fb8aa3b, v74
	v_cmp_ngt_f32_e32 vcc_lo, 0xc2ce8ed0, v74
	v_rndne_f32_e32 v77, v76
	v_fma_f32 v78, 0x3fb8aa3b, v74, -v76
	s_delay_alu instid0(VALU_DEP_2) | instskip(NEXT) | instid1(VALU_DEP_2)
	v_sub_f32_e32 v76, v76, v77
	v_fmac_f32_e32 v78, 0x32a5705f, v74
	v_cvt_i32_f32_e32 v77, v77
	s_delay_alu instid0(VALU_DEP_2) | instskip(NEXT) | instid1(VALU_DEP_1)
	v_add_f32_e32 v76, v76, v78
	v_exp_f32_e32 v76, v76
	s_waitcnt_depctr 0xfff
	v_ldexp_f32 v76, v76, v77
	s_delay_alu instid0(VALU_DEP_1) | instskip(SKIP_1) | instid1(VALU_DEP_2)
	v_cndmask_b32_e32 v76, 0, v76, vcc_lo
	v_cmp_nlt_f32_e32 vcc_lo, 0x42b17218, v74
	v_cndmask_b32_e32 v74, 0x7f800000, v76, vcc_lo
	s_delay_alu instid0(VALU_DEP_1) | instskip(NEXT) | instid1(VALU_DEP_1)
	v_add_f32_e32 v74, 1.0, v74
	v_rcp_f32_e32 v74, v74
	s_waitcnt_depctr 0xfff
	v_fma_f32 v74, v74, -2.0, 1.0
.LBB63_11:                              ;   in Loop: Header=BB63_9 Depth=1
	s_and_not1_saveexec_b32 s2, s2
; %bb.12:                               ;   in Loop: Header=BB63_9 Depth=1
	v_mul_f32_e32 v74, v36, v36
	s_delay_alu instid0(VALU_DEP_1) | instskip(NEXT) | instid1(VALU_DEP_1)
	v_fmaak_f32 v76, s10, v74, 0x3ca908c9
	v_fmaak_f32 v76, v74, v76, 0xbd5c1c4e
	s_delay_alu instid0(VALU_DEP_1) | instskip(NEXT) | instid1(VALU_DEP_1)
	v_fmaak_f32 v76, v74, v76, 0x3e088382
	v_fmaak_f32 v76, v74, v76, 0xbeaaaa99
	s_delay_alu instid0(VALU_DEP_1) | instskip(NEXT) | instid1(VALU_DEP_1)
	v_mul_f32_e64 v76, |v36|, v76
	v_fma_f32 v74, v74, v76, |v36|
; %bb.13:                               ;   in Loop: Header=BB63_9 Depth=1
	s_or_b32 exec_lo, exec_lo, s2
	s_delay_alu instid0(VALU_DEP_1)
	v_bfi_b32 v36, 0x7fffffff, v74, v36
	v_xor_b32_e32 v79, 16, v39
	v_max_f32_e32 v76, v73, v73
	v_cmp_ngt_f32_e64 s2, 0x3f200000, |v35|
                                        ; implicit-def: $vgpr88
	s_waitcnt vmcnt(0) lgkmcnt(0)
	v_fma_mix_f32 v81, v36, s20, v80 op_sel_hi:[0,0,1]
	v_cmp_gt_i32_e32 vcc_lo, 32, v79
	s_delay_alu instid0(VALU_DEP_2) | instskip(SKIP_1) | instid1(VALU_DEP_2)
	v_add_f32_e32 v74, 0x40051340, v81
	v_cndmask_b32_e32 v36, v39, v79, vcc_lo
	v_max_f32_e32 v76, v76, v74
	s_delay_alu instid0(VALU_DEP_2)
	v_lshlrev_b32_e32 v36, 2, v36
	v_xor_b32_e32 v74, 8, v39
	ds_bpermute_b32 v77, v36, v76
	v_cmp_gt_i32_e32 vcc_lo, 32, v74
	v_cndmask_b32_e32 v78, v39, v74, vcc_lo
	s_waitcnt lgkmcnt(0)
	s_delay_alu instid0(VALU_DEP_1) | instskip(NEXT) | instid1(VALU_DEP_1)
	v_dual_max_f32 v77, v77, v77 :: v_dual_lshlrev_b32 v82, 2, v78
	v_max_f32_e32 v77, v76, v77
	v_xor_b32_e32 v76, 4, v39
	ds_bpermute_b32 v78, v82, v77
	v_cmp_gt_i32_e32 vcc_lo, 32, v76
	v_cndmask_b32_e32 v83, v39, v76, vcc_lo
	s_waitcnt lgkmcnt(0)
	s_delay_alu instid0(VALU_DEP_1) | instskip(NEXT) | instid1(VALU_DEP_1)
	v_dual_max_f32 v78, v78, v78 :: v_dual_lshlrev_b32 v83, 2, v83
	v_max_f32_e32 v78, v77, v78
	;; [unrolled: 8-line block ×4, first 2 shown]
	ds_bpermute_b32 v86, v87, v84
	s_and_saveexec_b32 s3, s2
	s_delay_alu instid0(SALU_CYCLE_1)
	s_xor_b32 s2, exec_lo, s3
	s_cbranch_execz .LBB63_15
; %bb.14:                               ;   in Loop: Header=BB63_9 Depth=1
	v_add_f32_e64 v88, |v35|, |v35|
	s_delay_alu instid0(VALU_DEP_1) | instskip(SKIP_1) | instid1(VALU_DEP_2)
	v_mul_f32_e32 v89, 0x3fb8aa3b, v88
	v_cmp_ngt_f32_e32 vcc_lo, 0xc2ce8ed0, v88
	v_rndne_f32_e32 v90, v89
	v_fma_f32 v91, 0x3fb8aa3b, v88, -v89
	s_delay_alu instid0(VALU_DEP_2) | instskip(NEXT) | instid1(VALU_DEP_2)
	v_sub_f32_e32 v89, v89, v90
	v_fmac_f32_e32 v91, 0x32a5705f, v88
	v_cvt_i32_f32_e32 v90, v90
	s_delay_alu instid0(VALU_DEP_2) | instskip(NEXT) | instid1(VALU_DEP_1)
	v_add_f32_e32 v89, v89, v91
	v_exp_f32_e32 v89, v89
	s_waitcnt_depctr 0xfff
	v_ldexp_f32 v89, v89, v90
	s_delay_alu instid0(VALU_DEP_1) | instskip(SKIP_1) | instid1(VALU_DEP_2)
	v_cndmask_b32_e32 v89, 0, v89, vcc_lo
	v_cmp_nlt_f32_e32 vcc_lo, 0x42b17218, v88
	v_cndmask_b32_e32 v88, 0x7f800000, v89, vcc_lo
	s_delay_alu instid0(VALU_DEP_1) | instskip(NEXT) | instid1(VALU_DEP_1)
	v_add_f32_e32 v88, 1.0, v88
	v_rcp_f32_e32 v88, v88
	s_waitcnt_depctr 0xfff
	v_fma_f32 v88, v88, -2.0, 1.0
.LBB63_15:                              ;   in Loop: Header=BB63_9 Depth=1
	s_and_not1_saveexec_b32 s2, s2
; %bb.16:                               ;   in Loop: Header=BB63_9 Depth=1
	v_mul_f32_e32 v88, v35, v35
	s_delay_alu instid0(VALU_DEP_1) | instskip(NEXT) | instid1(VALU_DEP_1)
	v_fmaak_f32 v89, s10, v88, 0x3ca908c9
	v_fmaak_f32 v89, v88, v89, 0xbd5c1c4e
	s_delay_alu instid0(VALU_DEP_1) | instskip(NEXT) | instid1(VALU_DEP_1)
	v_fmaak_f32 v89, v88, v89, 0x3e088382
	v_fmaak_f32 v89, v88, v89, 0xbeaaaa99
	s_delay_alu instid0(VALU_DEP_1) | instskip(NEXT) | instid1(VALU_DEP_1)
	v_mul_f32_e64 v89, |v35|, v89
	v_fma_f32 v88, v88, v89, |v35|
; %bb.17:                               ;   in Loop: Header=BB63_9 Depth=1
	s_or_b32 exec_lo, exec_lo, s2
	s_delay_alu instid0(VALU_DEP_1)
	v_bfi_b32 v35, 0x7fffffff, v88, v35
	v_cvt_f32_f16_e32 v80, v80
	s_waitcnt lgkmcnt(0)
	s_barrier
	buffer_gl0_inv
	v_fmac_f32_e32 v80, s20, v35
	s_delay_alu instid0(VALU_DEP_1) | instskip(NEXT) | instid1(VALU_DEP_1)
	v_dual_max_f32 v35, v75, v75 :: v_dual_add_f32 v88, 0x40051340, v80
	v_max_f32_e32 v35, v35, v88
	ds_bpermute_b32 v36, v36, v35
	s_waitcnt lgkmcnt(0)
	v_max_f32_e32 v36, v36, v36
	s_delay_alu instid0(VALU_DEP_1) | instskip(SKIP_4) | instid1(VALU_DEP_1)
	v_max_f32_e32 v35, v35, v36
	ds_bpermute_b32 v36, v82, v35
	v_max_f32_e32 v82, v86, v86
	s_waitcnt lgkmcnt(0)
	v_max_f32_e32 v36, v36, v36
	v_max_f32_e32 v35, v35, v36
	ds_bpermute_b32 v36, v83, v35
	s_waitcnt lgkmcnt(0)
	v_max_f32_e32 v36, v36, v36
	s_delay_alu instid0(VALU_DEP_1) | instskip(SKIP_3) | instid1(VALU_DEP_1)
	v_max_f32_e32 v35, v35, v36
	ds_bpermute_b32 v36, v85, v35
	s_waitcnt lgkmcnt(0)
	v_max_f32_e32 v36, v36, v36
	v_max_f32_e32 v36, v35, v36
	ds_bpermute_b32 v35, v87, v36
	s_waitcnt lgkmcnt(0)
	v_dual_max_f32 v83, v84, v84 :: v_dual_max_f32 v84, v35, v35
	s_delay_alu instid0(VALU_DEP_1) | instskip(NEXT) | instid1(VALU_DEP_1)
	v_max_f32_e32 v35, v83, v82
	v_sub_f32_e32 v81, v81, v35
	s_delay_alu instid0(VALU_DEP_3) | instskip(NEXT) | instid1(VALU_DEP_2)
	v_dual_sub_f32 v73, v73, v35 :: v_dual_max_f32 v36, v36, v84
	v_mul_f32_e32 v82, 0x3fb8aa3b, v81
	v_cmp_ngt_f32_e32 vcc_lo, 0xc2ce8ed0, v81
	v_cmp_nlt_f32_e64 s2, 0x42b17218, v81
	s_delay_alu instid0(VALU_DEP_4) | instskip(NEXT) | instid1(VALU_DEP_4)
	v_sub_f32_e32 v80, v80, v36
	v_fma_f32 v83, 0x3fb8aa3b, v81, -v82
	s_delay_alu instid0(VALU_DEP_2) | instskip(SKIP_1) | instid1(VALU_DEP_3)
	v_cmp_ngt_f32_e64 s3, 0xc2ce8ed0, v80
	v_cmp_nlt_f32_e64 s4, 0x42b17218, v80
	v_fmac_f32_e32 v83, 0x32a5705f, v81
	v_rndne_f32_e32 v81, v82
	s_delay_alu instid0(VALU_DEP_1) | instskip(SKIP_1) | instid1(VALU_DEP_2)
	v_sub_f32_e32 v82, v82, v81
	v_cvt_i32_f32_e32 v81, v81
	v_dual_add_f32 v82, v82, v83 :: v_dual_mul_f32 v83, 0x3fb8aa3b, v80
	s_delay_alu instid0(VALU_DEP_1) | instskip(NEXT) | instid1(VALU_DEP_1)
	v_exp_f32_e32 v82, v82
	v_fma_f32 v84, 0x3fb8aa3b, v80, -v83
	v_rndne_f32_e32 v85, v83
	s_delay_alu instid0(VALU_DEP_1) | instskip(SKIP_2) | instid1(VALU_DEP_1)
	v_dual_fmac_f32 v84, 0x32a5705f, v80 :: v_dual_sub_f32 v83, v83, v85
	s_waitcnt_depctr 0xfff
	v_ldexp_f32 v81, v82, v81
	v_dual_add_f32 v83, v83, v84 :: v_dual_cndmask_b32 v80, 0, v81
	s_delay_alu instid0(VALU_DEP_1) | instskip(SKIP_1) | instid1(VALU_DEP_2)
	v_exp_f32_e32 v82, v83
	v_cvt_i32_f32_e32 v83, v85
	v_cndmask_b32_e64 v81, 0x7f800000, v80, s2
	s_mul_i32 s2, s5, s13
	s_waitcnt_depctr 0xfff
	v_ldexp_f32 v82, v82, v83
	s_delay_alu instid0(VALU_DEP_1) | instskip(SKIP_1) | instid1(SALU_CYCLE_1)
	v_cndmask_b32_e64 v82, 0, v82, s3
	s_mul_hi_i32 s3, s5, s13
	s_lshl_b64 s[2:3], s[2:3], 2
	s_delay_alu instid0(VALU_DEP_1) | instskip(SKIP_3) | instid1(VALU_DEP_2)
	v_cndmask_b32_e64 v80, 0x7f800000, v82, s4
	v_cvt_f16_f32_e32 v82, v81
	s_add_u32 s2, s11, s2
	s_addc_u32 s3, s19, s3
	v_cvt_f16_f32_e32 v83, v80
	s_delay_alu instid0(VALU_DEP_1)
	v_pack_b32_f16 v84, v82, v83
	v_add_co_u32 v82, vcc_lo, s2, v19
	v_add_co_ci_u32_e32 v83, vcc_lo, s3, v20, vcc_lo
	ds_store_b32 v55, v84
	v_add_co_u32 v82, vcc_lo, v82, v41
	v_add_co_ci_u32_e32 v83, vcc_lo, 0, v83, vcc_lo
	global_load_b128 v[82:85], v[82:83], off
	s_waitcnt vmcnt(0)
	ds_store_b128 v47, v[82:85]
	v_add_co_u32 v82, vcc_lo, s2, v21
	v_add_co_ci_u32_e32 v83, vcc_lo, s3, v22, vcc_lo
	s_delay_alu instid0(VALU_DEP_2) | instskip(NEXT) | instid1(VALU_DEP_2)
	v_add_co_u32 v82, vcc_lo, v82, v41
	v_add_co_ci_u32_e32 v83, vcc_lo, 0, v83, vcc_lo
	global_load_b128 v[82:85], v[82:83], off
	s_waitcnt vmcnt(0)
	ds_store_b128 v56, v[82:85]
	v_add_co_u32 v82, vcc_lo, s2, v23
	v_add_co_ci_u32_e32 v83, vcc_lo, s3, v24, vcc_lo
	s_delay_alu instid0(VALU_DEP_2) | instskip(NEXT) | instid1(VALU_DEP_2)
	;; [unrolled: 8-line block ×6, first 2 shown]
	v_add_co_u32 v82, vcc_lo, v82, v41
	v_add_co_ci_u32_e32 v83, vcc_lo, 0, v83, vcc_lo
	global_load_b128 v[82:85], v[82:83], off
	s_waitcnt vmcnt(0)
	ds_store_b128 v61, v[82:85]
	v_add_co_u32 v82, vcc_lo, s2, v33
	v_add_co_ci_u32_e32 v83, vcc_lo, s3, v34, vcc_lo
	v_cmp_nlt_f32_e64 s2, 0x42b17218, v73
	s_delay_alu instid0(VALU_DEP_3) | instskip(NEXT) | instid1(VALU_DEP_3)
	v_add_co_u32 v82, vcc_lo, v82, v41
	v_add_co_ci_u32_e32 v83, vcc_lo, 0, v83, vcc_lo
	v_cmp_ngt_f32_e32 vcc_lo, 0xc2ce8ed0, v73
	global_load_b128 v[82:85], v[82:83], off
	s_waitcnt vmcnt(0)
	ds_store_b128 v62, v[82:85]
	v_mul_f32_e32 v82, 0x3fb8aa3b, v73
	s_waitcnt lgkmcnt(0)
	s_barrier
	buffer_gl0_inv
	v_fma_f32 v83, 0x3fb8aa3b, v73, -v82
	s_delay_alu instid0(VALU_DEP_1) | instskip(SKIP_2) | instid1(VALU_DEP_2)
	v_fmac_f32_e32 v83, 0x32a5705f, v73
	v_sub_f32_e32 v75, v75, v36
	v_rndne_f32_e32 v73, v82
	v_cmp_ngt_f32_e64 s3, 0xc2ce8ed0, v75
	s_delay_alu instid0(VALU_DEP_2) | instskip(SKIP_2) | instid1(VALU_DEP_3)
	v_sub_f32_e32 v82, v82, v73
	v_cvt_i32_f32_e32 v73, v73
	v_cmp_nlt_f32_e64 s4, 0x42b17218, v75
	v_add_f32_e32 v82, v82, v83
	v_mul_f32_e32 v83, 0x3fb8aa3b, v75
	s_delay_alu instid0(VALU_DEP_2) | instskip(NEXT) | instid1(VALU_DEP_1)
	v_exp_f32_e32 v82, v82
	v_fma_f32 v84, 0x3fb8aa3b, v75, -v83
	v_rndne_f32_e32 v85, v83
	s_delay_alu instid0(VALU_DEP_1) | instskip(SKIP_4) | instid1(VALU_DEP_3)
	v_dual_fmac_f32 v84, 0x32a5705f, v75 :: v_dual_sub_f32 v83, v83, v85
	s_waitcnt_depctr 0xfff
	v_ldexp_f32 v73, v82, v73
	v_cvt_i32_f32_e32 v82, v85
	v_add_f32_e32 v83, v83, v84
	v_cndmask_b32_e32 v73, 0, v73, vcc_lo
	s_delay_alu instid0(VALU_DEP_2) | instskip(NEXT) | instid1(VALU_DEP_1)
	v_exp_f32_e32 v75, v83
	v_cndmask_b32_e64 v73, 0x7f800000, v73, s2
	s_delay_alu instid0(VALU_DEP_1)
	v_cvt_f16_f32_e32 v90, v73
	v_fma_f32 v43, v43, v73, v81
	s_waitcnt_depctr 0xfff
	v_ldexp_f32 v75, v75, v82
	ds_load_2addr_b64 v[82:85], v63 offset1:32
	ds_load_b128 v[86:89], v46
	v_pk_mul_f16 v70, v90, v70 op_sel_hi:[0,1]
	v_pk_mul_f16 v72, v90, v72 op_sel_hi:[0,1]
	v_cndmask_b32_e64 v75, 0, v75, s3
	s_delay_alu instid0(VALU_DEP_1) | instskip(NEXT) | instid1(VALU_DEP_1)
	v_cndmask_b32_e64 v75, 0x7f800000, v75, s4
	v_cvt_f16_f32_e32 v91, v75
	v_fmac_f32_e32 v80, v64, v75
	s_delay_alu instid0(VALU_DEP_2)
	v_pk_mul_f16 v68, v91, v68 op_sel_hi:[0,1]
	v_pk_mul_f16 v66, v91, v66 op_sel_hi:[0,1]
	;; [unrolled: 1-line block ×3, first 2 shown]
	s_waitcnt lgkmcnt(0)
	v_pk_fma_f16 v70, v84, v86, v70 op_sel_hi:[1,0,1]
	v_pk_fma_f16 v72, v85, v86, v72 op_sel_hi:[1,0,1]
	v_pk_fma_f16 v92, v83, v86, v68 op_sel:[0,1,0]
	v_pk_fma_f16 v84, v84, v86, v66 op_sel:[0,1,0]
	;; [unrolled: 1-line block ×3, first 2 shown]
	v_pk_mul_f16 v65, v82, v86 op_sel:[0,1]
	v_pk_mul_f16 v66, v82, v86 op_sel_hi:[1,0]
	v_pk_mul_f16 v68, v83, v86 op_sel_hi:[1,0]
	s_delay_alu instid0(VALU_DEP_3) | instskip(NEXT) | instid1(VALU_DEP_3)
	v_pk_fma_f16 v82, v91, v67, v65 op_sel_hi:[0,1,1]
	v_pk_fma_f16 v69, v90, v69, v66 op_sel_hi:[0,1,1]
	s_delay_alu instid0(VALU_DEP_3)
	v_pk_fma_f16 v71, v90, v71, v68 op_sel_hi:[0,1,1]
	ds_load_2addr_b64 v[65:68], v63 offset0:64 offset1:96
	v_add_nc_u32_e32 v90, 0x800, v63
	s_waitcnt lgkmcnt(0)
	v_pk_fma_f16 v83, v66, v87, v92 op_sel:[0,1,0]
	v_pk_fma_f16 v70, v67, v87, v70 op_sel_hi:[1,0,1]
	v_pk_fma_f16 v84, v67, v87, v84 op_sel:[0,1,0]
	v_pk_fma_f16 v72, v68, v87, v72 op_sel_hi:[1,0,1]
	;; [unrolled: 2-line block ×4, first 2 shown]
	ds_load_2addr_b64 v[65:68], v63 offset0:128 offset1:160
	s_waitcnt lgkmcnt(0)
	v_pk_fma_f16 v83, v66, v88, v83 op_sel:[0,1,0]
	v_pk_fma_f16 v70, v67, v88, v70 op_sel_hi:[1,0,1]
	v_pk_fma_f16 v84, v67, v88, v84 op_sel:[0,1,0]
	v_pk_fma_f16 v72, v68, v88, v72 op_sel_hi:[1,0,1]
	;; [unrolled: 2-line block ×4, first 2 shown]
	ds_load_2addr_b64 v[65:68], v63 offset0:192 offset1:224
	s_waitcnt lgkmcnt(0)
	v_pk_fma_f16 v83, v66, v89, v83 op_sel:[0,1,0]
	v_pk_fma_f16 v86, v67, v89, v70 op_sel_hi:[1,0,1]
	v_pk_fma_f16 v84, v67, v89, v84 op_sel:[0,1,0]
	v_pk_fma_f16 v87, v68, v89, v72 op_sel_hi:[1,0,1]
	v_pk_fma_f16 v85, v68, v89, v85 op_sel:[0,1,0]
	v_pk_fma_f16 v88, v65, v89, v69 op_sel_hi:[1,0,1]
	v_pk_fma_f16 v82, v65, v89, v82 op_sel:[0,1,0]
	v_pk_fma_f16 v89, v66, v89, v71 op_sel_hi:[1,0,1]
	ds_load_b128 v[65:68], v46 offset:16
	ds_load_2addr_b64 v[69:72], v90 offset1:32
	s_waitcnt lgkmcnt(0)
	v_pk_fma_f16 v83, v70, v65, v83 op_sel:[0,1,0]
	v_pk_fma_f16 v86, v71, v65, v86 op_sel_hi:[1,0,1]
	v_pk_fma_f16 v84, v71, v65, v84 op_sel:[0,1,0]
	v_pk_fma_f16 v87, v72, v65, v87 op_sel_hi:[1,0,1]
	v_pk_fma_f16 v85, v72, v65, v85 op_sel:[0,1,0]
	v_pk_fma_f16 v88, v69, v65, v88 op_sel_hi:[1,0,1]
	v_pk_fma_f16 v82, v69, v65, v82 op_sel:[0,1,0]
	v_pk_fma_f16 v65, v70, v65, v89 op_sel_hi:[1,0,1]
	ds_load_2addr_b64 v[69:72], v90 offset0:64 offset1:96
	s_waitcnt lgkmcnt(0)
	v_pk_fma_f16 v83, v70, v66, v83 op_sel:[0,1,0]
	v_pk_fma_f16 v86, v71, v66, v86 op_sel_hi:[1,0,1]
	v_pk_fma_f16 v84, v71, v66, v84 op_sel:[0,1,0]
	v_pk_fma_f16 v87, v72, v66, v87 op_sel_hi:[1,0,1]
	v_pk_fma_f16 v85, v72, v66, v85 op_sel:[0,1,0]
	v_pk_fma_f16 v88, v69, v66, v88 op_sel_hi:[1,0,1]
	v_pk_fma_f16 v82, v69, v66, v82 op_sel:[0,1,0]
	v_pk_fma_f16 v65, v70, v66, v65 op_sel_hi:[1,0,1]
	ds_load_2addr_b64 v[69:72], v90 offset0:128 offset1:160
	s_waitcnt lgkmcnt(0)
	v_pk_fma_f16 v66, v70, v67, v83 op_sel:[0,1,0]
	v_pk_fma_f16 v83, v71, v67, v86 op_sel_hi:[1,0,1]
	v_pk_fma_f16 v84, v71, v67, v84 op_sel:[0,1,0]
	v_pk_fma_f16 v86, v72, v67, v87 op_sel_hi:[1,0,1]
	v_pk_fma_f16 v85, v72, v67, v85 op_sel:[0,1,0]
	v_pk_fma_f16 v87, v69, v67, v88 op_sel_hi:[1,0,1]
	v_pk_fma_f16 v82, v69, v67, v82 op_sel:[0,1,0]
	v_pk_fma_f16 v65, v70, v67, v65 op_sel_hi:[1,0,1]
	ds_load_2addr_b64 v[69:72], v90 offset0:192 offset1:224
	v_add_nc_u32_e32 v90, 0x1000, v63
	s_waitcnt lgkmcnt(0)
	v_pk_fma_f16 v88, v70, v68, v66 op_sel:[0,1,0]
	v_pk_fma_f16 v83, v71, v68, v83 op_sel_hi:[1,0,1]
	v_pk_fma_f16 v84, v71, v68, v84 op_sel:[0,1,0]
	v_pk_fma_f16 v86, v72, v68, v86 op_sel_hi:[1,0,1]
	v_pk_fma_f16 v85, v72, v68, v85 op_sel:[0,1,0]
	v_pk_fma_f16 v87, v69, v68, v87 op_sel_hi:[1,0,1]
	v_pk_fma_f16 v82, v69, v68, v82 op_sel:[0,1,0]
	v_pk_fma_f16 v89, v70, v68, v65 op_sel_hi:[1,0,1]
	ds_load_b128 v[65:68], v46 offset:32
	ds_load_2addr_b64 v[69:72], v90 offset1:32
	s_waitcnt lgkmcnt(0)
	v_pk_fma_f16 v88, v70, v65, v88 op_sel:[0,1,0]
	v_pk_fma_f16 v83, v71, v65, v83 op_sel_hi:[1,0,1]
	v_pk_fma_f16 v84, v71, v65, v84 op_sel:[0,1,0]
	v_pk_fma_f16 v86, v72, v65, v86 op_sel_hi:[1,0,1]
	v_pk_fma_f16 v85, v72, v65, v85 op_sel:[0,1,0]
	v_pk_fma_f16 v87, v69, v65, v87 op_sel_hi:[1,0,1]
	v_pk_fma_f16 v82, v69, v65, v82 op_sel:[0,1,0]
	v_pk_fma_f16 v65, v70, v65, v89 op_sel_hi:[1,0,1]
	ds_load_2addr_b64 v[69:72], v90 offset0:64 offset1:96
	s_waitcnt lgkmcnt(0)
	v_pk_fma_f16 v88, v70, v66, v88 op_sel:[0,1,0]
	v_pk_fma_f16 v83, v71, v66, v83 op_sel_hi:[1,0,1]
	v_pk_fma_f16 v84, v71, v66, v84 op_sel:[0,1,0]
	v_pk_fma_f16 v86, v72, v66, v86 op_sel_hi:[1,0,1]
	v_pk_fma_f16 v85, v72, v66, v85 op_sel:[0,1,0]
	v_pk_fma_f16 v87, v69, v66, v87 op_sel_hi:[1,0,1]
	v_pk_fma_f16 v82, v69, v66, v82 op_sel:[0,1,0]
	v_pk_fma_f16 v65, v70, v66, v65 op_sel_hi:[1,0,1]
	ds_load_2addr_b64 v[69:72], v90 offset0:128 offset1:160
	s_waitcnt lgkmcnt(0)
	v_pk_fma_f16 v66, v70, v67, v88 op_sel:[0,1,0]
	v_pk_fma_f16 v83, v71, v67, v83 op_sel_hi:[1,0,1]
	v_pk_fma_f16 v84, v71, v67, v84 op_sel:[0,1,0]
	v_pk_fma_f16 v86, v72, v67, v86 op_sel_hi:[1,0,1]
	v_pk_fma_f16 v85, v72, v67, v85 op_sel:[0,1,0]
	v_pk_fma_f16 v87, v69, v67, v87 op_sel_hi:[1,0,1]
	v_pk_fma_f16 v82, v69, v67, v82 op_sel:[0,1,0]
	v_pk_fma_f16 v65, v70, v67, v65 op_sel_hi:[1,0,1]
	ds_load_2addr_b64 v[69:72], v90 offset0:192 offset1:224
	v_add_nc_u32_e32 v90, 0x1800, v63
	;; [unrolled: 42-line block ×3, first 2 shown]
	s_waitcnt lgkmcnt(0)
	v_pk_fma_f16 v88, v70, v68, v66 op_sel:[0,1,0]
	v_pk_fma_f16 v83, v71, v68, v83 op_sel_hi:[1,0,1]
	v_pk_fma_f16 v84, v71, v68, v84 op_sel:[0,1,0]
	v_pk_fma_f16 v86, v72, v68, v86 op_sel_hi:[1,0,1]
	;; [unrolled: 2-line block ×4, first 2 shown]
	ds_load_2addr_b64 v[65:68], v90 offset1:32
	ds_load_b128 v[69:72], v46 offset:64
	s_waitcnt lgkmcnt(0)
	v_pk_fma_f16 v88, v66, v69, v88 op_sel:[0,1,0]
	v_pk_fma_f16 v83, v67, v69, v83 op_sel_hi:[1,0,1]
	v_pk_fma_f16 v84, v67, v69, v84 op_sel:[0,1,0]
	v_pk_fma_f16 v86, v68, v69, v86 op_sel_hi:[1,0,1]
	v_pk_fma_f16 v85, v68, v69, v85 op_sel:[0,1,0]
	v_pk_fma_f16 v87, v65, v69, v87 op_sel_hi:[1,0,1]
	v_pk_fma_f16 v82, v65, v69, v82 op_sel:[0,1,0]
	v_pk_fma_f16 v69, v66, v69, v89 op_sel_hi:[1,0,1]
	ds_load_2addr_b64 v[65:68], v90 offset0:64 offset1:96
	s_waitcnt lgkmcnt(0)
	v_pk_fma_f16 v88, v66, v70, v88 op_sel:[0,1,0]
	v_pk_fma_f16 v83, v67, v70, v83 op_sel_hi:[1,0,1]
	v_pk_fma_f16 v84, v67, v70, v84 op_sel:[0,1,0]
	v_pk_fma_f16 v86, v68, v70, v86 op_sel_hi:[1,0,1]
	v_pk_fma_f16 v85, v68, v70, v85 op_sel:[0,1,0]
	v_pk_fma_f16 v87, v65, v70, v87 op_sel_hi:[1,0,1]
	v_pk_fma_f16 v82, v65, v70, v82 op_sel:[0,1,0]
	v_pk_fma_f16 v69, v66, v70, v69 op_sel_hi:[1,0,1]
	ds_load_2addr_b64 v[65:68], v90 offset0:128 offset1:160
	;; [unrolled: 10-line block ×3, first 2 shown]
	v_add_nc_u32_e32 v90, 0x2800, v63
	s_waitcnt lgkmcnt(0)
	v_pk_fma_f16 v88, v66, v72, v70 op_sel:[0,1,0]
	v_pk_fma_f16 v83, v67, v72, v83 op_sel_hi:[1,0,1]
	v_pk_fma_f16 v84, v67, v72, v84 op_sel:[0,1,0]
	v_pk_fma_f16 v86, v68, v72, v86 op_sel_hi:[1,0,1]
	;; [unrolled: 2-line block ×4, first 2 shown]
	ds_load_2addr_b64 v[65:68], v90 offset1:32
	ds_load_b128 v[69:72], v46 offset:80
	s_waitcnt lgkmcnt(0)
	v_pk_fma_f16 v88, v66, v69, v88 op_sel:[0,1,0]
	v_pk_fma_f16 v83, v67, v69, v83 op_sel_hi:[1,0,1]
	v_pk_fma_f16 v84, v67, v69, v84 op_sel:[0,1,0]
	v_pk_fma_f16 v86, v68, v69, v86 op_sel_hi:[1,0,1]
	v_pk_fma_f16 v85, v68, v69, v85 op_sel:[0,1,0]
	v_pk_fma_f16 v87, v65, v69, v87 op_sel_hi:[1,0,1]
	v_pk_fma_f16 v82, v65, v69, v82 op_sel:[0,1,0]
	v_pk_fma_f16 v69, v66, v69, v89 op_sel_hi:[1,0,1]
	ds_load_2addr_b64 v[65:68], v90 offset0:64 offset1:96
	s_waitcnt lgkmcnt(0)
	v_pk_fma_f16 v88, v66, v70, v88 op_sel:[0,1,0]
	v_pk_fma_f16 v83, v67, v70, v83 op_sel_hi:[1,0,1]
	v_pk_fma_f16 v84, v67, v70, v84 op_sel:[0,1,0]
	v_pk_fma_f16 v86, v68, v70, v86 op_sel_hi:[1,0,1]
	v_pk_fma_f16 v85, v68, v70, v85 op_sel:[0,1,0]
	v_pk_fma_f16 v87, v65, v70, v87 op_sel_hi:[1,0,1]
	v_pk_fma_f16 v82, v65, v70, v82 op_sel:[0,1,0]
	v_pk_fma_f16 v69, v66, v70, v69 op_sel_hi:[1,0,1]
	ds_load_2addr_b64 v[65:68], v90 offset0:128 offset1:160
	s_waitcnt lgkmcnt(0)
	v_pk_fma_f16 v70, v66, v71, v88 op_sel:[0,1,0]
	v_pk_fma_f16 v83, v67, v71, v83 op_sel_hi:[1,0,1]
	v_pk_fma_f16 v84, v67, v71, v84 op_sel:[0,1,0]
	v_pk_fma_f16 v86, v68, v71, v86 op_sel_hi:[1,0,1]
	v_pk_fma_f16 v85, v68, v71, v85 op_sel:[0,1,0]
	v_pk_fma_f16 v87, v65, v71, v87 op_sel_hi:[1,0,1]
	v_pk_fma_f16 v82, v65, v71, v82 op_sel:[0,1,0]
	v_pk_fma_f16 v69, v66, v71, v69 op_sel_hi:[1,0,1]
	ds_load_2addr_b64 v[65:68], v90 offset0:192 offset1:224
	v_add_nc_u32_e32 v90, 0x3000, v63
	s_waitcnt lgkmcnt(0)
	v_pk_fma_f16 v88, v66, v72, v70 op_sel:[0,1,0]
	v_pk_fma_f16 v83, v67, v72, v83 op_sel_hi:[1,0,1]
	v_pk_fma_f16 v84, v67, v72, v84 op_sel:[0,1,0]
	v_pk_fma_f16 v86, v68, v72, v86 op_sel_hi:[1,0,1]
	;; [unrolled: 2-line block ×4, first 2 shown]
	ds_load_2addr_b64 v[65:68], v90 offset1:32
	ds_load_b128 v[69:72], v46 offset:96
	s_waitcnt lgkmcnt(0)
	v_pk_fma_f16 v88, v66, v69, v88 op_sel:[0,1,0]
	v_pk_fma_f16 v83, v67, v69, v83 op_sel_hi:[1,0,1]
	v_pk_fma_f16 v84, v67, v69, v84 op_sel:[0,1,0]
	v_pk_fma_f16 v86, v68, v69, v86 op_sel_hi:[1,0,1]
	v_pk_fma_f16 v85, v68, v69, v85 op_sel:[0,1,0]
	v_pk_fma_f16 v87, v65, v69, v87 op_sel_hi:[1,0,1]
	v_pk_fma_f16 v82, v65, v69, v82 op_sel:[0,1,0]
	v_pk_fma_f16 v69, v66, v69, v89 op_sel_hi:[1,0,1]
	ds_load_2addr_b64 v[65:68], v90 offset0:64 offset1:96
	s_waitcnt lgkmcnt(0)
	v_pk_fma_f16 v88, v66, v70, v88 op_sel:[0,1,0]
	v_pk_fma_f16 v83, v67, v70, v83 op_sel_hi:[1,0,1]
	v_pk_fma_f16 v84, v67, v70, v84 op_sel:[0,1,0]
	v_pk_fma_f16 v86, v68, v70, v86 op_sel_hi:[1,0,1]
	v_pk_fma_f16 v85, v68, v70, v85 op_sel:[0,1,0]
	v_pk_fma_f16 v87, v65, v70, v87 op_sel_hi:[1,0,1]
	v_pk_fma_f16 v82, v65, v70, v82 op_sel:[0,1,0]
	v_pk_fma_f16 v69, v66, v70, v69 op_sel_hi:[1,0,1]
	ds_load_2addr_b64 v[65:68], v90 offset0:128 offset1:160
	;; [unrolled: 10-line block ×3, first 2 shown]
	s_waitcnt lgkmcnt(0)
	v_pk_fma_f16 v70, v66, v72, v70 op_sel:[0,1,0]
	v_pk_fma_f16 v71, v67, v72, v83 op_sel_hi:[1,0,1]
	v_pk_fma_f16 v88, v67, v72, v84 op_sel:[0,1,0]
	v_pk_fma_f16 v86, v68, v72, v86 op_sel_hi:[1,0,1]
	;; [unrolled: 2-line block ×4, first 2 shown]
	v_add_nc_u32_e32 v72, 0x3800, v63
	ds_load_2addr_b64 v[65:68], v72 offset1:32
	ds_load_b128 v[82:85], v46 offset:112
	s_waitcnt lgkmcnt(0)
	v_pk_fma_f16 v70, v66, v82, v70 op_sel:[0,1,0]
	v_pk_fma_f16 v71, v67, v82, v71 op_sel_hi:[1,0,1]
	v_pk_fma_f16 v88, v67, v82, v88 op_sel:[0,1,0]
	v_pk_fma_f16 v86, v68, v82, v86 op_sel_hi:[1,0,1]
	;; [unrolled: 2-line block ×4, first 2 shown]
	ds_load_2addr_b64 v[65:68], v72 offset0:64 offset1:96
	s_waitcnt lgkmcnt(0)
	v_pk_fma_f16 v70, v66, v83, v70 op_sel:[0,1,0]
	v_pk_fma_f16 v71, v67, v83, v71 op_sel_hi:[1,0,1]
	v_pk_fma_f16 v82, v67, v83, v88 op_sel:[0,1,0]
	v_pk_fma_f16 v86, v68, v83, v86 op_sel_hi:[1,0,1]
	;; [unrolled: 2-line block ×4, first 2 shown]
	ds_load_2addr_b64 v[65:68], v72 offset0:128 offset1:160
	s_waitcnt lgkmcnt(0)
	v_pk_fma_f16 v71, v67, v84, v71 op_sel_hi:[1,0,1]
	v_pk_fma_f16 v67, v67, v84, v82 op_sel:[0,1,0]
	v_pk_fma_f16 v82, v68, v84, v86 op_sel_hi:[1,0,1]
	v_pk_fma_f16 v83, v68, v84, v88 op_sel:[0,1,0]
	;; [unrolled: 2-line block ×3, first 2 shown]
	ds_load_2addr_b64 v[86:89], v72 offset0:192 offset1:224
	s_waitcnt lgkmcnt(0)
	s_barrier
	buffer_gl0_inv
	s_load_b32 s2, s[8:9], 0x4
	v_pk_fma_f16 v70, v66, v84, v70 op_sel:[0,1,0]
	v_pk_fma_f16 v84, v66, v84, v69 op_sel_hi:[1,0,1]
	s_delay_alu instid0(VALU_DEP_2)
	v_pk_fma_f16 v68, v87, v85, v70 op_sel:[0,1,0]
	v_pk_fma_f16 v70, v88, v85, v71 op_sel_hi:[1,0,1]
	v_pk_fma_f16 v66, v88, v85, v67 op_sel:[0,1,0]
	v_pk_fma_f16 v72, v89, v85, v82 op_sel_hi:[1,0,1]
	s_waitcnt lgkmcnt(0)
	s_lshl_b32 s2, s2, 5
	v_pk_fma_f16 v65, v89, v85, v83 op_sel:[0,1,0]
	v_pk_fma_f16 v69, v86, v85, v90 op_sel_hi:[1,0,1]
	v_pk_fma_f16 v67, v86, v85, v91 op_sel:[0,1,0]
	v_pk_fma_f16 v71, v87, v85, v84 op_sel_hi:[1,0,1]
	s_add_i32 s5, s2, s5
	s_delay_alu instid0(SALU_CYCLE_1)
	s_cmp_ge_i32 s5, s34
	s_cbranch_scc1 .LBB63_19
; %bb.18:                               ;   in Loop: Header=BB63_9 Depth=1
	v_dual_mov_b32 v73, v35 :: v_dual_mov_b32 v64, v80
	v_mov_b32_e32 v75, v36
	s_branch .LBB63_9
.LBB63_19:
	v_mov_b32_e32 v3, v39
.LBB63_20:
	v_cmp_lt_i32_e32 vcc_lo, v79, v40
	s_cmp_lg_u64 s[24:25], 0
	s_cselect_b32 s2, -1, 0
	s_cmp_eq_u32 s14, 0
	v_cndmask_b32_e32 v2, v3, v79, vcc_lo
	v_cmp_lt_i32_e32 vcc_lo, v74, v40
	s_cselect_b32 s3, -1, 0
	s_delay_alu instid0(SALU_CYCLE_1) | instskip(SKIP_2) | instid1(VALU_DEP_2)
	s_and_b32 s2, s3, s2
	v_cndmask_b32_e32 v5, v3, v74, vcc_lo
	v_cmp_lt_i32_e32 vcc_lo, v76, v40
	v_lshlrev_b32_e32 v5, 2, v5
	v_dual_cndmask_b32 v7, v3, v76 :: v_dual_lshlrev_b32 v2, 2, v2
	v_cmp_lt_i32_e32 vcc_lo, v77, v40
	ds_bpermute_b32 v4, v2, v43
	ds_bpermute_b32 v2, v2, v80
	s_waitcnt lgkmcnt(1)
	v_dual_add_f32 v4, v43, v4 :: v_dual_lshlrev_b32 v7, 2, v7
	s_waitcnt lgkmcnt(0)
	v_add_f32_e32 v2, v80, v2
	ds_bpermute_b32 v6, v5, v4
	ds_bpermute_b32 v5, v5, v2
	s_waitcnt lgkmcnt(1)
	v_add_f32_e32 v4, v4, v6
	s_waitcnt lgkmcnt(0)
	v_add_f32_e32 v2, v2, v5
	ds_bpermute_b32 v5, v7, v4
	ds_bpermute_b32 v6, v7, v2
	v_cndmask_b32_e32 v7, v3, v77, vcc_lo
	v_cmp_lt_i32_e32 vcc_lo, v78, v40
	s_delay_alu instid0(VALU_DEP_2) | instskip(SKIP_3) | instid1(VALU_DEP_1)
	v_lshlrev_b32_e32 v7, 2, v7
	v_cndmask_b32_e32 v3, v3, v78, vcc_lo
	s_and_b32 vcc_lo, exec_lo, s2
	s_waitcnt lgkmcnt(1)
	v_dual_add_f32 v4, v4, v5 :: v_dual_lshlrev_b32 v3, 2, v3
	s_waitcnt lgkmcnt(0)
	v_add_f32_e32 v2, v2, v6
	ds_bpermute_b32 v5, v7, v4
	ds_bpermute_b32 v6, v7, v2
	s_waitcnt lgkmcnt(0)
	v_dual_add_f32 v4, v4, v5 :: v_dual_add_f32 v5, v2, v6
	ds_bpermute_b32 v2, v3, v4
	ds_bpermute_b32 v3, v3, v5
	s_waitcnt lgkmcnt(0)
	v_dual_add_f32 v2, v4, v2 :: v_dual_add_f32 v3, v5, v3
	s_cbranch_vccz .LBB63_23
; %bb.21:
	v_add_nc_u32_e32 v4, s15, v38
	s_delay_alu instid0(VALU_DEP_1) | instskip(NEXT) | instid1(VALU_DEP_1)
	v_ashrrev_i32_e32 v5, 31, v4
	v_lshlrev_b64 v[4:5], 2, v[4:5]
	s_delay_alu instid0(VALU_DEP_1) | instskip(NEXT) | instid1(VALU_DEP_2)
	v_add_co_u32 v4, vcc_lo, s24, v4
	v_add_co_ci_u32_e32 v5, vcc_lo, s25, v5, vcc_lo
	global_load_b64 v[4:5], v[4:5], off
	v_max_f32_e32 v6, v35, v35
	v_max_f32_e32 v8, v36, v36
	s_waitcnt vmcnt(0)
	v_max_f32_e32 v7, v4, v4
	s_delay_alu instid0(VALU_DEP_1) | instskip(NEXT) | instid1(VALU_DEP_1)
	v_dual_max_f32 v9, v5, v5 :: v_dual_max_f32 v6, v6, v7
	v_dual_max_f32 v7, v8, v9 :: v_dual_sub_f32 v8, v35, v6
	s_delay_alu instid0(VALU_DEP_1) | instskip(SKIP_2) | instid1(VALU_DEP_4)
	v_sub_f32_e32 v9, v36, v7
	v_dual_sub_f32 v5, v5, v7 :: v_dual_sub_f32 v4, v4, v6
	v_mov_b32_e32 v36, v7
	v_cmp_ngt_f32_e32 vcc_lo, 0xc2ce8ed0, v8
	s_delay_alu instid0(VALU_DEP_4) | instskip(NEXT) | instid1(VALU_DEP_4)
	v_mul_f32_e32 v12, 0x3fb8aa3b, v9
	v_mul_f32_e32 v13, 0x3fb8aa3b, v5
	;; [unrolled: 1-line block ×3, first 2 shown]
	v_mov_b32_e32 v35, v6
	s_delay_alu instid0(VALU_DEP_4) | instskip(NEXT) | instid1(VALU_DEP_4)
	v_fma_f32 v18, 0x3fb8aa3b, v9, -v12
	v_fma_f32 v20, 0x3fb8aa3b, v5, -v13
	s_delay_alu instid0(VALU_DEP_4)
	v_rndne_f32_e32 v17, v11
	v_mul_f32_e32 v10, 0x3fb8aa3b, v8
	v_fma_f32 v16, 0x3fb8aa3b, v4, -v11
	v_rndne_f32_e32 v21, v13
	v_fmac_f32_e32 v20, 0x32a5705f, v5
	v_sub_f32_e32 v11, v11, v17
	v_fma_f32 v14, 0x3fb8aa3b, v8, -v10
	v_rndne_f32_e32 v15, v10
	v_sub_f32_e32 v13, v13, v21
	v_fmac_f32_e32 v18, 0x32a5705f, v9
	v_fmac_f32_e32 v16, 0x32a5705f, v4
	;; [unrolled: 1-line block ×3, first 2 shown]
	s_delay_alu instid0(VALU_DEP_4) | instskip(SKIP_1) | instid1(VALU_DEP_2)
	v_dual_sub_f32 v10, v10, v15 :: v_dual_add_f32 v13, v13, v20
	v_rndne_f32_e32 v19, v12
	v_dual_add_f32 v11, v11, v16 :: v_dual_add_f32 v10, v10, v14
	s_delay_alu instid0(VALU_DEP_3)
	v_exp_f32_e32 v13, v13
	v_cvt_i32_f32_e32 v14, v15
	v_cvt_i32_f32_e32 v15, v17
	;; [unrolled: 1-line block ×3, first 2 shown]
	v_exp_f32_e32 v10, v10
	v_exp_f32_e32 v11, v11
	v_cvt_i32_f32_e32 v16, v19
	s_delay_alu instid0(TRANS32_DEP_3) | instid1(VALU_DEP_2)
	v_ldexp_f32 v13, v13, v17
	v_sub_f32_e32 v12, v12, v19
	s_waitcnt_depctr 0xfff
	v_ldexp_f32 v10, v10, v14
	v_ldexp_f32 v11, v11, v15
	v_add_f32_e32 v12, v12, v18
	s_delay_alu instid0(VALU_DEP_3) | instskip(SKIP_1) | instid1(VALU_DEP_3)
	v_cndmask_b32_e32 v10, 0, v10, vcc_lo
	v_cmp_ngt_f32_e32 vcc_lo, 0xc2ce8ed0, v4
	v_exp_f32_e32 v12, v12
	v_cndmask_b32_e32 v11, 0, v11, vcc_lo
	v_cmp_ngt_f32_e32 vcc_lo, 0xc2ce8ed0, v9
	s_waitcnt_depctr 0xfff
	v_ldexp_f32 v12, v12, v16
	s_delay_alu instid0(VALU_DEP_1)
	v_cndmask_b32_e32 v12, 0, v12, vcc_lo
	v_cmp_ngt_f32_e32 vcc_lo, 0xc2ce8ed0, v5
	v_cndmask_b32_e32 v13, 0, v13, vcc_lo
	v_cmp_nlt_f32_e32 vcc_lo, 0x42b17218, v8
	v_cndmask_b32_e32 v8, 0x7f800000, v10, vcc_lo
	v_cmp_nlt_f32_e32 vcc_lo, 0x42b17218, v4
	s_delay_alu instid0(VALU_DEP_2) | instskip(SKIP_2) | instid1(VALU_DEP_3)
	v_cvt_f16_f32_e32 v10, v8
	v_cndmask_b32_e32 v4, 0x7f800000, v11, vcc_lo
	v_cmp_nlt_f32_e32 vcc_lo, 0x42b17218, v9
	v_pk_mul_f16 v69, v10, v69 op_sel_hi:[0,1]
	s_delay_alu instid0(VALU_DEP_3)
	v_fmac_f32_e32 v4, v2, v8
	v_cndmask_b32_e32 v9, 0x7f800000, v12, vcc_lo
	v_cmp_nlt_f32_e32 vcc_lo, 0x42b17218, v5
	v_pk_mul_f16 v71, v10, v71 op_sel_hi:[0,1]
	v_pk_mul_f16 v70, v10, v70 op_sel_hi:[0,1]
	;; [unrolled: 1-line block ×3, first 2 shown]
	v_cvt_f16_f32_e32 v2, v9
	v_cndmask_b32_e32 v5, 0x7f800000, v13, vcc_lo
	s_delay_alu instid0(VALU_DEP_2) | instskip(NEXT) | instid1(VALU_DEP_2)
	v_pk_mul_f16 v67, v2, v67 op_sel_hi:[0,1]
	v_fmac_f32_e32 v5, v3, v9
	v_pk_mul_f16 v68, v2, v68 op_sel_hi:[0,1]
	v_pk_mul_f16 v66, v2, v66 op_sel_hi:[0,1]
	v_pk_mul_f16 v65, v2, v65 op_sel_hi:[0,1]
	s_delay_alu instid0(VALU_DEP_4)
	v_dual_mov_b32 v2, v4 :: v_dual_mov_b32 v3, v5
	s_mov_b32 s2, exec_lo
	v_cmpx_gt_i32_e64 s6, v1
	s_cbranch_execnz .LBB63_24
.LBB63_22:
	s_nop 0
	s_sendmsg sendmsg(MSG_DEALLOC_VGPRS)
	s_endpgm
.LBB63_23:
	s_delay_alu instid0(VALU_DEP_1)
	v_dual_mov_b32 v5, v3 :: v_dual_mov_b32 v4, v2
	s_mov_b32 s2, exec_lo
	v_cmpx_gt_i32_e64 s6, v1
	s_cbranch_execz .LBB63_22
.LBB63_24:
	s_load_b32 s1, s[0:1], 0xd4
	v_mov_b32_e32 v6, 1.0
	s_waitcnt lgkmcnt(0)
	s_cmp_lg_u32 s1, 1
	s_cselect_b32 s3, -1, 0
	s_cmp_eq_u32 s1, 1
	s_cselect_b32 s2, -1, 0
	s_and_b32 vcc_lo, exec_lo, s3
	s_cbranch_vccnz .LBB63_26
; %bb.25:
	v_div_scale_f32 v6, null, v2, v2, 1.0
	s_delay_alu instid0(VALU_DEP_1) | instskip(SKIP_2) | instid1(VALU_DEP_1)
	v_rcp_f32_e32 v7, v6
	s_waitcnt_depctr 0xfff
	v_fma_f32 v8, -v6, v7, 1.0
	v_fmac_f32_e32 v7, v8, v7
	v_div_scale_f32 v8, vcc_lo, 1.0, v2, 1.0
	s_delay_alu instid0(VALU_DEP_1) | instskip(NEXT) | instid1(VALU_DEP_1)
	v_mul_f32_e32 v9, v8, v7
	v_fma_f32 v10, -v6, v9, v8
	s_delay_alu instid0(VALU_DEP_1) | instskip(NEXT) | instid1(VALU_DEP_1)
	v_fmac_f32_e32 v9, v10, v7
	v_fma_f32 v6, -v6, v9, v8
	s_delay_alu instid0(VALU_DEP_1) | instskip(NEXT) | instid1(VALU_DEP_1)
	v_div_fmas_f32 v6, v6, v7, v9
	v_div_fixup_f32 v6, v6, v2, 1.0
.LBB63_26:
	v_mad_u64_u32 v[7:8], null, s12, s6, v[1:2]
	v_cmp_eq_u32_e32 vcc_lo, 0, v0
	v_cvt_f32_f16_e32 v8, v71
	v_lshrrev_b32_e32 v10, 16, v69
	v_cvt_f32_f16_e32 v11, v69
	v_mov_b32_e32 v2, 0
	v_cvt_f32_f16_e32 v15, v70
	v_mul_lo_u32 v1, v7, s7
	v_lshrrev_b32_e32 v7, 16, v71
	v_lshrrev_b32_e32 v12, 16, v72
	;; [unrolled: 1-line block ×3, first 2 shown]
	v_cvt_f32_f16_e32 v13, v72
	s_delay_alu instid0(VALU_DEP_4)
	v_cvt_f32_f16_e32 v17, v7
	v_mul_f32_e32 v7, v6, v11
	v_add3_u32 v9, s15, v38, v1
	v_mul_f32_e32 v11, v6, v15
	v_cvt_f32_f16_e32 v12, v12
	v_cvt_f32_f16_e32 v18, v14
	v_mul_f32_e32 v13, v6, v13
	v_mad_u64_u32 v[0:1], null, s1, v9, s[14:15]
	v_mul_f32_e32 v9, v6, v8
	v_cvt_f32_f16_e32 v8, v10
	v_mul_f32_e32 v10, v6, v17
	v_mul_f32_e32 v14, v6, v12
	;; [unrolled: 1-line block ×3, first 2 shown]
	v_lshl_add_u32 v1, v0, 8, v37
	v_mul_f32_e32 v8, v6, v8
	s_delay_alu instid0(VALU_DEP_2) | instskip(SKIP_1) | instid1(VALU_DEP_1)
	v_lshlrev_b64 v[15:16], 2, v[1:2]
	v_add_nc_u32_e32 v1, 0x80, v1
	v_lshlrev_b64 v[1:2], 2, v[1:2]
	s_delay_alu instid0(VALU_DEP_3) | instskip(NEXT) | instid1(VALU_DEP_1)
	v_add_co_u32 v15, s0, s28, v15
	v_add_co_ci_u32_e64 v16, s0, s29, v16, s0
	s_delay_alu instid0(VALU_DEP_3) | instskip(NEXT) | instid1(VALU_DEP_1)
	v_add_co_u32 v1, s0, s28, v1
	v_add_co_ci_u32_e64 v2, s0, s29, v2, s0
	s_and_b32 s0, vcc_lo, s3
	s_clause 0x1
	global_store_b128 v[15:16], v[7:10], off
	global_store_b128 v[1:2], v[11:14], off
	s_and_saveexec_b32 s3, s0
	s_cbranch_execz .LBB63_28
; %bb.27:
	v_ashrrev_i32_e32 v1, 31, v0
	v_dual_mov_b32 v6, v35 :: v_dual_mov_b32 v7, v4
	s_delay_alu instid0(VALU_DEP_2) | instskip(NEXT) | instid1(VALU_DEP_1)
	v_lshlrev_b64 v[1:2], 3, v[0:1]
	v_add_co_u32 v1, vcc_lo, s30, v1
	s_delay_alu instid0(VALU_DEP_2)
	v_add_co_ci_u32_e32 v2, vcc_lo, s31, v2, vcc_lo
	global_store_b64 v[1:2], v[6:7], off
.LBB63_28:
	s_or_b32 exec_lo, exec_lo, s3
	v_mov_b32_e32 v1, 1.0
	s_and_not1_b32 vcc_lo, exec_lo, s2
	s_cbranch_vccnz .LBB63_30
; %bb.29:
	v_div_scale_f32 v1, null, v3, v3, 1.0
	s_delay_alu instid0(VALU_DEP_1) | instskip(SKIP_2) | instid1(VALU_DEP_1)
	v_rcp_f32_e32 v2, v1
	s_waitcnt_depctr 0xfff
	v_fma_f32 v4, -v1, v2, 1.0
	v_fmac_f32_e32 v2, v4, v2
	v_div_scale_f32 v4, vcc_lo, 1.0, v3, 1.0
	s_delay_alu instid0(VALU_DEP_1) | instskip(NEXT) | instid1(VALU_DEP_1)
	v_mul_f32_e32 v6, v4, v2
	v_fma_f32 v7, -v1, v6, v4
	s_delay_alu instid0(VALU_DEP_1) | instskip(NEXT) | instid1(VALU_DEP_1)
	v_fmac_f32_e32 v6, v7, v2
	v_fma_f32 v1, -v1, v6, v4
	s_delay_alu instid0(VALU_DEP_1) | instskip(NEXT) | instid1(VALU_DEP_1)
	v_div_fmas_f32 v1, v1, v2, v6
	v_div_fixup_f32 v1, v1, v3, 1.0
.LBB63_30:
	v_lshrrev_b32_e32 v2, 16, v68
	v_dual_mov_b32 v3, 0 :: v_dual_add_nc_u32 v0, s1, v0
	v_lshrrev_b32_e32 v4, 16, v67
	v_cvt_f32_f16_e32 v6, v68
	s_delay_alu instid0(VALU_DEP_4) | instskip(NEXT) | instid1(VALU_DEP_4)
	v_cvt_f32_f16_e32 v7, v2
	v_lshl_add_u32 v2, v0, 8, v37
	v_cvt_f32_f16_e32 v12, v67
	v_cvt_f32_f16_e32 v4, v4
	v_mul_f32_e32 v8, v1, v6
	v_mul_f32_e32 v9, v1, v7
	v_lshlrev_b64 v[10:11], 2, v[2:3]
	v_add_nc_u32_e32 v2, 0x80, v2
	v_mul_f32_e32 v6, v1, v12
	v_lshrrev_b32_e32 v12, 16, v66
	v_mul_f32_e32 v7, v1, v4
	v_lshrrev_b32_e32 v4, 16, v65
	v_add_co_u32 v10, vcc_lo, s28, v10
	s_delay_alu instid0(VALU_DEP_4) | instskip(SKIP_1) | instid1(VALU_DEP_4)
	v_cvt_f32_f16_e32 v15, v12
	v_lshlrev_b64 v[12:13], 2, v[2:3]
	v_cvt_f32_f16_e32 v4, v4
	v_cvt_f32_f16_e32 v14, v65
	;; [unrolled: 1-line block ×3, first 2 shown]
	v_add_co_ci_u32_e32 v11, vcc_lo, s29, v11, vcc_lo
	v_add_co_u32 v12, vcc_lo, s28, v12
	v_mul_f32_e32 v4, v1, v4
	v_mul_f32_e32 v3, v1, v14
	;; [unrolled: 1-line block ×4, first 2 shown]
	v_add_co_ci_u32_e32 v13, vcc_lo, s29, v13, vcc_lo
	s_clause 0x1
	global_store_b128 v[10:11], v[6:9], off
	global_store_b128 v[12:13], v[1:4], off
	s_and_b32 exec_lo, exec_lo, s0
	s_cbranch_execz .LBB63_22
; %bb.31:
	v_ashrrev_i32_e32 v1, 31, v0
	v_mov_b32_e32 v4, v36
	s_delay_alu instid0(VALU_DEP_2) | instskip(NEXT) | instid1(VALU_DEP_1)
	v_lshlrev_b64 v[0:1], 3, v[0:1]
	v_add_co_u32 v0, vcc_lo, s30, v0
	s_delay_alu instid0(VALU_DEP_2)
	v_add_co_ci_u32_e32 v1, vcc_lo, s31, v1, vcc_lo
	global_store_b64 v[0:1], v[4:5], off
	s_nop 0
	s_sendmsg sendmsg(MSG_DEALLOC_VGPRS)
	s_endpgm
	.section	.rodata,"a",@progbits
	.p2align	6, 0x0
	.amdhsa_kernel _ZL15flash_attn_tileILi256ELi256ELi2ELi4ELb1EEvPKcS1_S1_S1_S1_PKiPfP15HIP_vector_typeIfLj2EEffffjfiS5_IjLj3EEiiiiiiiiiiiliiliiiiil
		.amdhsa_group_segment_fixed_size 21504
		.amdhsa_private_segment_fixed_size 0
		.amdhsa_kernarg_size 464
		.amdhsa_user_sgpr_count 13
		.amdhsa_user_sgpr_dispatch_ptr 0
		.amdhsa_user_sgpr_queue_ptr 0
		.amdhsa_user_sgpr_kernarg_segment_ptr 1
		.amdhsa_user_sgpr_dispatch_id 0
		.amdhsa_user_sgpr_private_segment_size 0
		.amdhsa_wavefront_size32 1
		.amdhsa_uses_dynamic_stack 0
		.amdhsa_enable_private_segment 0
		.amdhsa_system_sgpr_workgroup_id_x 1
		.amdhsa_system_sgpr_workgroup_id_y 1
		.amdhsa_system_sgpr_workgroup_id_z 1
		.amdhsa_system_sgpr_workgroup_info 0
		.amdhsa_system_vgpr_workitem_id 1
		.amdhsa_next_free_vgpr 108
		.amdhsa_next_free_sgpr 42
		.amdhsa_reserve_vcc 1
		.amdhsa_float_round_mode_32 0
		.amdhsa_float_round_mode_16_64 0
		.amdhsa_float_denorm_mode_32 3
		.amdhsa_float_denorm_mode_16_64 3
		.amdhsa_dx10_clamp 1
		.amdhsa_ieee_mode 1
		.amdhsa_fp16_overflow 0
		.amdhsa_workgroup_processor_mode 1
		.amdhsa_memory_ordered 1
		.amdhsa_forward_progress 0
		.amdhsa_shared_vgpr_count 0
		.amdhsa_exception_fp_ieee_invalid_op 0
		.amdhsa_exception_fp_denorm_src 0
		.amdhsa_exception_fp_ieee_div_zero 0
		.amdhsa_exception_fp_ieee_overflow 0
		.amdhsa_exception_fp_ieee_underflow 0
		.amdhsa_exception_fp_ieee_inexact 0
		.amdhsa_exception_int_div_zero 0
	.end_amdhsa_kernel
	.section	.text._ZL15flash_attn_tileILi256ELi256ELi2ELi4ELb1EEvPKcS1_S1_S1_S1_PKiPfP15HIP_vector_typeIfLj2EEffffjfiS5_IjLj3EEiiiiiiiiiiiliiliiiiil,"axG",@progbits,_ZL15flash_attn_tileILi256ELi256ELi2ELi4ELb1EEvPKcS1_S1_S1_S1_PKiPfP15HIP_vector_typeIfLj2EEffffjfiS5_IjLj3EEiiiiiiiiiiiliiliiiiil,comdat
.Lfunc_end63:
	.size	_ZL15flash_attn_tileILi256ELi256ELi2ELi4ELb1EEvPKcS1_S1_S1_S1_PKiPfP15HIP_vector_typeIfLj2EEffffjfiS5_IjLj3EEiiiiiiiiiiiliiliiiiil, .Lfunc_end63-_ZL15flash_attn_tileILi256ELi256ELi2ELi4ELb1EEvPKcS1_S1_S1_S1_PKiPfP15HIP_vector_typeIfLj2EEffffjfiS5_IjLj3EEiiiiiiiiiiiliiliiiiil
                                        ; -- End function
	.section	.AMDGPU.csdata,"",@progbits
; Kernel info:
; codeLenInByte = 14960
; NumSgprs: 44
; NumVgprs: 108
; ScratchSize: 0
; MemoryBound: 0
; FloatMode: 240
; IeeeMode: 1
; LDSByteSize: 21504 bytes/workgroup (compile time only)
; SGPRBlocks: 5
; VGPRBlocks: 13
; NumSGPRsForWavesPerEU: 44
; NumVGPRsForWavesPerEU: 108
; Occupancy: 6
; WaveLimiterHint : 1
; COMPUTE_PGM_RSRC2:SCRATCH_EN: 0
; COMPUTE_PGM_RSRC2:USER_SGPR: 13
; COMPUTE_PGM_RSRC2:TRAP_HANDLER: 0
; COMPUTE_PGM_RSRC2:TGID_X_EN: 1
; COMPUTE_PGM_RSRC2:TGID_Y_EN: 1
; COMPUTE_PGM_RSRC2:TGID_Z_EN: 1
; COMPUTE_PGM_RSRC2:TIDIG_COMP_CNT: 1
	.section	.text._ZL15flash_attn_tileILi256ELi256ELi1ELi4ELb1EEvPKcS1_S1_S1_S1_PKiPfP15HIP_vector_typeIfLj2EEffffjfiS5_IjLj3EEiiiiiiiiiiiliiliiiiil,"axG",@progbits,_ZL15flash_attn_tileILi256ELi256ELi1ELi4ELb1EEvPKcS1_S1_S1_S1_PKiPfP15HIP_vector_typeIfLj2EEffffjfiS5_IjLj3EEiiiiiiiiiiiliiliiiiil,comdat
	.globl	_ZL15flash_attn_tileILi256ELi256ELi1ELi4ELb1EEvPKcS1_S1_S1_S1_PKiPfP15HIP_vector_typeIfLj2EEffffjfiS5_IjLj3EEiiiiiiiiiiiliiliiiiil ; -- Begin function _ZL15flash_attn_tileILi256ELi256ELi1ELi4ELb1EEvPKcS1_S1_S1_S1_PKiPfP15HIP_vector_typeIfLj2EEffffjfiS5_IjLj3EEiiiiiiiiiiiliiliiiiil
	.p2align	8
	.type	_ZL15flash_attn_tileILi256ELi256ELi1ELi4ELb1EEvPKcS1_S1_S1_S1_PKiPfP15HIP_vector_typeIfLj2EEffffjfiS5_IjLj3EEiiiiiiiiiiiliiliiiiil,@function
_ZL15flash_attn_tileILi256ELi256ELi1ELi4ELb1EEvPKcS1_S1_S1_S1_PKiPfP15HIP_vector_typeIfLj2EEffffjfiS5_IjLj3EEiiiiiiiiiiiliiliiiiil: ; @_ZL15flash_attn_tileILi256ELi256ELi1ELi4ELb1EEvPKcS1_S1_S1_S1_PKiPfP15HIP_vector_typeIfLj2EEffffjfiS5_IjLj3EEiiiiiiiiiiiliiliiiiil
; %bb.0:
	s_clause 0x1
	s_load_b128 s[4:7], s[0:1], 0x5c
	s_load_b64 s[2:3], s[0:1], 0x80
	s_mov_b64 s[34:35], 0
	s_waitcnt lgkmcnt(0)
	s_ashr_i32 s8, s7, 31
	s_delay_alu instid0(SALU_CYCLE_1) | instskip(NEXT) | instid1(SALU_CYCLE_1)
	s_lshr_b32 s8, s8, 30
	s_add_i32 s8, s7, s8
	s_delay_alu instid0(SALU_CYCLE_1) | instskip(NEXT) | instid1(SALU_CYCLE_1)
	s_ashr_i32 s8, s8, 2
	v_cvt_f32_u32_e32 v1, s8
	s_sub_i32 s10, 0, s8
	s_delay_alu instid0(VALU_DEP_1) | instskip(SKIP_2) | instid1(VALU_DEP_1)
	v_rcp_iflag_f32_e32 v1, v1
	s_waitcnt_depctr 0xfff
	v_mul_f32_e32 v1, 0x4f7ffffe, v1
	v_cvt_u32_f32_e32 v1, v1
	s_delay_alu instid0(VALU_DEP_1) | instskip(NEXT) | instid1(VALU_DEP_1)
	v_readfirstlane_b32 s9, v1
	s_mul_i32 s10, s10, s9
	s_delay_alu instid0(SALU_CYCLE_1) | instskip(NEXT) | instid1(SALU_CYCLE_1)
	s_mul_hi_u32 s10, s9, s10
	s_add_i32 s9, s9, s10
	s_delay_alu instid0(SALU_CYCLE_1) | instskip(NEXT) | instid1(SALU_CYCLE_1)
	s_mul_hi_u32 s9, s15, s9
	s_mul_i32 s10, s9, s8
	s_add_i32 s11, s9, 1
	s_sub_i32 s10, s15, s10
	s_delay_alu instid0(SALU_CYCLE_1)
	s_sub_i32 s12, s10, s8
	s_cmp_ge_u32 s10, s8
	s_cselect_b32 s9, s11, s9
	s_cselect_b32 s10, s12, s10
	s_add_i32 s11, s9, 1
	s_cmp_ge_u32 s10, s8
	s_cselect_b32 s12, s11, s9
	s_abs_i32 s8, s3
	s_abs_i32 s16, s7
	v_cvt_f32_u32_e32 v1, s8
	s_sub_i32 s10, 0, s8
	s_lshl_b32 s11, s15, 2
	s_mul_i32 s15, s12, s7
	s_xor_b32 s3, s7, s3
	v_rcp_iflag_f32_e32 v1, v1
	s_sub_i32 s15, s11, s15
	s_ashr_i32 s3, s3, 31
	s_waitcnt_depctr 0xfff
	v_mul_f32_e32 v1, 0x4f7ffffe, v1
	s_delay_alu instid0(VALU_DEP_1) | instskip(NEXT) | instid1(VALU_DEP_1)
	v_cvt_u32_f32_e32 v1, v1
	v_readfirstlane_b32 s9, v1
	s_delay_alu instid0(VALU_DEP_1) | instskip(NEXT) | instid1(SALU_CYCLE_1)
	s_mul_i32 s10, s10, s9
	s_mul_hi_u32 s10, s9, s10
	s_delay_alu instid0(SALU_CYCLE_1) | instskip(NEXT) | instid1(SALU_CYCLE_1)
	s_add_i32 s9, s9, s10
	s_mul_hi_u32 s9, s16, s9
	s_delay_alu instid0(SALU_CYCLE_1) | instskip(SKIP_2) | instid1(SALU_CYCLE_1)
	s_mul_i32 s10, s9, s8
	s_add_i32 s11, s9, 1
	s_sub_i32 s10, s16, s10
	s_sub_i32 s16, s10, s8
	s_cmp_ge_u32 s10, s8
	s_cselect_b32 s9, s11, s9
	s_cselect_b32 s10, s16, s10
	s_add_i32 s11, s9, 1
	s_cmp_ge_u32 s10, s8
	s_clause 0x1
	s_load_b512 s[16:31], s[0:1], 0x0
	s_load_b64 s[36:37], s[0:1], 0xb8
	s_cselect_b32 s8, s11, s9
	s_delay_alu instid0(SALU_CYCLE_1) | instskip(NEXT) | instid1(SALU_CYCLE_1)
	s_xor_b32 s8, s8, s3
	s_sub_i32 s38, s8, s3
	s_delay_alu instid0(SALU_CYCLE_1) | instskip(NEXT) | instid1(SALU_CYCLE_1)
	s_abs_i32 s33, s38
	v_cvt_f32_u32_e32 v1, s33
	s_delay_alu instid0(VALU_DEP_1) | instskip(SKIP_4) | instid1(VALU_DEP_1)
	v_rcp_iflag_f32_e32 v1, v1
	s_waitcnt lgkmcnt(0)
	s_cmp_eq_u64 s[22:23], 0
	s_waitcnt_depctr 0xfff
	v_mul_f32_e32 v1, 0x4f7ffffe, v1
	v_cvt_u32_f32_e32 v1, v1
	s_delay_alu instid0(VALU_DEP_1)
	v_readfirstlane_b32 s39, v1
	s_cbranch_scc1 .LBB64_2
; %bb.1:
	s_abs_i32 s3, s36
	s_abs_i32 s10, s12
	v_cvt_f32_u32_e32 v1, s3
	s_sub_i32 s9, 0, s3
	s_delay_alu instid0(VALU_DEP_1) | instskip(SKIP_2) | instid1(VALU_DEP_1)
	v_rcp_iflag_f32_e32 v1, v1
	s_waitcnt_depctr 0xfff
	v_mul_f32_e32 v1, 0x4f7ffffe, v1
	v_cvt_u32_f32_e32 v1, v1
	s_delay_alu instid0(VALU_DEP_1) | instskip(NEXT) | instid1(VALU_DEP_1)
	v_readfirstlane_b32 s8, v1
	s_mul_i32 s9, s9, s8
	s_delay_alu instid0(SALU_CYCLE_1) | instskip(NEXT) | instid1(SALU_CYCLE_1)
	s_mul_hi_u32 s9, s8, s9
	s_add_i32 s11, s8, s9
	s_load_b64 s[8:9], s[0:1], 0xc8
	s_mul_hi_u32 s11, s10, s11
	s_delay_alu instid0(SALU_CYCLE_1) | instskip(NEXT) | instid1(SALU_CYCLE_1)
	s_mul_i32 s11, s11, s3
	s_sub_i32 s10, s10, s11
	s_ashr_i32 s11, s12, 31
	s_sub_i32 s34, s10, s3
	s_cmp_ge_u32 s10, s3
	s_cselect_b32 s10, s34, s10
	s_delay_alu instid0(SALU_CYCLE_1) | instskip(SKIP_2) | instid1(SALU_CYCLE_1)
	s_sub_i32 s34, s10, s3
	s_cmp_ge_u32 s10, s3
	s_cselect_b32 s3, s34, s10
	s_xor_b32 s3, s3, s11
	s_delay_alu instid0(SALU_CYCLE_1)
	s_sub_i32 s3, s3, s11
	s_waitcnt lgkmcnt(0)
	s_mul_i32 s9, s3, s9
	s_mul_hi_u32 s10, s3, s8
	s_ashr_i32 s11, s3, 31
	s_add_i32 s9, s10, s9
	s_mul_i32 s11, s11, s8
	s_mul_i32 s3, s3, s8
	s_add_i32 s9, s9, s11
	s_add_u32 s34, s22, s3
	s_addc_u32 s35, s23, s9
.LBB64_2:
	v_bfe_u32 v2, v0, 10, 10
	s_load_b128 s[8:11], s[0:1], 0x70
	v_and_b32_e32 v0, 0x3ff, v0
	s_delay_alu instid0(VALU_DEP_2) | instskip(SKIP_1) | instid1(VALU_DEP_3)
	v_lshrrev_b32_e32 v1, 2, v2
	v_and_b32_e32 v36, 3, v2
	v_lshlrev_b32_e32 v13, 1, v0
	s_delay_alu instid0(VALU_DEP_3) | instskip(NEXT) | instid1(VALU_DEP_1)
	v_add_nc_u32_e32 v1, s13, v1
	v_mul_hi_u32 v3, s4, v1
	s_waitcnt lgkmcnt(0)
	s_mul_i32 s3, s12, s10
	s_mul_i32 s4, s15, s9
	s_delay_alu instid0(VALU_DEP_1) | instskip(NEXT) | instid1(VALU_DEP_1)
	v_add_nc_u32_e32 v3, v1, v3
	v_lshrrev_b32_e32 v3, s5, v3
	s_ashr_i32 s5, s3, 31
	s_add_u32 s3, s16, s3
	s_addc_u32 s5, s17, s5
	s_ashr_i32 s10, s4, 31
	v_mul_lo_u32 v3, v3, s6
	s_add_u32 s3, s3, s4
	s_addc_u32 s4, s5, s10
	s_ashr_i32 s5, s9, 31
	s_ashr_i32 s10, s8, 31
	v_alignbit_b32 v7, s5, s9, 2
	v_alignbit_b32 v9, s10, s8, 2
	s_lshr_b32 s5, s5, 2
	v_sub_nc_u32_e32 v4, v1, v3
	s_delay_alu instid0(VALU_DEP_3) | instskip(NEXT) | instid1(VALU_DEP_2)
	v_mad_u64_u32 v[5:6], null, v7, v36, 0
	v_mad_u64_u32 v[7:8], null, v9, v4, 0
	s_delay_alu instid0(VALU_DEP_1) | instskip(NEXT) | instid1(VALU_DEP_1)
	v_dual_mov_b32 v3, v6 :: v_dual_mov_b32 v6, v8
	v_mad_u64_u32 v[8:9], null, s5, v36, v[3:4]
	s_lshr_b32 s5, s10, 2
	s_cmp_eq_u64 s[26:27], 0
	s_delay_alu instid0(VALU_DEP_2) | instskip(NEXT) | instid1(VALU_DEP_2)
	v_mad_u64_u32 v[9:10], null, s5, v4, v[6:7]
	v_mov_b32_e32 v6, v8
	s_delay_alu instid0(VALU_DEP_2) | instskip(NEXT) | instid1(VALU_DEP_2)
	v_mov_b32_e32 v8, v9
	v_lshlrev_b64 v[5:6], 2, v[5:6]
	s_delay_alu instid0(VALU_DEP_2) | instskip(NEXT) | instid1(VALU_DEP_2)
	v_lshlrev_b64 v[7:8], 2, v[7:8]
	v_add_co_u32 v3, vcc_lo, s3, v5
	s_delay_alu instid0(VALU_DEP_3) | instskip(SKIP_1) | instid1(VALU_DEP_3)
	v_add_co_ci_u32_e32 v5, vcc_lo, s4, v6, vcc_lo
	v_lshlrev_b32_e32 v6, 4, v0
	v_add_co_u32 v3, vcc_lo, v3, v7
	s_delay_alu instid0(VALU_DEP_3) | instskip(SKIP_1) | instid1(VALU_DEP_2)
	v_add_co_ci_u32_e32 v5, vcc_lo, v5, v8, vcc_lo
	s_load_b32 s3, s[0:1], 0x40
	v_add_co_u32 v9, vcc_lo, v3, v6
	v_lshlrev_b32_e32 v3, 7, v2
	s_delay_alu instid0(VALU_DEP_3) | instskip(SKIP_4) | instid1(VALU_DEP_1)
	v_add_co_ci_u32_e32 v10, vcc_lo, 0, v5, vcc_lo
	s_clause 0x1
	global_load_b128 v[5:8], v[9:10], off
	global_load_b128 v[9:12], v[9:10], off offset:512
	v_add_lshl_u32 v3, v13, v3, 2
	v_add_nc_u32_e32 v3, 0x4000, v3
	s_waitcnt vmcnt(1) lgkmcnt(0)
	v_fma_mixlo_f16 v14, v7, s3, 0
	v_fma_mixlo_f16 v13, v5, s3, 0
	s_waitcnt vmcnt(0)
	v_fma_mixlo_f16 v16, v11, s3, 0
	v_fma_mixlo_f16 v15, v9, s3, 0
	v_fma_mixhi_f16 v14, v8, s3, 0
	v_fma_mixhi_f16 v13, v6, s3, 0
	s_delay_alu instid0(VALU_DEP_4) | instskip(NEXT) | instid1(VALU_DEP_4)
	v_fma_mixhi_f16 v16, v12, s3, 0
	v_fma_mixhi_f16 v15, v10, s3, 0
	s_mov_b32 s3, 0
	ds_store_2addr_b64 v3, v[13:14], v[15:16] offset0:64 offset1:96
	s_waitcnt lgkmcnt(0)
	s_barrier
	buffer_gl0_inv
	s_cbranch_scc1 .LBB64_4
; %bb.3:
	s_load_b32 s2, s[0:1], 0xd0
	s_waitcnt lgkmcnt(0)
	s_mul_i32 s2, s2, s12
	s_delay_alu instid0(SALU_CYCLE_1) | instskip(NEXT) | instid1(SALU_CYCLE_1)
	s_add_i32 s2, s2, s13
	s_lshl_b64 s[2:3], s[2:3], 2
	s_delay_alu instid0(SALU_CYCLE_1)
	s_add_u32 s2, s26, s2
	s_addc_u32 s3, s27, s3
	s_load_b32 s2, s[2:3], 0x0
.LBB64_4:
	v_lshlrev_b32_e32 v37, 2, v0
	v_mbcnt_lo_u32_b32 v38, -1, 0
	s_lshl_b32 s3, s14, 5
	s_waitcnt lgkmcnt(0)
	s_cmp_lt_i32 s3, s2
	s_cbranch_scc1 .LBB64_6
; %bb.5:
	v_mbcnt_lo_u32_b32 v3, -1, 0
	v_mov_b32_e32 v40, 32
	s_mov_b32 s4, 0
	s_mov_b32 s5, 0xfeffffff
	s_delay_alu instid0(VALU_DEP_2)
	v_xor_b32_e32 v68, 16, v3
	v_xor_b32_e32 v69, 8, v3
	;; [unrolled: 1-line block ×5, first 2 shown]
	s_branch .LBB64_7
.LBB64_6:
	s_mov_b32 s4, -1
                                        ; implicit-def: $sgpr5
                                        ; implicit-def: $vgpr3
                                        ; implicit-def: $vgpr40
                                        ; implicit-def: $vgpr68
                                        ; implicit-def: $vgpr69
                                        ; implicit-def: $vgpr70
                                        ; implicit-def: $vgpr71
                                        ; implicit-def: $vgpr72
.LBB64_7:
	s_delay_alu instid0(SALU_CYCLE_1) | instskip(SKIP_2) | instid1(VALU_DEP_3)
	v_cndmask_b32_e64 v5, 0, 1, s4
	v_dual_mov_b32 v60, s4 :: v_dual_mov_b32 v35, s5
	v_dual_mov_b32 v53, s4 :: v_dual_mov_b32 v64, s4
	v_cmp_ne_u32_e32 vcc_lo, 1, v5
	v_dual_mov_b32 v59, s4 :: v_dual_mov_b32 v54, s4
	s_cbranch_vccnz .LBB64_16
; %bb.8:
	s_clause 0x1
	s_load_b128 s[8:11], s[0:1], 0x98
	s_load_b64 s[4:5], s[0:1], 0x8c
	s_sub_i32 s13, 0, s33
	s_abs_i32 s17, s15
	s_mul_i32 s13, s13, s39
	s_ashr_i32 s27, s38, 31
	s_mul_hi_u32 s13, s39, s13
	s_ashr_i32 s38, s12, 31
	s_add_i32 s39, s39, s13
	s_ashr_i32 s36, s37, 1
	s_mul_hi_u32 s37, s17, s39
	s_ashr_i32 s26, s15, 31
	s_load_b64 s[22:23], s[0:1], 0xa8
	s_mul_i32 s39, s37, s33
	v_dual_mov_b32 v40, 32 :: v_dual_lshlrev_b32 v39, 2, v37
	v_dual_mov_b32 v64, 0 :: v_dual_lshlrev_b32 v3, 9, v2
	v_lshl_add_u32 v42, v2, 6, 0x4a00
	s_delay_alu instid0(VALU_DEP_3)
	v_mad_u32_u24 v43, 0x210, v2, v39
	s_waitcnt lgkmcnt(0)
	s_mul_i32 s9, s12, s9
	s_mul_hi_u32 s40, s12, s8
	s_mul_i32 s41, s38, s8
	s_add_i32 s9, s40, s9
	s_mul_i32 s8, s12, s8
	s_ashr_i32 s13, s10, 2
	s_ashr_i32 s16, s4, 2
	s_add_i32 s9, s9, s41
	s_add_u32 s8, s18, s8
	s_addc_u32 s9, s19, s9
	s_sub_i32 s17, s17, s39
	s_xor_b32 s18, s26, s27
	s_add_i32 s19, s37, 1
	s_sub_i32 s26, s17, s33
	s_cmp_ge_u32 s17, s33
	s_mul_i32 s38, s38, s22
	s_cselect_b32 s19, s19, s37
	s_cselect_b32 s17, s26, s17
	s_add_i32 s26, s19, 1
	s_cmp_ge_u32 s17, s33
	s_mul_i32 s17, s12, s23
	s_cselect_b32 s19, s26, s19
	s_mul_hi_u32 s23, s12, s22
	s_xor_b32 s19, s19, s18
	v_mul_lo_u32 v5, s16, v2
	s_sub_i32 s18, s19, s18
	s_mul_i32 s19, s12, s22
	s_mul_i32 s5, s18, s5
	v_mul_lo_u32 v19, s13, v2
	s_ashr_i32 s22, s5, 31
	s_add_u32 s8, s8, s5
	s_addc_u32 s9, s9, s22
	s_add_i32 s5, s23, s17
	s_mul_i32 s18, s18, s11
	s_add_i32 s5, s5, s38
	s_add_u32 s11, s20, s19
	s_addc_u32 s5, s21, s5
	s_ashr_i32 s17, s18, 31
	s_add_u32 s11, s11, s18
	s_addc_u32 s17, s5, s17
	s_and_b32 s4, s4, -4
	s_and_b32 s5, s10, -4
	v_dual_mov_b32 v54, 0 :: v_dual_add_nc_u32 v7, s4, v5
	v_add_nc_u32_e32 v21, s5, v19
	s_load_b32 s18, s[0:1], 0x54
	v_ashrrev_i32_e32 v6, 31, v5
	s_delay_alu instid0(VALU_DEP_3)
	v_add_nc_u32_e32 v9, s4, v7
	v_ashrrev_i32_e32 v8, 31, v7
	v_add_nc_u32_e32 v23, s5, v21
	v_ashrrev_i32_e32 v20, 31, v19
	v_ashrrev_i32_e32 v22, 31, v21
	v_add_nc_u32_e32 v11, s4, v9
	v_ashrrev_i32_e32 v10, 31, v9
	v_add_nc_u32_e32 v25, s5, v23
	;; [unrolled: 2-line block ×3, first 2 shown]
	v_add_nc_u32_e32 v13, s4, v11
	v_ashrrev_i32_e32 v12, 31, v11
	v_add_nc_u32_e32 v29, s5, v25
	v_ashrrev_i32_e32 v26, 31, v25
	v_dual_mov_b32 v53, 0 :: v_dual_add_nc_u32 v44, 0x4200, v3
	v_add_nc_u32_e32 v15, s4, v13
	s_delay_alu instid0(VALU_DEP_4)
	v_add_nc_u32_e32 v31, s5, v29
	v_ashrrev_i32_e32 v14, 31, v13
	v_ashrrev_i32_e32 v30, 31, v29
	v_mad_u64_u32 v[2:3], null, v4, s36, v[0:1]
	v_add_nc_u32_e32 v17, s4, v15
	v_add_nc_u32_e32 v33, s5, v31
	v_ashrrev_i32_e32 v16, 31, v15
	v_ashrrev_i32_e32 v32, 31, v31
	v_lshlrev_b64 v[3:4], 2, v[5:6]
	v_add_nc_u32_e32 v27, s4, v17
	v_add_nc_u32_e32 v59, s5, v33
	v_ashrrev_i32_e32 v18, 31, v17
	v_ashrrev_i32_e32 v34, 31, v33
	v_lshlrev_b64 v[5:6], 2, v[7:8]
	v_ashrrev_i32_e32 v28, 31, v27
	v_ashrrev_i32_e32 v60, 31, v59
	v_lshlrev_b64 v[7:8], 2, v[9:10]
	v_lshlrev_b64 v[9:10], 2, v[11:12]
	;; [unrolled: 1-line block ×14, first 2 shown]
	v_mul_u32_u24_e32 v41, 0x210, v0
	v_dual_mov_b32 v59, 0 :: v_dual_add_nc_u32 v46, 0x840, v43
	v_add_nc_u32_e32 v47, 0x1080, v43
	v_add_nc_u32_e32 v48, 0x18c0, v43
	;; [unrolled: 1-line block ×6, first 2 shown]
	v_lshl_add_u32 v55, v0, 1, v42
	v_add_nc_u32_e32 v56, 0x800, v45
	v_add_nc_u32_e32 v57, 0x1000, v45
	;; [unrolled: 1-line block ×7, first 2 shown]
	v_dual_mov_b32 v67, 0xfeffffff :: v_dual_lshlrev_b32 v66, 3, v0
	v_mov_b32_e32 v60, 0
	s_add_u32 s4, s0, 0xd0
	s_addc_u32 s5, s1, 0
	s_mov_b32 s10, 0xbbbac73d
.LBB64_9:                               ; =>This Inner Loop Header: Depth=1
	s_mul_hi_i32 s21, s3, s16
	s_mul_i32 s20, s3, s16
	s_delay_alu instid0(SALU_CYCLE_1) | instskip(NEXT) | instid1(SALU_CYCLE_1)
	s_lshl_b64 s[20:21], s[20:21], 2
	s_add_u32 s19, s8, s20
	s_addc_u32 s20, s9, s21
	v_add_co_u32 v35, vcc_lo, s19, v3
	v_add_co_ci_u32_e32 v69, vcc_lo, s20, v4, vcc_lo
	v_add_co_u32 v70, vcc_lo, s19, v5
	v_add_co_ci_u32_e32 v71, vcc_lo, s20, v6, vcc_lo
	s_delay_alu instid0(VALU_DEP_4) | instskip(NEXT) | instid1(VALU_DEP_4)
	v_add_co_u32 v68, vcc_lo, v35, v39
	v_add_co_ci_u32_e32 v69, vcc_lo, 0, v69, vcc_lo
	s_delay_alu instid0(VALU_DEP_4) | instskip(NEXT) | instid1(VALU_DEP_4)
	v_add_co_u32 v72, vcc_lo, v70, v39
	v_add_co_ci_u32_e32 v73, vcc_lo, 0, v71, vcc_lo
	v_add_co_u32 v35, vcc_lo, s19, v7
	v_add_co_ci_u32_e32 v77, vcc_lo, s20, v8, vcc_lo
	v_add_co_u32 v78, vcc_lo, s19, v9
	v_add_co_ci_u32_e32 v79, vcc_lo, s20, v10, vcc_lo
	s_delay_alu instid0(VALU_DEP_4) | instskip(NEXT) | instid1(VALU_DEP_4)
	v_add_co_u32 v76, vcc_lo, v35, v39
	v_add_co_ci_u32_e32 v77, vcc_lo, 0, v77, vcc_lo
	s_delay_alu instid0(VALU_DEP_4) | instskip(NEXT) | instid1(VALU_DEP_4)
	v_add_co_u32 v80, vcc_lo, v78, v39
	v_add_co_ci_u32_e32 v81, vcc_lo, 0, v79, vcc_lo
	;; [unrolled: 10-line block ×4, first 2 shown]
	s_clause 0x7
	global_load_b128 v[68:71], v[68:69], off
	global_load_b128 v[72:75], v[72:73], off
	;; [unrolled: 1-line block ×8, first 2 shown]
	v_mov_b32_e32 v35, 0
	s_waitcnt vmcnt(7)
	ds_store_b128 v43, v[68:71]
	s_waitcnt vmcnt(6)
	ds_store_b128 v46, v[72:75]
	;; [unrolled: 2-line block ×8, first 2 shown]
	s_waitcnt lgkmcnt(0)
	s_barrier
	buffer_gl0_inv
	ds_load_b128 v[68:71], v41
	ds_load_b128 v[72:75], v44
	s_waitcnt lgkmcnt(0)
	;;#ASMSTART
	v_dot2_f32_f16 v35, v68, v72, v35
	;;#ASMEND
	;;#ASMSTART
	v_dot2_f32_f16 v35, v69, v73, v35
	;;#ASMEND
	;;#ASMSTART
	v_dot2_f32_f16 v35, v70, v74, v35
	;;#ASMEND
	;;#ASMSTART
	v_dot2_f32_f16 v35, v71, v75, v35
	;;#ASMEND
	ds_load_b128 v[68:71], v41 offset:16
	ds_load_b128 v[72:75], v44 offset:16
	s_waitcnt lgkmcnt(0)
	;;#ASMSTART
	v_dot2_f32_f16 v35, v68, v72, v35
	;;#ASMEND
	;;#ASMSTART
	v_dot2_f32_f16 v35, v69, v73, v35
	;;#ASMEND
	;;#ASMSTART
	v_dot2_f32_f16 v35, v70, v74, v35
	;;#ASMEND
	;;#ASMSTART
	v_dot2_f32_f16 v35, v71, v75, v35
	;;#ASMEND
	ds_load_b128 v[68:71], v41 offset:32
	ds_load_b128 v[72:75], v44 offset:32
	;; [unrolled: 15-line block ×31, first 2 shown]
	s_waitcnt lgkmcnt(0)
	;;#ASMSTART
	v_dot2_f32_f16 v35, v68, v72, v35
	;;#ASMEND
	;;#ASMSTART
	v_dot2_f32_f16 v35, v69, v73, v35
	;;#ASMEND
	;; [unrolled: 3-line block ×4, first 2 shown]
	v_cmp_ngt_f32_e64 s19, 0x3f200000, |v35|
                                        ; implicit-def: $vgpr68
	s_delay_alu instid0(VALU_DEP_1) | instskip(NEXT) | instid1(SALU_CYCLE_1)
	s_and_saveexec_b32 s20, s19
	s_xor_b32 s19, exec_lo, s20
	s_cbranch_execz .LBB64_11
; %bb.10:                               ;   in Loop: Header=BB64_9 Depth=1
	v_add_f32_e64 v68, |v35|, |v35|
	s_delay_alu instid0(VALU_DEP_1) | instskip(SKIP_1) | instid1(VALU_DEP_2)
	v_mul_f32_e32 v69, 0x3fb8aa3b, v68
	v_cmp_ngt_f32_e32 vcc_lo, 0xc2ce8ed0, v68
	v_rndne_f32_e32 v70, v69
	v_fma_f32 v71, 0x3fb8aa3b, v68, -v69
	s_delay_alu instid0(VALU_DEP_2) | instskip(NEXT) | instid1(VALU_DEP_2)
	v_sub_f32_e32 v69, v69, v70
	v_fmac_f32_e32 v71, 0x32a5705f, v68
	v_cvt_i32_f32_e32 v70, v70
	s_delay_alu instid0(VALU_DEP_2) | instskip(NEXT) | instid1(VALU_DEP_1)
	v_add_f32_e32 v69, v69, v71
	v_exp_f32_e32 v69, v69
	s_waitcnt_depctr 0xfff
	v_ldexp_f32 v69, v69, v70
	s_delay_alu instid0(VALU_DEP_1) | instskip(SKIP_1) | instid1(VALU_DEP_2)
	v_cndmask_b32_e32 v69, 0, v69, vcc_lo
	v_cmp_nlt_f32_e32 vcc_lo, 0x42b17218, v68
	v_cndmask_b32_e32 v68, 0x7f800000, v69, vcc_lo
	s_delay_alu instid0(VALU_DEP_1) | instskip(NEXT) | instid1(VALU_DEP_1)
	v_add_f32_e32 v68, 1.0, v68
	v_rcp_f32_e32 v68, v68
	s_waitcnt_depctr 0xfff
	v_fma_f32 v68, v68, -2.0, 1.0
.LBB64_11:                              ;   in Loop: Header=BB64_9 Depth=1
	s_and_not1_saveexec_b32 s19, s19
; %bb.12:                               ;   in Loop: Header=BB64_9 Depth=1
	v_mul_f32_e32 v68, v35, v35
	s_delay_alu instid0(VALU_DEP_1) | instskip(NEXT) | instid1(VALU_DEP_1)
	v_fmaak_f32 v69, s10, v68, 0x3ca908c9
	v_fmaak_f32 v69, v68, v69, 0xbd5c1c4e
	s_delay_alu instid0(VALU_DEP_1) | instskip(NEXT) | instid1(VALU_DEP_1)
	v_fmaak_f32 v69, v68, v69, 0x3e088382
	v_fmaak_f32 v69, v68, v69, 0xbeaaaa99
	s_delay_alu instid0(VALU_DEP_1) | instskip(NEXT) | instid1(VALU_DEP_1)
	v_mul_f32_e64 v69, |v35|, v69
	v_fma_f32 v68, v68, v69, |v35|
; %bb.13:                               ;   in Loop: Header=BB64_9 Depth=1
	s_or_b32 exec_lo, exec_lo, s19
	v_add_nc_u32_e32 v69, s3, v2
	s_mul_hi_i32 s21, s3, s13
	s_mul_i32 s20, s3, s13
	v_bfi_b32 v35, 0x7fffffff, v68, v35
	s_lshl_b64 s[20:21], s[20:21], 2
	v_ashrrev_i32_e32 v70, 31, v69
	s_add_u32 s19, s11, s20
	s_addc_u32 s20, s17, s21
	v_xor_b32_e32 v68, 16, v38
	v_add_nc_u32_e32 v117, 0x800, v66
	v_lshlrev_b64 v[69:70], 1, v[69:70]
	v_add_nc_u32_e32 v127, 0x1800, v66
	v_add_nc_u32_e32 v131, 0x3000, v66
	;; [unrolled: 1-line block ×5, first 2 shown]
	v_add_co_u32 v69, vcc_lo, s34, v69
	v_add_co_ci_u32_e32 v70, vcc_lo, s35, v70, vcc_lo
	v_add_nc_u32_e32 v130, 0x2800, v66
	flat_load_u16 v105, v[69:70]
	v_add_co_u32 v69, vcc_lo, s19, v19
	v_add_co_ci_u32_e32 v70, vcc_lo, s20, v20, vcc_lo
	v_add_co_u32 v71, vcc_lo, s19, v21
	v_add_co_ci_u32_e32 v72, vcc_lo, s20, v22, vcc_lo
	;; [unrolled: 2-line block ×16, first 2 shown]
	s_waitcnt vmcnt(0) lgkmcnt(0)
	s_barrier
	buffer_gl0_inv
	s_clause 0x7
	global_load_b128 v[73:76], v[69:70], off
	global_load_b128 v[77:80], v[71:72], off
	;; [unrolled: 1-line block ×8, first 2 shown]
	v_cmp_gt_i32_e32 vcc_lo, 32, v68
	v_cndmask_b32_e32 v69, v38, v68, vcc_lo
	s_delay_alu instid0(VALU_DEP_1) | instskip(SKIP_1) | instid1(VALU_DEP_1)
	v_lshlrev_b32_e32 v69, 2, v69
	v_fma_mix_f32 v105, v35, s18, v105 op_sel_hi:[0,0,1]
	v_dual_max_f32 v35, v67, v67 :: v_dual_add_f32 v70, 0x40051340, v105
	s_delay_alu instid0(VALU_DEP_1) | instskip(SKIP_2) | instid1(VALU_DEP_1)
	v_max_f32_e32 v35, v35, v70
	ds_bpermute_b32 v70, v69, v35
	v_xor_b32_e32 v69, 8, v38
	v_cmp_gt_i32_e32 vcc_lo, 32, v69
	v_cndmask_b32_e32 v71, v38, v69, vcc_lo
	s_waitcnt lgkmcnt(0)
	s_delay_alu instid0(VALU_DEP_1) | instskip(NEXT) | instid1(VALU_DEP_1)
	v_dual_max_f32 v70, v70, v70 :: v_dual_lshlrev_b32 v71, 2, v71
	v_max_f32_e32 v35, v35, v70
	v_xor_b32_e32 v70, 4, v38
	ds_bpermute_b32 v71, v71, v35
	v_cmp_gt_i32_e32 vcc_lo, 32, v70
	v_cndmask_b32_e32 v72, v38, v70, vcc_lo
	s_waitcnt lgkmcnt(0)
	s_delay_alu instid0(VALU_DEP_1) | instskip(NEXT) | instid1(VALU_DEP_1)
	v_dual_max_f32 v71, v71, v71 :: v_dual_lshlrev_b32 v72, 2, v72
	v_max_f32_e32 v35, v35, v71
	v_xor_b32_e32 v71, 2, v38
	ds_bpermute_b32 v72, v72, v35
	v_cmp_gt_i32_e32 vcc_lo, 32, v71
	v_cndmask_b32_e32 v106, v38, v71, vcc_lo
	s_delay_alu instid0(VALU_DEP_1) | instskip(SKIP_2) | instid1(VALU_DEP_1)
	v_lshlrev_b32_e32 v106, 2, v106
	s_waitcnt lgkmcnt(0)
	v_max_f32_e32 v72, v72, v72
	v_max_f32_e32 v35, v35, v72
	v_xor_b32_e32 v72, 1, v38
	ds_bpermute_b32 v106, v106, v35
	v_cmp_gt_i32_e32 vcc_lo, 32, v72
	v_cndmask_b32_e32 v107, v38, v72, vcc_lo
	s_waitcnt lgkmcnt(0)
	s_delay_alu instid0(VALU_DEP_1) | instskip(NEXT) | instid1(VALU_DEP_1)
	v_dual_max_f32 v106, v106, v106 :: v_dual_lshlrev_b32 v107, 2, v107
	v_max_f32_e32 v35, v35, v106
	ds_bpermute_b32 v106, v107, v35
	s_waitcnt lgkmcnt(0)
	v_max_f32_e32 v106, v106, v106
	s_delay_alu instid0(VALU_DEP_1) | instskip(NEXT) | instid1(VALU_DEP_1)
	v_max_f32_e32 v35, v35, v106
	v_sub_f32_e32 v105, v105, v35
	s_delay_alu instid0(VALU_DEP_1) | instskip(NEXT) | instid1(VALU_DEP_1)
	v_dual_sub_f32 v67, v67, v35 :: v_dual_mul_f32 v106, 0x3fb8aa3b, v105
	v_mul_f32_e32 v109, 0x3fb8aa3b, v67
	v_cmp_ngt_f32_e32 vcc_lo, 0xc2ce8ed0, v105
	s_delay_alu instid0(VALU_DEP_3) | instskip(SKIP_1) | instid1(VALU_DEP_4)
	v_fma_f32 v107, 0x3fb8aa3b, v105, -v106
	v_rndne_f32_e32 v108, v106
	v_fma_f32 v110, 0x3fb8aa3b, v67, -v109
	v_rndne_f32_e32 v111, v109
	s_delay_alu instid0(VALU_DEP_3) | instskip(SKIP_1) | instid1(VALU_DEP_4)
	v_dual_fmac_f32 v107, 0x32a5705f, v105 :: v_dual_sub_f32 v106, v106, v108
	v_cvt_i32_f32_e32 v108, v108
	v_fmac_f32_e32 v110, 0x32a5705f, v67
	s_delay_alu instid0(VALU_DEP_3) | instskip(SKIP_1) | instid1(VALU_DEP_2)
	v_add_f32_e32 v106, v106, v107
	v_sub_f32_e32 v107, v109, v111
	v_exp_f32_e32 v106, v106
	s_delay_alu instid0(VALU_DEP_1) | instskip(NEXT) | instid1(VALU_DEP_1)
	v_add_f32_e32 v107, v107, v110
	v_exp_f32_e32 v107, v107
	s_waitcnt_depctr 0xfff
	v_ldexp_f32 v106, v106, v108
	v_cvt_i32_f32_e32 v108, v111
	s_delay_alu instid0(VALU_DEP_2) | instskip(SKIP_1) | instid1(VALU_DEP_3)
	v_cndmask_b32_e32 v106, 0, v106, vcc_lo
	v_cmp_nlt_f32_e32 vcc_lo, 0x42b17218, v105
	v_ldexp_f32 v107, v107, v108
	s_delay_alu instid0(VALU_DEP_3) | instskip(SKIP_1) | instid1(VALU_DEP_2)
	v_cndmask_b32_e32 v125, 0x7f800000, v106, vcc_lo
	v_cmp_ngt_f32_e32 vcc_lo, 0xc2ce8ed0, v67
	v_cvt_f16_f32_e32 v106, v125
	s_delay_alu instid0(VALU_DEP_4)
	v_cndmask_b32_e32 v105, 0, v107, vcc_lo
	v_cmp_nlt_f32_e32 vcc_lo, 0x42b17218, v67
	ds_store_b16 v55, v106
	s_waitcnt vmcnt(7)
	ds_store_b128 v45, v[73:76]
	s_waitcnt vmcnt(6)
	ds_store_b128 v56, v[77:80]
	;; [unrolled: 2-line block ×8, first 2 shown]
	s_waitcnt lgkmcnt(0)
	s_barrier
	buffer_gl0_inv
	ds_load_2addr_b64 v[73:76], v66 offset1:32
	ds_load_b128 v[77:80], v42
	v_cndmask_b32_e32 v67, 0x7f800000, v105, vcc_lo
	ds_load_2addr_b64 v[81:84], v66 offset0:64 offset1:96
	ds_load_b128 v[85:88], v42 offset:16
	ds_load_2addr_b64 v[89:92], v66 offset0:128 offset1:160
	ds_load_b128 v[93:96], v42 offset:32
	ds_load_b128 v[97:100], v42 offset:48
	ds_load_2addr_b64 v[101:104], v66 offset0:192 offset1:224
	ds_load_2addr_b64 v[105:108], v117 offset1:32
	ds_load_2addr_b64 v[109:112], v117 offset0:64 offset1:96
	ds_load_2addr_b64 v[113:116], v117 offset0:128 offset1:160
	;; [unrolled: 1-line block ×3, first 2 shown]
	ds_load_2addr_b64 v[121:124], v126 offset1:32
	v_cvt_f16_f32_e64 v129, v67
	v_fma_f32 v53, v53, v67, v125
	s_delay_alu instid0(VALU_DEP_2)
	v_pk_mul_f16 v59, v129, v59 op_sel_hi:[0,1]
	v_pk_mul_f16 v54, v129, v54 op_sel_hi:[0,1]
	s_waitcnt lgkmcnt(11)
	v_pk_mul_f16 v73, v73, v77 op_sel_hi:[1,0]
	v_pk_mul_f16 v74, v74, v77 op_sel_hi:[1,0]
	v_pk_fma_f16 v59, v75, v77, v59 op_sel_hi:[1,0,1]
	v_pk_fma_f16 v54, v76, v77, v54 op_sel_hi:[1,0,1]
	s_delay_alu instid0(VALU_DEP_4) | instskip(NEXT) | instid1(VALU_DEP_4)
	v_pk_fma_f16 v60, v60, v129, v73 op_sel_hi:[1,0,1]
	v_pk_fma_f16 v64, v64, v129, v74 op_sel_hi:[1,0,1]
	s_waitcnt lgkmcnt(10)
	v_pk_fma_f16 v59, v83, v77, v59 op_sel:[0,1,0]
	v_pk_fma_f16 v54, v84, v77, v54 op_sel:[0,1,0]
	ds_load_2addr_b64 v[73:76], v126 offset0:64 offset1:96
	v_pk_fma_f16 v60, v81, v77, v60 op_sel:[0,1,0]
	v_pk_fma_f16 v64, v82, v77, v64 op_sel:[0,1,0]
	s_waitcnt lgkmcnt(9)
	v_pk_fma_f16 v59, v91, v78, v59 op_sel_hi:[1,0,1]
	v_pk_fma_f16 v54, v92, v78, v54 op_sel_hi:[1,0,1]
	ds_load_2addr_b64 v[81:84], v126 offset0:128 offset1:160
	v_pk_fma_f16 v60, v89, v78, v60 op_sel_hi:[1,0,1]
	v_pk_fma_f16 v64, v90, v78, v64 op_sel_hi:[1,0,1]
	s_waitcnt lgkmcnt(7)
	v_pk_fma_f16 v59, v103, v78, v59 op_sel:[0,1,0]
	v_pk_fma_f16 v54, v104, v78, v54 op_sel:[0,1,0]
	ds_load_2addr_b64 v[89:92], v126 offset0:192 offset1:224
	v_pk_fma_f16 v60, v101, v78, v60 op_sel:[0,1,0]
	v_pk_fma_f16 v64, v102, v78, v64 op_sel:[0,1,0]
	s_waitcnt lgkmcnt(7)
	v_pk_fma_f16 v59, v107, v79, v59 op_sel_hi:[1,0,1]
	v_pk_fma_f16 v54, v108, v79, v54 op_sel_hi:[1,0,1]
	ds_load_2addr_b64 v[101:104], v127 offset1:32
	v_pk_fma_f16 v60, v105, v79, v60 op_sel_hi:[1,0,1]
	v_pk_fma_f16 v64, v106, v79, v64 op_sel_hi:[1,0,1]
	s_waitcnt lgkmcnt(7)
	v_pk_fma_f16 v59, v111, v79, v59 op_sel:[0,1,0]
	v_pk_fma_f16 v54, v112, v79, v54 op_sel:[0,1,0]
	ds_load_2addr_b64 v[105:108], v127 offset0:64 offset1:96
	v_pk_fma_f16 v60, v109, v79, v60 op_sel:[0,1,0]
	v_pk_fma_f16 v64, v110, v79, v64 op_sel:[0,1,0]
	s_waitcnt lgkmcnt(7)
	v_pk_fma_f16 v59, v115, v80, v59 op_sel_hi:[1,0,1]
	v_pk_fma_f16 v54, v116, v80, v54 op_sel_hi:[1,0,1]
	ds_load_2addr_b64 v[109:112], v127 offset0:128 offset1:160
	v_pk_fma_f16 v60, v113, v80, v60 op_sel_hi:[1,0,1]
	v_pk_fma_f16 v64, v114, v80, v64 op_sel_hi:[1,0,1]
	s_waitcnt lgkmcnt(7)
	v_pk_fma_f16 v59, v119, v80, v59 op_sel:[0,1,0]
	v_pk_fma_f16 v54, v120, v80, v54 op_sel:[0,1,0]
	ds_load_2addr_b64 v[113:116], v127 offset0:192 offset1:224
	v_pk_fma_f16 v60, v117, v80, v60 op_sel:[0,1,0]
	v_pk_fma_f16 v64, v118, v80, v64 op_sel:[0,1,0]
	s_waitcnt lgkmcnt(7)
	v_pk_fma_f16 v59, v123, v85, v59 op_sel_hi:[1,0,1]
	v_pk_fma_f16 v54, v124, v85, v54 op_sel_hi:[1,0,1]
	ds_load_2addr_b64 v[77:80], v128 offset1:32
	;; [unrolled: 24-line block ×5, first 2 shown]
	v_pk_fma_f16 v60, v89, v95, v60 op_sel_hi:[1,0,1]
	v_pk_fma_f16 v64, v90, v95, v64 op_sel_hi:[1,0,1]
	s_waitcnt lgkmcnt(7)
	v_pk_fma_f16 v59, v103, v95, v59 op_sel:[0,1,0]
	v_pk_fma_f16 v54, v104, v95, v54 op_sel:[0,1,0]
	ds_load_2addr_b64 v[89:92], v132 offset0:64 offset1:96
	v_pk_fma_f16 v60, v101, v95, v60 op_sel:[0,1,0]
	v_pk_fma_f16 v64, v102, v95, v64 op_sel:[0,1,0]
	s_waitcnt lgkmcnt(7)
	v_pk_fma_f16 v59, v107, v96, v59 op_sel_hi:[1,0,1]
	v_pk_fma_f16 v54, v108, v96, v54 op_sel_hi:[1,0,1]
	ds_load_2addr_b64 v[101:104], v132 offset0:128 offset1:160
	v_pk_fma_f16 v60, v105, v96, v60 op_sel_hi:[1,0,1]
	v_pk_fma_f16 v64, v106, v96, v64 op_sel_hi:[1,0,1]
	s_waitcnt lgkmcnt(7)
	v_pk_fma_f16 v59, v111, v96, v59 op_sel:[0,1,0]
	v_pk_fma_f16 v54, v112, v96, v54 op_sel:[0,1,0]
	ds_load_2addr_b64 v[105:108], v132 offset0:192 offset1:224
	v_pk_fma_f16 v60, v109, v96, v60 op_sel:[0,1,0]
	v_pk_fma_f16 v64, v110, v96, v64 op_sel:[0,1,0]
	s_waitcnt lgkmcnt(7)
	v_pk_fma_f16 v59, v87, v97, v59 op_sel_hi:[1,0,1]
	v_pk_fma_f16 v54, v88, v97, v54 op_sel_hi:[1,0,1]
	s_waitcnt lgkmcnt(0)
	v_pk_fma_f16 v60, v85, v97, v60 op_sel_hi:[1,0,1]
	v_pk_fma_f16 v64, v86, v97, v64 op_sel_hi:[1,0,1]
	v_pk_fma_f16 v59, v79, v97, v59 op_sel:[0,1,0]
	v_pk_fma_f16 v54, v80, v97, v54 op_sel:[0,1,0]
	s_barrier
	v_pk_fma_f16 v60, v77, v97, v60 op_sel:[0,1,0]
	v_pk_fma_f16 v64, v78, v97, v64 op_sel:[0,1,0]
	v_pk_fma_f16 v59, v115, v98, v59 op_sel_hi:[1,0,1]
	v_pk_fma_f16 v54, v116, v98, v54 op_sel_hi:[1,0,1]
	buffer_gl0_inv
	v_pk_fma_f16 v60, v113, v98, v60 op_sel_hi:[1,0,1]
	v_pk_fma_f16 v64, v114, v98, v64 op_sel_hi:[1,0,1]
	s_load_b32 s19, s[4:5], 0x4
	v_pk_fma_f16 v59, v75, v98, v59 op_sel:[0,1,0]
	v_pk_fma_f16 v54, v76, v98, v54 op_sel:[0,1,0]
	;; [unrolled: 1-line block ×4, first 2 shown]
	s_delay_alu instid0(VALU_DEP_4) | instskip(NEXT) | instid1(VALU_DEP_4)
	v_pk_fma_f16 v59, v83, v99, v59 op_sel_hi:[1,0,1]
	v_pk_fma_f16 v54, v84, v99, v54 op_sel_hi:[1,0,1]
	s_delay_alu instid0(VALU_DEP_4) | instskip(NEXT) | instid1(VALU_DEP_4)
	v_pk_fma_f16 v60, v81, v99, v60 op_sel_hi:[1,0,1]
	v_pk_fma_f16 v64, v82, v99, v64 op_sel_hi:[1,0,1]
	s_delay_alu instid0(VALU_DEP_4) | instskip(NEXT) | instid1(VALU_DEP_4)
	v_pk_fma_f16 v59, v91, v99, v59 op_sel:[0,1,0]
	v_pk_fma_f16 v54, v92, v99, v54 op_sel:[0,1,0]
	s_delay_alu instid0(VALU_DEP_4) | instskip(NEXT) | instid1(VALU_DEP_4)
	v_pk_fma_f16 v60, v89, v99, v60 op_sel:[0,1,0]
	v_pk_fma_f16 v64, v90, v99, v64 op_sel:[0,1,0]
	s_delay_alu instid0(VALU_DEP_4) | instskip(NEXT) | instid1(VALU_DEP_4)
	v_pk_fma_f16 v59, v103, v100, v59 op_sel_hi:[1,0,1]
	v_pk_fma_f16 v54, v104, v100, v54 op_sel_hi:[1,0,1]
	s_delay_alu instid0(VALU_DEP_4) | instskip(NEXT) | instid1(VALU_DEP_4)
	v_pk_fma_f16 v60, v101, v100, v60 op_sel_hi:[1,0,1]
	v_pk_fma_f16 v64, v102, v100, v64 op_sel_hi:[1,0,1]
	s_waitcnt lgkmcnt(0)
	s_lshl_b32 s19, s19, 5
	v_pk_fma_f16 v59, v107, v100, v59 op_sel:[0,1,0]
	v_pk_fma_f16 v54, v108, v100, v54 op_sel:[0,1,0]
	;; [unrolled: 1-line block ×4, first 2 shown]
	s_add_i32 s3, s19, s3
	s_delay_alu instid0(SALU_CYCLE_1)
	s_cmp_lt_i32 s3, s2
	s_cbranch_scc0 .LBB64_15
; %bb.14:                               ;   in Loop: Header=BB64_9 Depth=1
	v_mov_b32_e32 v67, v35
	s_branch .LBB64_9
.LBB64_15:
	v_mov_b32_e32 v3, v38
.LBB64_16:
	v_cmp_lt_i32_e32 vcc_lo, v68, v40
	s_cmp_eq_u64 s[24:25], 0
	s_cselect_b32 s2, -1, 0
	s_cmp_lg_u32 s14, 0
	v_cndmask_b32_e32 v2, v3, v68, vcc_lo
	v_cmp_lt_i32_e32 vcc_lo, v69, v40
	s_cselect_b32 s3, -1, 0
	s_delay_alu instid0(SALU_CYCLE_1) | instskip(SKIP_2) | instid1(VALU_DEP_2)
	s_or_b32 s2, s3, s2
	v_cndmask_b32_e32 v4, v3, v69, vcc_lo
	v_cmp_lt_i32_e32 vcc_lo, v70, v40
	v_dual_cndmask_b32 v5, v3, v70 :: v_dual_lshlrev_b32 v4, 2, v4
	v_cmp_lt_i32_e32 vcc_lo, v71, v40
	s_delay_alu instid0(VALU_DEP_2)
	v_lshlrev_b32_e32 v5, 2, v5
	v_lshlrev_b32_e32 v2, 2, v2
	ds_bpermute_b32 v2, v2, v53
	s_waitcnt lgkmcnt(0)
	v_add_f32_e32 v2, v53, v2
	ds_bpermute_b32 v4, v4, v2
	s_waitcnt lgkmcnt(0)
	v_add_f32_e32 v2, v2, v4
	ds_bpermute_b32 v4, v5, v2
	v_cndmask_b32_e32 v5, v3, v71, vcc_lo
	v_cmp_lt_i32_e32 vcc_lo, v72, v40
	s_delay_alu instid0(VALU_DEP_2) | instskip(SKIP_3) | instid1(VALU_DEP_1)
	v_lshlrev_b32_e32 v5, 2, v5
	v_cndmask_b32_e32 v3, v3, v72, vcc_lo
	s_and_b32 vcc_lo, exec_lo, s2
	s_waitcnt lgkmcnt(0)
	v_dual_add_f32 v2, v2, v4 :: v_dual_lshlrev_b32 v3, 2, v3
	ds_bpermute_b32 v4, v5, v2
	s_waitcnt lgkmcnt(0)
	v_add_f32_e32 v4, v2, v4
	v_add_nc_u32_e32 v2, s15, v36
	ds_bpermute_b32 v3, v3, v4
	s_waitcnt lgkmcnt(0)
	v_add_f32_e32 v36, v4, v3
	s_cbranch_vccnz .LBB64_18
; %bb.17:
	v_ashrrev_i32_e32 v3, 31, v2
	s_delay_alu instid0(VALU_DEP_1) | instskip(NEXT) | instid1(VALU_DEP_1)
	v_lshlrev_b64 v[3:4], 2, v[2:3]
	v_add_co_u32 v3, vcc_lo, s24, v3
	s_delay_alu instid0(VALU_DEP_2) | instskip(SKIP_4) | instid1(VALU_DEP_1)
	v_add_co_ci_u32_e32 v4, vcc_lo, s25, v4, vcc_lo
	global_load_b32 v3, v[3:4], off
	v_max_f32_e32 v4, v35, v35
	s_waitcnt vmcnt(0)
	v_max_f32_e32 v5, v3, v3
	v_max_f32_e32 v4, v4, v5
	s_delay_alu instid0(VALU_DEP_1) | instskip(NEXT) | instid1(VALU_DEP_1)
	v_sub_f32_e32 v3, v3, v4
	v_mul_f32_e32 v7, 0x3fb8aa3b, v3
	s_delay_alu instid0(VALU_DEP_1) | instskip(SKIP_2) | instid1(VALU_DEP_3)
	v_fma_f32 v10, 0x3fb8aa3b, v3, -v7
	v_sub_f32_e32 v5, v35, v4
	v_rndne_f32_e32 v11, v7
	v_dual_mov_b32 v35, v4 :: v_dual_fmac_f32 v10, 0x32a5705f, v3
	s_delay_alu instid0(VALU_DEP_2) | instskip(SKIP_1) | instid1(VALU_DEP_2)
	v_dual_mul_f32 v6, 0x3fb8aa3b, v5 :: v_dual_sub_f32 v7, v7, v11
	v_cmp_ngt_f32_e32 vcc_lo, 0xc2ce8ed0, v5
	v_fma_f32 v8, 0x3fb8aa3b, v5, -v6
	v_rndne_f32_e32 v9, v6
	s_delay_alu instid0(VALU_DEP_2) | instskip(NEXT) | instid1(VALU_DEP_2)
	v_dual_add_f32 v7, v7, v10 :: v_dual_fmac_f32 v8, 0x32a5705f, v5
	v_sub_f32_e32 v6, v6, v9
	s_delay_alu instid0(VALU_DEP_2) | instskip(NEXT) | instid1(VALU_DEP_1)
	v_exp_f32_e32 v7, v7
	v_add_f32_e32 v6, v6, v8
	v_cvt_i32_f32_e32 v8, v9
	v_cvt_i32_f32_e32 v9, v11
	s_delay_alu instid0(VALU_DEP_3) | instskip(SKIP_3) | instid1(VALU_DEP_1)
	v_exp_f32_e32 v6, v6
	s_waitcnt_depctr 0xfff
	v_ldexp_f32 v7, v7, v9
	v_ldexp_f32 v6, v6, v8
	v_cndmask_b32_e32 v6, 0, v6, vcc_lo
	v_cmp_ngt_f32_e32 vcc_lo, 0xc2ce8ed0, v3
	s_delay_alu instid0(VALU_DEP_4) | instskip(SKIP_1) | instid1(VALU_DEP_4)
	v_cndmask_b32_e32 v7, 0, v7, vcc_lo
	v_cmp_nlt_f32_e32 vcc_lo, 0x42b17218, v5
	v_cndmask_b32_e32 v5, 0x7f800000, v6, vcc_lo
	v_cmp_nlt_f32_e32 vcc_lo, 0x42b17218, v3
	s_delay_alu instid0(VALU_DEP_2) | instskip(SKIP_1) | instid1(VALU_DEP_2)
	v_cvt_f16_f32_e32 v6, v5
	v_cndmask_b32_e32 v3, 0x7f800000, v7, vcc_lo
	v_pk_mul_f16 v60, v6, v60 op_sel_hi:[0,1]
	s_delay_alu instid0(VALU_DEP_2) | instskip(SKIP_3) | instid1(VALU_DEP_4)
	v_fmac_f32_e32 v3, v36, v5
	v_pk_mul_f16 v64, v6, v64 op_sel_hi:[0,1]
	v_pk_mul_f16 v59, v6, v59 op_sel_hi:[0,1]
	;; [unrolled: 1-line block ×3, first 2 shown]
	v_mov_b32_e32 v36, v3
.LBB64_18:
	s_delay_alu instid0(VALU_DEP_1) | instskip(SKIP_2) | instid1(VALU_DEP_2)
	v_div_scale_f32 v6, null, v36, v36, 1.0
	s_load_b32 s1, s[0:1], 0xd4
	v_mad_u64_u32 v[3:4], null, s12, s6, v[1:2]
	v_rcp_f32_e32 v7, v6
	v_div_scale_f32 v8, vcc_lo, 1.0, v36, 1.0
	v_cvt_f32_f16_e32 v9, v64
	v_cvt_f32_f16_e32 v14, v60
	v_cmp_eq_u32_e64 s0, 0, v0
	v_mad_u64_u32 v[4:5], null, v3, s7, v[2:3]
	v_lshrrev_b32_e32 v5, 16, v64
	v_mov_b32_e32 v3, 0
	s_delay_alu instid0(TRANS32_DEP_1)
	v_fma_f32 v1, -v6, v7, 1.0
	v_lshrrev_b32_e32 v10, 16, v60
	v_lshrrev_b32_e32 v12, 16, v54
	v_cvt_f32_f16_e32 v0, v5
	v_lshrrev_b32_e32 v13, 16, v59
	v_fmac_f32_e32 v7, v1, v7
	v_cvt_f32_f16_e32 v17, v10
	s_waitcnt lgkmcnt(0)
	v_mad_u64_u32 v[1:2], null, s1, v4, s[14:15]
	s_cmp_lg_u32 s1, 1
	v_mul_f32_e32 v11, v8, v7
	s_cselect_b32 s1, -1, 0
	v_cvt_f32_f16_e32 v15, v54
	v_cvt_f32_f16_e32 v16, v59
	;; [unrolled: 1-line block ×3, first 2 shown]
	v_fma_f32 v2, -v6, v11, v8
	s_and_b32 s0, s0, s1
	s_delay_alu instid0(VALU_DEP_1) | instskip(SKIP_1) | instid1(VALU_DEP_2)
	v_fmac_f32_e32 v11, v2, v7
	v_lshl_add_u32 v2, v1, 8, v37
	v_fma_f32 v6, -v6, v11, v8
	s_delay_alu instid0(VALU_DEP_2) | instskip(SKIP_1) | instid1(VALU_DEP_3)
	v_lshlrev_b64 v[4:5], 2, v[2:3]
	v_add_nc_u32_e32 v2, 0x80, v2
	v_div_fmas_f32 v6, v6, v7, v11
	v_cvt_f32_f16_e32 v7, v12
	s_delay_alu instid0(VALU_DEP_3) | instskip(SKIP_1) | instid1(VALU_DEP_4)
	v_lshlrev_b64 v[2:3], 2, v[2:3]
	v_add_co_u32 v10, vcc_lo, s28, v4
	v_div_fixup_f32 v6, v6, v36, 1.0
	v_add_co_ci_u32_e32 v11, vcc_lo, s29, v5, vcc_lo
	s_delay_alu instid0(VALU_DEP_4) | instskip(NEXT) | instid1(VALU_DEP_3)
	v_add_co_u32 v12, vcc_lo, s28, v2
	v_cndmask_b32_e64 v6, v6, 1.0, s1
	v_add_co_ci_u32_e32 v13, vcc_lo, s29, v3, vcc_lo
	s_delay_alu instid0(VALU_DEP_2)
	v_mul_f32_e32 v4, v6, v9
	v_mul_f32_e32 v5, v6, v0
	;; [unrolled: 1-line block ×8, first 2 shown]
	s_clause 0x1
	global_store_b128 v[10:11], v[2:5], off
	global_store_b128 v[12:13], v[6:9], off
	s_and_saveexec_b32 s1, s0
	s_cbranch_execz .LBB64_20
; %bb.19:
	v_ashrrev_i32_e32 v2, 31, v1
	s_delay_alu instid0(VALU_DEP_1) | instskip(NEXT) | instid1(VALU_DEP_1)
	v_lshlrev_b64 v[0:1], 3, v[1:2]
	v_add_co_u32 v0, vcc_lo, s30, v0
	s_delay_alu instid0(VALU_DEP_2)
	v_add_co_ci_u32_e32 v1, vcc_lo, s31, v1, vcc_lo
	global_store_b64 v[0:1], v[35:36], off
.LBB64_20:
	s_nop 0
	s_sendmsg sendmsg(MSG_DEALLOC_VGPRS)
	s_endpgm
	.section	.rodata,"a",@progbits
	.p2align	6, 0x0
	.amdhsa_kernel _ZL15flash_attn_tileILi256ELi256ELi1ELi4ELb1EEvPKcS1_S1_S1_S1_PKiPfP15HIP_vector_typeIfLj2EEffffjfiS5_IjLj3EEiiiiiiiiiiiliiliiiiil
		.amdhsa_group_segment_fixed_size 19200
		.amdhsa_private_segment_fixed_size 0
		.amdhsa_kernarg_size 464
		.amdhsa_user_sgpr_count 13
		.amdhsa_user_sgpr_dispatch_ptr 0
		.amdhsa_user_sgpr_queue_ptr 0
		.amdhsa_user_sgpr_kernarg_segment_ptr 1
		.amdhsa_user_sgpr_dispatch_id 0
		.amdhsa_user_sgpr_private_segment_size 0
		.amdhsa_wavefront_size32 1
		.amdhsa_uses_dynamic_stack 0
		.amdhsa_enable_private_segment 0
		.amdhsa_system_sgpr_workgroup_id_x 1
		.amdhsa_system_sgpr_workgroup_id_y 1
		.amdhsa_system_sgpr_workgroup_id_z 1
		.amdhsa_system_sgpr_workgroup_info 0
		.amdhsa_system_vgpr_workitem_id 1
		.amdhsa_next_free_vgpr 133
		.amdhsa_next_free_sgpr 42
		.amdhsa_reserve_vcc 1
		.amdhsa_float_round_mode_32 0
		.amdhsa_float_round_mode_16_64 0
		.amdhsa_float_denorm_mode_32 3
		.amdhsa_float_denorm_mode_16_64 3
		.amdhsa_dx10_clamp 1
		.amdhsa_ieee_mode 1
		.amdhsa_fp16_overflow 0
		.amdhsa_workgroup_processor_mode 1
		.amdhsa_memory_ordered 1
		.amdhsa_forward_progress 0
		.amdhsa_shared_vgpr_count 0
		.amdhsa_exception_fp_ieee_invalid_op 0
		.amdhsa_exception_fp_denorm_src 0
		.amdhsa_exception_fp_ieee_div_zero 0
		.amdhsa_exception_fp_ieee_overflow 0
		.amdhsa_exception_fp_ieee_underflow 0
		.amdhsa_exception_fp_ieee_inexact 0
		.amdhsa_exception_int_div_zero 0
	.end_amdhsa_kernel
	.section	.text._ZL15flash_attn_tileILi256ELi256ELi1ELi4ELb1EEvPKcS1_S1_S1_S1_PKiPfP15HIP_vector_typeIfLj2EEffffjfiS5_IjLj3EEiiiiiiiiiiiliiliiiiil,"axG",@progbits,_ZL15flash_attn_tileILi256ELi256ELi1ELi4ELb1EEvPKcS1_S1_S1_S1_PKiPfP15HIP_vector_typeIfLj2EEffffjfiS5_IjLj3EEiiiiiiiiiiiliiliiiiil,comdat
.Lfunc_end64:
	.size	_ZL15flash_attn_tileILi256ELi256ELi1ELi4ELb1EEvPKcS1_S1_S1_S1_PKiPfP15HIP_vector_typeIfLj2EEffffjfiS5_IjLj3EEiiiiiiiiiiiliiliiiiil, .Lfunc_end64-_ZL15flash_attn_tileILi256ELi256ELi1ELi4ELb1EEvPKcS1_S1_S1_S1_PKiPfP15HIP_vector_typeIfLj2EEffffjfiS5_IjLj3EEiiiiiiiiiiiliiliiiiil
                                        ; -- End function
	.section	.AMDGPU.csdata,"",@progbits
; Kernel info:
; codeLenInByte = 9204
; NumSgprs: 44
; NumVgprs: 133
; ScratchSize: 0
; MemoryBound: 0
; FloatMode: 240
; IeeeMode: 1
; LDSByteSize: 19200 bytes/workgroup (compile time only)
; SGPRBlocks: 5
; VGPRBlocks: 16
; NumSGPRsForWavesPerEU: 44
; NumVGPRsForWavesPerEU: 133
; Occupancy: 6
; WaveLimiterHint : 1
; COMPUTE_PGM_RSRC2:SCRATCH_EN: 0
; COMPUTE_PGM_RSRC2:USER_SGPR: 13
; COMPUTE_PGM_RSRC2:TRAP_HANDLER: 0
; COMPUTE_PGM_RSRC2:TGID_X_EN: 1
; COMPUTE_PGM_RSRC2:TGID_Y_EN: 1
; COMPUTE_PGM_RSRC2:TGID_Z_EN: 1
; COMPUTE_PGM_RSRC2:TIDIG_COMP_CNT: 1
	.section	.text._ZL15flash_attn_tileILi256ELi256ELi16ELi2ELb1EEvPKcS1_S1_S1_S1_PKiPfP15HIP_vector_typeIfLj2EEffffjfiS5_IjLj3EEiiiiiiiiiiiliiliiiiil,"axG",@progbits,_ZL15flash_attn_tileILi256ELi256ELi16ELi2ELb1EEvPKcS1_S1_S1_S1_PKiPfP15HIP_vector_typeIfLj2EEffffjfiS5_IjLj3EEiiiiiiiiiiiliiliiiiil,comdat
	.globl	_ZL15flash_attn_tileILi256ELi256ELi16ELi2ELb1EEvPKcS1_S1_S1_S1_PKiPfP15HIP_vector_typeIfLj2EEffffjfiS5_IjLj3EEiiiiiiiiiiiliiliiiiil ; -- Begin function _ZL15flash_attn_tileILi256ELi256ELi16ELi2ELb1EEvPKcS1_S1_S1_S1_PKiPfP15HIP_vector_typeIfLj2EEffffjfiS5_IjLj3EEiiiiiiiiiiiliiliiiiil
	.p2align	8
	.type	_ZL15flash_attn_tileILi256ELi256ELi16ELi2ELb1EEvPKcS1_S1_S1_S1_PKiPfP15HIP_vector_typeIfLj2EEffffjfiS5_IjLj3EEiiiiiiiiiiiliiliiiiil,@function
_ZL15flash_attn_tileILi256ELi256ELi16ELi2ELb1EEvPKcS1_S1_S1_S1_PKiPfP15HIP_vector_typeIfLj2EEffffjfiS5_IjLj3EEiiiiiiiiiiiliiliiiiil: ; @_ZL15flash_attn_tileILi256ELi256ELi16ELi2ELb1EEvPKcS1_S1_S1_S1_PKiPfP15HIP_vector_typeIfLj2EEffffjfiS5_IjLj3EEiiiiiiiiiiiliiliiiiil
; %bb.0:
	s_clause 0x3
	s_load_b128 s[4:7], s[0:1], 0x5c
	s_load_b64 s[34:35], s[0:1], 0x80
	s_load_b512 s[16:31], s[0:1], 0x0
	s_load_b64 s[38:39], s[0:1], 0xb8
	s_mov_b64 s[36:37], 0
	s_waitcnt lgkmcnt(0)
	s_lshr_b32 s2, s7, 31
	s_delay_alu instid0(SALU_CYCLE_1) | instskip(NEXT) | instid1(SALU_CYCLE_1)
	s_add_i32 s2, s7, s2
	s_ashr_i32 s2, s2, 1
	s_delay_alu instid0(SALU_CYCLE_1) | instskip(SKIP_1) | instid1(VALU_DEP_1)
	v_cvt_f32_u32_e32 v1, s2
	s_sub_i32 s8, 0, s2
	v_rcp_iflag_f32_e32 v1, v1
	s_waitcnt_depctr 0xfff
	v_mul_f32_e32 v1, 0x4f7ffffe, v1
	s_delay_alu instid0(VALU_DEP_1) | instskip(NEXT) | instid1(VALU_DEP_1)
	v_cvt_u32_f32_e32 v1, v1
	v_readfirstlane_b32 s3, v1
	s_delay_alu instid0(VALU_DEP_1) | instskip(NEXT) | instid1(SALU_CYCLE_1)
	s_mul_i32 s8, s8, s3
	s_mul_hi_u32 s8, s3, s8
	s_delay_alu instid0(SALU_CYCLE_1) | instskip(NEXT) | instid1(SALU_CYCLE_1)
	s_add_i32 s3, s3, s8
	s_mul_hi_u32 s3, s15, s3
	s_delay_alu instid0(SALU_CYCLE_1) | instskip(SKIP_2) | instid1(SALU_CYCLE_1)
	s_mul_i32 s8, s3, s2
	s_add_i32 s9, s3, 1
	s_sub_i32 s8, s15, s8
	s_sub_i32 s10, s8, s2
	s_cmp_ge_u32 s8, s2
	s_cselect_b32 s3, s9, s3
	s_cselect_b32 s8, s10, s8
	s_add_i32 s9, s3, 1
	s_cmp_ge_u32 s8, s2
	s_cselect_b32 s33, s9, s3
	s_abs_i32 s3, s35
	s_abs_i32 s11, s7
	v_cvt_f32_u32_e32 v1, s3
	s_sub_i32 s8, 0, s3
	s_lshl_b32 s9, s15, 1
	s_mul_i32 s10, s33, s7
	s_delay_alu instid0(VALU_DEP_1) | instskip(SKIP_2) | instid1(VALU_DEP_1)
	v_rcp_iflag_f32_e32 v1, v1
	s_waitcnt_depctr 0xfff
	v_mul_f32_e32 v1, 0x4f7ffffe, v1
	v_cvt_u32_f32_e32 v1, v1
	s_delay_alu instid0(VALU_DEP_1) | instskip(NEXT) | instid1(VALU_DEP_1)
	v_readfirstlane_b32 s2, v1
	s_mul_i32 s8, s8, s2
	s_delay_alu instid0(SALU_CYCLE_1) | instskip(NEXT) | instid1(SALU_CYCLE_1)
	s_mul_hi_u32 s8, s2, s8
	s_add_i32 s8, s2, s8
	s_sub_i32 s2, s9, s10
	s_mul_hi_u32 s8, s11, s8
	s_xor_b32 s9, s7, s35
	s_mul_i32 s10, s8, s3
	s_ashr_i32 s9, s9, 31
	s_sub_i32 s10, s11, s10
	s_add_i32 s11, s8, 1
	s_sub_i32 s12, s10, s3
	s_cmp_ge_u32 s10, s3
	s_cselect_b32 s8, s11, s8
	s_cselect_b32 s10, s12, s10
	s_add_i32 s11, s8, 1
	s_cmp_ge_u32 s10, s3
	s_cselect_b32 s3, s11, s8
	s_delay_alu instid0(SALU_CYCLE_1) | instskip(NEXT) | instid1(SALU_CYCLE_1)
	s_xor_b32 s3, s3, s9
	s_sub_i32 s40, s3, s9
	s_delay_alu instid0(SALU_CYCLE_1) | instskip(SKIP_2) | instid1(VALU_DEP_1)
	s_abs_i32 s35, s40
	s_cmp_eq_u64 s[22:23], 0
	v_cvt_f32_u32_e32 v1, s35
	v_rcp_iflag_f32_e32 v1, v1
	s_waitcnt_depctr 0xfff
	v_mul_f32_e32 v1, 0x4f7ffffe, v1
	s_delay_alu instid0(VALU_DEP_1) | instskip(NEXT) | instid1(VALU_DEP_1)
	v_cvt_u32_f32_e32 v1, v1
	v_readfirstlane_b32 s41, v1
	s_cbranch_scc1 .LBB65_2
; %bb.1:
	s_abs_i32 s3, s38
	s_abs_i32 s10, s33
	v_cvt_f32_u32_e32 v1, s3
	s_sub_i32 s9, 0, s3
	s_delay_alu instid0(VALU_DEP_1) | instskip(SKIP_2) | instid1(VALU_DEP_1)
	v_rcp_iflag_f32_e32 v1, v1
	s_waitcnt_depctr 0xfff
	v_mul_f32_e32 v1, 0x4f7ffffe, v1
	v_cvt_u32_f32_e32 v1, v1
	s_delay_alu instid0(VALU_DEP_1) | instskip(NEXT) | instid1(VALU_DEP_1)
	v_readfirstlane_b32 s8, v1
	s_mul_i32 s9, s9, s8
	s_delay_alu instid0(SALU_CYCLE_1) | instskip(NEXT) | instid1(SALU_CYCLE_1)
	s_mul_hi_u32 s9, s8, s9
	s_add_i32 s11, s8, s9
	s_load_b64 s[8:9], s[0:1], 0xc8
	s_mul_hi_u32 s11, s10, s11
	s_delay_alu instid0(SALU_CYCLE_1) | instskip(NEXT) | instid1(SALU_CYCLE_1)
	s_mul_i32 s11, s11, s3
	s_sub_i32 s10, s10, s11
	s_ashr_i32 s11, s33, 31
	s_sub_i32 s12, s10, s3
	s_cmp_ge_u32 s10, s3
	s_cselect_b32 s10, s12, s10
	s_delay_alu instid0(SALU_CYCLE_1) | instskip(SKIP_2) | instid1(SALU_CYCLE_1)
	s_sub_i32 s12, s10, s3
	s_cmp_ge_u32 s10, s3
	s_cselect_b32 s3, s12, s10
	s_xor_b32 s3, s3, s11
	s_delay_alu instid0(SALU_CYCLE_1)
	s_sub_i32 s3, s3, s11
	s_waitcnt lgkmcnt(0)
	s_mul_i32 s9, s3, s9
	s_mul_hi_u32 s10, s3, s8
	s_ashr_i32 s11, s3, 31
	s_add_i32 s9, s10, s9
	s_mul_i32 s11, s11, s8
	s_mul_i32 s3, s3, s8
	s_add_i32 s9, s9, s11
	s_add_u32 s36, s22, s3
	s_addc_u32 s37, s23, s9
.LBB65_2:
	v_bfe_u32 v4, v0, 10, 10
	s_lshl_b32 s15, s13, 4
	s_load_b128 s[8:11], s[0:1], 0x70
	v_and_b32_e32 v35, 0x3ff, v0
	s_delay_alu instid0(VALU_DEP_2) | instskip(NEXT) | instid1(VALU_DEP_2)
	v_lshlrev_b32_e32 v1, 2, v4
	v_lshlrev_b32_e32 v25, 4, v35
	v_lshlrev_b32_e32 v44, 1, v35
	s_delay_alu instid0(VALU_DEP_3) | instskip(SKIP_1) | instid1(VALU_DEP_2)
	v_or_b32_e32 v31, 3, v1
	v_or_b32_e32 v27, 2, v1
	v_lshrrev_b32_e32 v28, 1, v31
	s_delay_alu instid0(VALU_DEP_2) | instskip(SKIP_2) | instid1(VALU_DEP_4)
	v_lshrrev_b32_e32 v30, 1, v27
	v_lshlrev_b32_e32 v27, 7, v27
	v_lshlrev_b32_e32 v31, 7, v31
	v_add_nc_u32_e32 v29, s15, v28
	s_delay_alu instid0(VALU_DEP_4)
	v_add_nc_u32_e32 v32, s15, v30
	s_waitcnt lgkmcnt(0)
	s_mul_i32 s3, s33, s10
	s_mul_i32 s10, s2, s9
	s_ashr_i32 s11, s3, 31
	v_mul_hi_u32 v3, v29, s4
	v_mul_hi_u32 v2, v32, s4
	s_add_u32 s3, s16, s3
	s_addc_u32 s11, s17, s11
	s_ashr_i32 s12, s10, 31
	s_add_u32 s3, s3, s10
	s_addc_u32 s10, s11, s12
	s_ashr_i32 s11, s8, 31
	v_add_nc_u32_e32 v3, v29, v3
	v_add_nc_u32_e32 v2, v32, v2
	v_alignbit_b32 v10, s11, s8, 2
	s_lshr_b32 s8, s11, 2
	v_add_lshl_u32 v27, v27, v44, 2
	v_lshrrev_b32_e32 v3, s5, v3
	v_lshrrev_b32_e32 v2, s5, v2
	v_add_lshl_u32 v31, v31, v44, 2
	s_delay_alu instid0(VALU_DEP_4) | instskip(NEXT) | instid1(VALU_DEP_4)
	v_add_nc_u32_e32 v27, 0x4000, v27
	v_mul_lo_u32 v3, v3, s6
	s_delay_alu instid0(VALU_DEP_4) | instskip(NEXT) | instid1(VALU_DEP_4)
	v_mul_lo_u32 v6, v2, s6
	v_add_nc_u32_e32 v31, 0x4000, v31
	s_delay_alu instid0(VALU_DEP_3) | instskip(NEXT) | instid1(VALU_DEP_3)
	v_sub_nc_u32_e32 v13, v29, v3
	v_sub_nc_u32_e32 v12, v32, v6
	s_delay_alu instid0(VALU_DEP_2) | instskip(SKIP_1) | instid1(VALU_DEP_3)
	v_mad_u64_u32 v[8:9], null, v10, v13, 0
	v_lshlrev_b32_e32 v33, 1, v4
	v_mad_u64_u32 v[6:7], null, v10, v12, 0
	s_delay_alu instid0(VALU_DEP_3) | instskip(NEXT) | instid1(VALU_DEP_3)
	v_mov_b32_e32 v0, v9
	v_add_nc_u32_e32 v34, s15, v33
	s_delay_alu instid0(VALU_DEP_1) | instskip(NEXT) | instid1(VALU_DEP_1)
	v_mul_hi_u32 v1, v34, s4
	v_add_nc_u32_e32 v1, v34, v1
	s_delay_alu instid0(VALU_DEP_1) | instskip(NEXT) | instid1(VALU_DEP_1)
	v_lshrrev_b32_e32 v1, s5, v1
	v_mul_lo_u32 v1, v1, s6
	s_delay_alu instid0(VALU_DEP_1) | instskip(NEXT) | instid1(VALU_DEP_1)
	v_sub_nc_u32_e32 v5, v34, v1
	v_mad_u64_u32 v[1:2], null, v10, v5, 0
	s_delay_alu instid0(VALU_DEP_1) | instskip(NEXT) | instid1(VALU_DEP_1)
	v_mad_u64_u32 v[10:11], null, s8, v5, v[2:3]
	v_dual_mov_b32 v3, v7 :: v_dual_mov_b32 v2, v10
	s_delay_alu instid0(VALU_DEP_1) | instskip(NEXT) | instid1(VALU_DEP_4)
	v_mad_u64_u32 v[9:10], null, s8, v12, v[3:4]
	v_mad_u64_u32 v[10:11], null, s8, v13, v[0:1]
	s_delay_alu instid0(VALU_DEP_3) | instskip(SKIP_2) | instid1(SALU_CYCLE_1)
	v_lshlrev_b64 v[0:1], 2, v[1:2]
	s_ashr_i32 s8, s9, 31
	s_and_b32 s9, s9, -4
	s_add_u32 s9, s3, s9
	s_delay_alu instid0(VALU_DEP_3) | instskip(NEXT) | instid1(VALU_DEP_2)
	v_mov_b32_e32 v7, v9
	v_add_co_u32 v2, vcc_lo, s3, v0
	v_add_co_ci_u32_e32 v3, vcc_lo, s10, v1, vcc_lo
	s_addc_u32 s8, s10, s8
	v_add_co_u32 v0, vcc_lo, s9, v0
	v_mov_b32_e32 v9, v10
	v_add_co_ci_u32_e32 v1, vcc_lo, s8, v1, vcc_lo
	v_add_co_u32 v10, vcc_lo, v2, v25
	v_lshlrev_b64 v[19:20], 2, v[6:7]
	v_add_co_ci_u32_e32 v11, vcc_lo, 0, v3, vcc_lo
	v_add_co_u32 v15, vcc_lo, v0, v25
	v_lshlrev_b64 v[21:22], 2, v[8:9]
	v_add_co_ci_u32_e32 v16, vcc_lo, 0, v1, vcc_lo
	v_add_co_u32 v6, vcc_lo, s3, v19
	v_add_co_ci_u32_e32 v19, vcc_lo, s10, v20, vcc_lo
	s_delay_alu instid0(VALU_DEP_4) | instskip(SKIP_1) | instid1(VALU_DEP_4)
	v_add_co_u32 v20, vcc_lo, s9, v21
	v_add_co_ci_u32_e32 v21, vcc_lo, s8, v22, vcc_lo
	v_add_co_u32 v23, vcc_lo, v6, v25
	s_delay_alu instid0(VALU_DEP_4) | instskip(NEXT) | instid1(VALU_DEP_4)
	v_add_co_ci_u32_e32 v24, vcc_lo, 0, v19, vcc_lo
	v_add_co_u32 v40, vcc_lo, v20, v25
	s_clause 0x3
	global_load_b128 v[0:3], v[10:11], off
	global_load_b128 v[7:10], v[10:11], off offset:512
	global_load_b128 v[11:14], v[15:16], off
	global_load_b128 v[15:18], v[15:16], off offset:512
	v_add_co_ci_u32_e32 v41, vcc_lo, 0, v21, vcc_lo
	s_clause 0x3
	global_load_b128 v[19:22], v[23:24], off
	global_load_b128 v[23:26], v[23:24], off offset:512
	global_load_b128 v[36:39], v[40:41], off
	global_load_b128 v[40:43], v[40:41], off offset:512
	s_load_b32 s3, s[0:1], 0x40
	v_lshlrev_b32_e32 v6, 9, v4
	s_cmp_eq_u64 s[26:27], 0
	s_delay_alu instid0(VALU_DEP_1) | instskip(NEXT) | instid1(VALU_DEP_1)
	v_or_b32_e32 v45, v6, v44
	v_lshlrev_b32_e32 v45, 2, v45
	s_delay_alu instid0(VALU_DEP_1)
	v_add_nc_u32_e32 v52, 0x4000, v45
	s_waitcnt vmcnt(7) lgkmcnt(0)
	v_fma_mixlo_f16 v44, v0, s3, 0
	v_fma_mixlo_f16 v45, v2, s3, 0
	s_waitcnt vmcnt(6)
	v_fma_mixlo_f16 v46, v7, s3, 0
	v_fma_mixlo_f16 v47, v9, s3, 0
	s_waitcnt vmcnt(5)
	;; [unrolled: 3-line block ×3, first 2 shown]
	v_fma_mixlo_f16 v50, v15, s3, 0
	v_fma_mixlo_f16 v51, v17, s3, 0
	v_fma_mixhi_f16 v45, v3, s3, 0
	v_fma_mixhi_f16 v44, v1, s3, 0
	s_waitcnt vmcnt(3)
	v_fma_mixlo_f16 v0, v19, s3, 0
	v_fma_mixlo_f16 v1, v21, s3, 0
	s_waitcnt vmcnt(2)
	v_fma_mixlo_f16 v2, v23, s3, 0
	v_fma_mixlo_f16 v3, v25, s3, 0
	v_fma_mixhi_f16 v47, v10, s3, 0
	v_fma_mixhi_f16 v46, v8, s3, 0
	s_waitcnt vmcnt(1)
	v_fma_mixlo_f16 v7, v36, s3, 0
	v_fma_mixlo_f16 v8, v38, s3, 0
	s_waitcnt vmcnt(0)
	v_fma_mixlo_f16 v9, v40, s3, 0
	v_fma_mixlo_f16 v10, v42, s3, 0
	v_fma_mixhi_f16 v49, v14, s3, 0
	v_fma_mixhi_f16 v48, v12, s3, 0
	;; [unrolled: 1-line block ×12, first 2 shown]
	ds_store_2addr_b64 v52, v[44:45], v[46:47] offset0:128 offset1:160
	ds_store_2addr_b64 v52, v[48:49], v[50:51] offset0:192 offset1:224
	;; [unrolled: 1-line block ×4, first 2 shown]
	s_waitcnt lgkmcnt(0)
	s_barrier
	buffer_gl0_inv
	s_cbranch_scc1 .LBB65_4
; %bb.3:
	s_load_b32 s3, s[0:1], 0xd0
	s_mov_b32 s9, 0
	s_waitcnt lgkmcnt(0)
	s_mul_i32 s3, s3, s33
	s_delay_alu instid0(SALU_CYCLE_1) | instskip(NEXT) | instid1(SALU_CYCLE_1)
	s_add_i32 s8, s3, s13
	s_lshl_b64 s[8:9], s[8:9], 2
	s_delay_alu instid0(SALU_CYCLE_1)
	s_add_u32 s8, s26, s8
	s_addc_u32 s9, s27, s9
	s_load_b32 s34, s[8:9], 0x0
.LBB65_4:
	v_lshlrev_b32_e32 v31, 2, v35
	v_mbcnt_lo_u32_b32 v36, -1, 0
	s_lshl_b32 s3, s14, 6
	s_waitcnt lgkmcnt(0)
	s_cmp_lt_i32 s3, s34
	s_cbranch_scc1 .LBB65_6
; %bb.5:
	v_mbcnt_lo_u32_b32 v7, -1, 0
	v_mov_b32_e32 v37, 32
	s_mov_b32 s8, 0
	s_mov_b32 s9, 0xfeffffff
	s_delay_alu instid0(VALU_DEP_2)
	v_xor_b32_e32 v84, 16, v7
	v_xor_b32_e32 v83, 8, v7
	;; [unrolled: 1-line block ×5, first 2 shown]
	s_branch .LBB65_7
.LBB65_6:
	s_mov_b32 s8, -1
                                        ; implicit-def: $sgpr9
                                        ; implicit-def: $vgpr7
                                        ; implicit-def: $vgpr37
                                        ; implicit-def: $vgpr84
                                        ; implicit-def: $vgpr83
                                        ; implicit-def: $vgpr82
                                        ; implicit-def: $vgpr81
                                        ; implicit-def: $vgpr80
.LBB65_7:
	s_delay_alu instid0(SALU_CYCLE_1) | instskip(SKIP_3) | instid1(VALU_DEP_4)
	v_cndmask_b32_e64 v0, 0, 1, s8
	v_dual_mov_b32 v3, s9 :: v_dual_mov_b32 v2, s9
	v_mov_b32_e32 v77, s8
	v_dual_mov_b32 v65, s8 :: v_dual_mov_b32 v76, s8
	v_cmp_ne_u32_e32 vcc_lo, 1, v0
	v_dual_mov_b32 v1, s9 :: v_dual_mov_b32 v74, s8
	v_dual_mov_b32 v0, s9 :: v_dual_mov_b32 v75, s8
	;; [unrolled: 1-line block ×5, first 2 shown]
	v_mov_b32_e32 v64, s8
	v_dual_mov_b32 v58, s8 :: v_dual_mov_b32 v61, s8
	v_dual_mov_b32 v59, s8 :: v_dual_mov_b32 v60, s8
	;; [unrolled: 1-line block ×4, first 2 shown]
	s_cbranch_vccnz .LBB65_44
; %bb.8:
	s_clause 0x1
	s_load_b128 s[8:11], s[0:1], 0x98
	s_load_b64 s[12:13], s[0:1], 0x8c
	s_sub_i32 s16, 0, s35
	s_abs_i32 s22, s2
	s_mul_i32 s16, s16, s41
	s_ashr_i32 s27, s39, 1
	s_mul_hi_u32 s16, s41, s16
	s_ashr_i32 s39, s33, 31
	s_add_i32 s41, s41, s16
	s_ashr_i32 s23, s2, 31
	s_mul_hi_u32 s38, s22, s41
	s_ashr_i32 s26, s40, 31
	s_load_b64 s[16:17], s[0:1], 0xa8
	s_mul_i32 s40, s38, s35
	v_add3_u32 v11, s15, v33, 1
	v_lshrrev_b32_e32 v0, 4, v35
	v_mov_b32_e32 v54, 0
	v_dual_mov_b32 v71, 0xfeffffff :: v_dual_and_b32 v14, 60, v31
	s_delay_alu instid0(VALU_DEP_4)
	v_mul_hi_u32 v3, s4, v11
	s_waitcnt lgkmcnt(0)
	s_mul_i32 s9, s33, s9
	s_mul_hi_u32 s41, s33, s8
	s_mul_i32 s42, s39, s8
	s_add_i32 s9, s41, s9
	s_mul_i32 s8, s33, s8
	s_ashr_i32 s10, s10, 2
	s_ashr_i32 s12, s12, 2
	s_add_i32 s9, s9, s42
	s_add_u32 s8, s18, s8
	s_addc_u32 s9, s19, s9
	s_sub_i32 s19, s22, s40
	s_xor_b32 s18, s23, s26
	s_add_i32 s22, s38, 1
	s_sub_i32 s23, s19, s35
	s_cmp_ge_u32 s19, s35
	v_add_nc_u32_e32 v1, v0, v33
	s_cselect_b32 s22, s22, s38
	s_cselect_b32 s19, s23, s19
	s_add_i32 s23, s22, 1
	s_cmp_ge_u32 s19, s35
	s_mul_i32 s17, s33, s17
	s_cselect_b32 s19, s23, s22
	s_mul_i32 s39, s39, s16
	s_xor_b32 s19, s19, s18
	v_mul_lo_u32 v0, s12, v1
	s_sub_i32 s18, s19, s18
	s_mul_hi_u32 s19, s33, s16
	s_mul_i32 s13, s18, s13
	s_mul_i32 s16, s33, s16
	s_ashr_i32 s22, s13, 31
	s_add_u32 s8, s8, s13
	s_addc_u32 s9, s9, s22
	s_add_i32 s13, s19, s17
	s_mul_i32 s18, s18, s11
	s_add_i32 s13, s13, s39
	v_dual_mov_b32 v60, 0 :: v_dual_add_nc_u32 v3, v11, v3
	s_add_u32 s16, s20, s16
	s_addc_u32 s13, s21, s13
	s_ashr_i32 s4, s18, 31
	s_add_u32 s11, s16, s18
	s_addc_u32 s13, s13, s4
	s_lshl_b32 s4, s12, 4
	v_lshrrev_b32_e32 v8, s5, v3
	v_dual_mov_b32 v56, 0 :: v_dual_lshlrev_b32 v7, 2, v14
	v_dual_mov_b32 v37, 32 :: v_dual_add_nc_u32 v2, s4, v0
	s_delay_alu instid0(VALU_DEP_3) | instskip(SKIP_1) | instid1(VALU_DEP_4)
	v_mul_lo_u32 v12, v8, s6
	v_mul_lo_u32 v20, s10, v4
	v_mad_u32_u24 v38, 0x110, v1, v7
	s_delay_alu instid0(VALU_DEP_4) | instskip(SKIP_2) | instid1(VALU_DEP_3)
	v_dual_mov_b32 v58, 0 :: v_dual_add_nc_u32 v7, s4, v2
	v_dual_mov_b32 v57, 0 :: v_dual_lshlrev_b32 v44, 2, v31
	v_lshl_add_u32 v43, v4, 11, 0x4400
	v_dual_mov_b32 v66, 0 :: v_dual_add_nc_u32 v9, s4, v7
	s_lshl_b32 s4, s10, 3
	v_sub_nc_u32_e32 v11, v11, v12
	v_dual_mov_b32 v59, 0 :: v_dual_add_nc_u32 v22, s4, v20
	s_load_b32 s16, s[0:1], 0x54
	v_mov_b32_e32 v61, 0
	s_delay_alu instid0(VALU_DEP_3)
	v_mul_lo_u32 v46, v11, s27
	v_lshl_add_u32 v11, v4, 9, v44
	v_add_nc_u32_e32 v4, s4, v22
	v_ashrrev_i32_e32 v1, 31, v0
	v_ashrrev_i32_e32 v3, 31, v2
	;; [unrolled: 1-line block ×4, first 2 shown]
	v_dual_mov_b32 v69, 0 :: v_dual_add_nc_u32 v26, s4, v4
	v_mul_lo_u32 v45, v5, s27
	v_ashrrev_i32_e32 v21, 31, v20
	v_ashrrev_i32_e32 v23, 31, v22
	;; [unrolled: 1-line block ×4, first 2 shown]
	v_lshlrev_b64 v[12:13], 2, v[0:1]
	v_dual_mov_b32 v70, 0xfeffffff :: v_dual_lshlrev_b32 v53, 2, v14
	v_lshlrev_b64 v[14:15], 2, v[2:3]
	v_lshlrev_b64 v[16:17], 2, v[7:8]
	;; [unrolled: 1-line block ×7, first 2 shown]
	v_dual_mov_b32 v64, 0 :: v_dual_add_nc_u32 v39, 0x1100, v38
	v_dual_mov_b32 v55, 0 :: v_dual_add_nc_u32 v40, 0x2200, v38
	v_dual_mov_b32 v62, 0 :: v_dual_add_nc_u32 v41, 0x3300, v38
	v_mul_u32_u24_e32 v42, 0x110, v35
	v_dual_mov_b32 v68, 0 :: v_dual_add_nc_u32 v47, 0x8400, v6
	v_dual_mov_b32 v63, 0 :: v_dual_lshlrev_b32 v48, 3, v35
	v_dual_mov_b32 v72, 0xfeffffff :: v_dual_add_nc_u32 v49, v6, v44
	v_dual_mov_b32 v67, 0 :: v_dual_add_nc_u32 v50, 0x1000, v11
	;; [unrolled: 1-line block ×4, first 2 shown]
	v_dual_mov_b32 v73, 0xfeffffff :: v_dual_mov_b32 v8, 0
	v_mov_b32_e32 v11, 0
	v_mov_b32_e32 v9, 0
	s_add_u32 s4, s0, 0xd0
	s_addc_u32 s5, s1, 0
	s_mov_b32 s17, 0xbbbac73d
.LBB65_9:                               ; =>This Inner Loop Header: Depth=1
	s_mul_hi_i32 s19, s3, s12
	s_mul_i32 s18, s3, s12
	s_delay_alu instid0(SALU_CYCLE_1) | instskip(NEXT) | instid1(SALU_CYCLE_1)
	s_lshl_b64 s[18:19], s[18:19], 2
	s_add_u32 s18, s8, s18
	s_addc_u32 s19, s9, s19
	v_add_co_u32 v0, vcc_lo, s18, v12
	v_add_co_ci_u32_e32 v1, vcc_lo, s19, v13, vcc_lo
	v_add_co_u32 v2, vcc_lo, s18, v14
	v_add_co_ci_u32_e32 v3, vcc_lo, s19, v15, vcc_lo
	s_delay_alu instid0(VALU_DEP_4) | instskip(NEXT) | instid1(VALU_DEP_4)
	v_add_co_u32 v0, vcc_lo, v0, v53
	v_add_co_ci_u32_e32 v1, vcc_lo, 0, v1, vcc_lo
	s_delay_alu instid0(VALU_DEP_4) | instskip(NEXT) | instid1(VALU_DEP_4)
	v_add_co_u32 v2, vcc_lo, v2, v53
	v_add_co_ci_u32_e32 v3, vcc_lo, 0, v3, vcc_lo
	v_add_co_u32 v4, vcc_lo, s18, v16
	v_add_co_ci_u32_e32 v5, vcc_lo, s19, v17, vcc_lo
	;; [unrolled: 2-line block ×3, first 2 shown]
	s_delay_alu instid0(VALU_DEP_4) | instskip(NEXT) | instid1(VALU_DEP_4)
	v_add_co_u32 v4, vcc_lo, v4, v53
	v_add_co_ci_u32_e32 v5, vcc_lo, 0, v5, vcc_lo
	s_delay_alu instid0(VALU_DEP_4) | instskip(NEXT) | instid1(VALU_DEP_4)
	v_add_co_u32 v6, vcc_lo, v6, v53
	v_add_co_ci_u32_e32 v7, vcc_lo, 0, v7, vcc_lo
	s_clause 0x3
	global_load_b128 v[74:77], v[0:1], off
	global_load_b128 v[78:81], v[2:3], off
	;; [unrolled: 1-line block ×4, first 2 shown]
	s_waitcnt vmcnt(3)
	ds_store_b128 v38, v[74:77]
	s_waitcnt vmcnt(2)
	ds_store_b128 v39, v[78:81]
	;; [unrolled: 2-line block ×4, first 2 shown]
	s_waitcnt lgkmcnt(0)
	s_barrier
	buffer_gl0_inv
	ds_load_b128 v[82:85], v42
	ds_load_b128 v[86:89], v43
	ds_load_b128 v[90:93], v43 offset:512
	ds_load_b128 v[94:97], v43 offset:1024
	v_dual_mov_b32 v80, 0 :: v_dual_mov_b32 v81, 0
	ds_load_b128 v[98:101], v43 offset:1536
	ds_load_b128 v[102:105], v42 offset:8704
	v_dual_mov_b32 v78, 0 :: v_dual_mov_b32 v79, 0
	s_waitcnt lgkmcnt(4)
	;;#ASMSTART
	v_dot2_f32_f16 v80, v82, v86, v80
	;;#ASMEND
	;;#ASMSTART
	v_dot2_f32_f16 v80, v83, v87, v80
	;;#ASMEND
	;;#ASMSTART
	v_dot2_f32_f16 v80, v84, v88, v80
	;;#ASMEND
	;;#ASMSTART
	v_dot2_f32_f16 v80, v85, v89, v80
	;;#ASMEND
	s_waitcnt lgkmcnt(3)
	;;#ASMSTART
	v_dot2_f32_f16 v78, v82, v90, v78
	;;#ASMEND
	;;#ASMSTART
	v_dot2_f32_f16 v78, v83, v91, v78
	;;#ASMEND
	v_dual_mov_b32 v76, 0 :: v_dual_mov_b32 v77, 0
	;;#ASMSTART
	v_dot2_f32_f16 v78, v84, v92, v78
	;;#ASMEND
	;;#ASMSTART
	v_dot2_f32_f16 v78, v85, v93, v78
	;;#ASMEND
	s_waitcnt lgkmcnt(2)
	;;#ASMSTART
	v_dot2_f32_f16 v76, v82, v94, v76
	;;#ASMEND
	;;#ASMSTART
	v_dot2_f32_f16 v76, v83, v95, v76
	;;#ASMEND
	v_dual_mov_b32 v74, 0 :: v_dual_mov_b32 v75, 0
	;;#ASMSTART
	v_dot2_f32_f16 v76, v84, v96, v76
	;;#ASMEND
	;;#ASMSTART
	v_dot2_f32_f16 v76, v85, v97, v76
	;;#ASMEND
	s_waitcnt lgkmcnt(1)
	;;#ASMSTART
	v_dot2_f32_f16 v74, v82, v98, v74
	;;#ASMEND
	;;#ASMSTART
	v_dot2_f32_f16 v74, v83, v99, v74
	;;#ASMEND
	;; [unrolled: 3-line block ×4, first 2 shown]
	s_waitcnt lgkmcnt(0)
	;;#ASMSTART
	v_dot2_f32_f16 v81, v102, v86, v81
	;;#ASMEND
	;;#ASMSTART
	v_dot2_f32_f16 v81, v103, v87, v81
	;;#ASMEND
	;; [unrolled: 3-line block ×16, first 2 shown]
	ds_load_b128 v[82:85], v42 offset:16
	ds_load_b128 v[86:89], v43 offset:16
	;; [unrolled: 1-line block ×6, first 2 shown]
	s_waitcnt lgkmcnt(4)
	;;#ASMSTART
	v_dot2_f32_f16 v80, v82, v86, v80
	;;#ASMEND
	;;#ASMSTART
	v_dot2_f32_f16 v80, v83, v87, v80
	;;#ASMEND
	;;#ASMSTART
	v_dot2_f32_f16 v80, v84, v88, v80
	;;#ASMEND
	;;#ASMSTART
	v_dot2_f32_f16 v80, v85, v89, v80
	;;#ASMEND
	s_waitcnt lgkmcnt(3)
	;;#ASMSTART
	v_dot2_f32_f16 v78, v82, v90, v78
	;;#ASMEND
	;;#ASMSTART
	v_dot2_f32_f16 v78, v83, v91, v78
	;;#ASMEND
	;;#ASMSTART
	v_dot2_f32_f16 v78, v84, v92, v78
	;;#ASMEND
	;;#ASMSTART
	v_dot2_f32_f16 v78, v85, v93, v78
	;;#ASMEND
	;; [unrolled: 13-line block ×5, first 2 shown]
	;;#ASMSTART
	v_dot2_f32_f16 v79, v102, v90, v79
	;;#ASMEND
	;;#ASMSTART
	v_dot2_f32_f16 v79, v103, v91, v79
	;;#ASMEND
	;; [unrolled: 3-line block ×12, first 2 shown]
	ds_load_b128 v[82:85], v42 offset:32
	ds_load_b128 v[86:89], v43 offset:32
	;; [unrolled: 1-line block ×6, first 2 shown]
	s_waitcnt lgkmcnt(4)
	;;#ASMSTART
	v_dot2_f32_f16 v80, v82, v86, v80
	;;#ASMEND
	;;#ASMSTART
	v_dot2_f32_f16 v80, v83, v87, v80
	;;#ASMEND
	;;#ASMSTART
	v_dot2_f32_f16 v80, v84, v88, v80
	;;#ASMEND
	;;#ASMSTART
	v_dot2_f32_f16 v80, v85, v89, v80
	;;#ASMEND
	s_waitcnt lgkmcnt(3)
	;;#ASMSTART
	v_dot2_f32_f16 v78, v82, v90, v78
	;;#ASMEND
	;;#ASMSTART
	v_dot2_f32_f16 v78, v83, v91, v78
	;;#ASMEND
	;;#ASMSTART
	v_dot2_f32_f16 v78, v84, v92, v78
	;;#ASMEND
	;;#ASMSTART
	v_dot2_f32_f16 v78, v85, v93, v78
	;;#ASMEND
	;; [unrolled: 13-line block ×5, first 2 shown]
	;;#ASMSTART
	v_dot2_f32_f16 v79, v102, v90, v79
	;;#ASMEND
	;;#ASMSTART
	v_dot2_f32_f16 v79, v103, v91, v79
	;;#ASMEND
	;; [unrolled: 3-line block ×12, first 2 shown]
	ds_load_b128 v[82:85], v42 offset:48
	ds_load_b128 v[86:89], v43 offset:48
	;; [unrolled: 1-line block ×6, first 2 shown]
	s_waitcnt lgkmcnt(4)
	;;#ASMSTART
	v_dot2_f32_f16 v80, v82, v86, v80
	;;#ASMEND
	;;#ASMSTART
	v_dot2_f32_f16 v80, v83, v87, v80
	;;#ASMEND
	;;#ASMSTART
	v_dot2_f32_f16 v80, v84, v88, v80
	;;#ASMEND
	;;#ASMSTART
	v_dot2_f32_f16 v80, v85, v89, v80
	;;#ASMEND
	s_waitcnt lgkmcnt(3)
	;;#ASMSTART
	v_dot2_f32_f16 v78, v82, v90, v78
	;;#ASMEND
	;;#ASMSTART
	v_dot2_f32_f16 v78, v83, v91, v78
	;;#ASMEND
	;;#ASMSTART
	v_dot2_f32_f16 v78, v84, v92, v78
	;;#ASMEND
	;;#ASMSTART
	v_dot2_f32_f16 v78, v85, v93, v78
	;;#ASMEND
	;; [unrolled: 13-line block ×5, first 2 shown]
	;;#ASMSTART
	v_dot2_f32_f16 v79, v102, v90, v79
	;;#ASMEND
	;;#ASMSTART
	v_dot2_f32_f16 v79, v103, v91, v79
	;;#ASMEND
	;; [unrolled: 3-line block ×12, first 2 shown]
	ds_load_b128 v[82:85], v42 offset:64
	ds_load_b128 v[86:89], v43 offset:64
	;; [unrolled: 1-line block ×6, first 2 shown]
	s_waitcnt lgkmcnt(4)
	;;#ASMSTART
	v_dot2_f32_f16 v80, v82, v86, v80
	;;#ASMEND
	;;#ASMSTART
	v_dot2_f32_f16 v80, v83, v87, v80
	;;#ASMEND
	;;#ASMSTART
	v_dot2_f32_f16 v80, v84, v88, v80
	;;#ASMEND
	;;#ASMSTART
	v_dot2_f32_f16 v80, v85, v89, v80
	;;#ASMEND
	s_waitcnt lgkmcnt(3)
	;;#ASMSTART
	v_dot2_f32_f16 v78, v82, v90, v78
	;;#ASMEND
	;;#ASMSTART
	v_dot2_f32_f16 v78, v83, v91, v78
	;;#ASMEND
	;;#ASMSTART
	v_dot2_f32_f16 v78, v84, v92, v78
	;;#ASMEND
	;;#ASMSTART
	v_dot2_f32_f16 v78, v85, v93, v78
	;;#ASMEND
	;; [unrolled: 13-line block ×5, first 2 shown]
	;;#ASMSTART
	v_dot2_f32_f16 v79, v102, v90, v79
	;;#ASMEND
	;;#ASMSTART
	v_dot2_f32_f16 v79, v103, v91, v79
	;;#ASMEND
	;; [unrolled: 3-line block ×12, first 2 shown]
	ds_load_b128 v[82:85], v42 offset:80
	ds_load_b128 v[86:89], v43 offset:80
	;; [unrolled: 1-line block ×6, first 2 shown]
	s_waitcnt lgkmcnt(4)
	;;#ASMSTART
	v_dot2_f32_f16 v80, v82, v86, v80
	;;#ASMEND
	;;#ASMSTART
	v_dot2_f32_f16 v80, v83, v87, v80
	;;#ASMEND
	;;#ASMSTART
	v_dot2_f32_f16 v80, v84, v88, v80
	;;#ASMEND
	;;#ASMSTART
	v_dot2_f32_f16 v80, v85, v89, v80
	;;#ASMEND
	s_waitcnt lgkmcnt(3)
	;;#ASMSTART
	v_dot2_f32_f16 v78, v82, v90, v78
	;;#ASMEND
	;;#ASMSTART
	v_dot2_f32_f16 v78, v83, v91, v78
	;;#ASMEND
	;;#ASMSTART
	v_dot2_f32_f16 v78, v84, v92, v78
	;;#ASMEND
	;;#ASMSTART
	v_dot2_f32_f16 v78, v85, v93, v78
	;;#ASMEND
	;; [unrolled: 13-line block ×5, first 2 shown]
	;;#ASMSTART
	v_dot2_f32_f16 v79, v102, v90, v79
	;;#ASMEND
	;;#ASMSTART
	v_dot2_f32_f16 v79, v103, v91, v79
	;;#ASMEND
	;; [unrolled: 3-line block ×12, first 2 shown]
	ds_load_b128 v[82:85], v42 offset:96
	ds_load_b128 v[86:89], v43 offset:96
	;; [unrolled: 1-line block ×6, first 2 shown]
	s_waitcnt lgkmcnt(4)
	;;#ASMSTART
	v_dot2_f32_f16 v80, v82, v86, v80
	;;#ASMEND
	;;#ASMSTART
	v_dot2_f32_f16 v80, v83, v87, v80
	;;#ASMEND
	;;#ASMSTART
	v_dot2_f32_f16 v80, v84, v88, v80
	;;#ASMEND
	;;#ASMSTART
	v_dot2_f32_f16 v80, v85, v89, v80
	;;#ASMEND
	s_waitcnt lgkmcnt(3)
	;;#ASMSTART
	v_dot2_f32_f16 v78, v82, v90, v78
	;;#ASMEND
	;;#ASMSTART
	v_dot2_f32_f16 v78, v83, v91, v78
	;;#ASMEND
	;;#ASMSTART
	v_dot2_f32_f16 v78, v84, v92, v78
	;;#ASMEND
	;;#ASMSTART
	v_dot2_f32_f16 v78, v85, v93, v78
	;;#ASMEND
	;; [unrolled: 13-line block ×5, first 2 shown]
	;;#ASMSTART
	v_dot2_f32_f16 v79, v102, v90, v79
	;;#ASMEND
	;;#ASMSTART
	v_dot2_f32_f16 v79, v103, v91, v79
	;;#ASMEND
	;;#ASMSTART
	v_dot2_f32_f16 v79, v104, v92, v79
	;;#ASMEND
	;;#ASMSTART
	v_dot2_f32_f16 v79, v105, v93, v79
	;;#ASMEND
	;;#ASMSTART
	v_dot2_f32_f16 v77, v102, v94, v77
	;;#ASMEND
	;;#ASMSTART
	v_dot2_f32_f16 v77, v103, v95, v77
	;;#ASMEND
	;;#ASMSTART
	v_dot2_f32_f16 v77, v104, v96, v77
	;;#ASMEND
	;;#ASMSTART
	v_dot2_f32_f16 v77, v105, v97, v77
	;;#ASMEND
	;;#ASMSTART
	v_dot2_f32_f16 v75, v102, v98, v75
	;;#ASMEND
	;;#ASMSTART
	v_dot2_f32_f16 v75, v103, v99, v75
	;;#ASMEND
	;;#ASMSTART
	v_dot2_f32_f16 v75, v104, v100, v75
	;;#ASMEND
	;;#ASMSTART
	v_dot2_f32_f16 v75, v105, v101, v75
	;;#ASMEND
	ds_load_b128 v[82:85], v42 offset:112
	ds_load_b128 v[86:89], v43 offset:112
	;; [unrolled: 1-line block ×6, first 2 shown]
	s_waitcnt lgkmcnt(4)
	;;#ASMSTART
	v_dot2_f32_f16 v80, v82, v86, v80
	;;#ASMEND
	;;#ASMSTART
	v_dot2_f32_f16 v80, v83, v87, v80
	;;#ASMEND
	;;#ASMSTART
	v_dot2_f32_f16 v80, v84, v88, v80
	;;#ASMEND
	;;#ASMSTART
	v_dot2_f32_f16 v80, v85, v89, v80
	;;#ASMEND
	s_waitcnt lgkmcnt(3)
	;;#ASMSTART
	v_dot2_f32_f16 v78, v82, v90, v78
	;;#ASMEND
	;;#ASMSTART
	v_dot2_f32_f16 v78, v83, v91, v78
	;;#ASMEND
	;;#ASMSTART
	v_dot2_f32_f16 v78, v84, v92, v78
	;;#ASMEND
	;;#ASMSTART
	v_dot2_f32_f16 v78, v85, v93, v78
	;;#ASMEND
	;; [unrolled: 13-line block ×5, first 2 shown]
	;;#ASMSTART
	v_dot2_f32_f16 v79, v102, v90, v79
	;;#ASMEND
	;;#ASMSTART
	v_dot2_f32_f16 v79, v103, v91, v79
	;;#ASMEND
	;;#ASMSTART
	v_dot2_f32_f16 v79, v104, v92, v79
	;;#ASMEND
	;;#ASMSTART
	v_dot2_f32_f16 v79, v105, v93, v79
	;;#ASMEND
	;;#ASMSTART
	v_dot2_f32_f16 v77, v102, v94, v77
	;;#ASMEND
	;;#ASMSTART
	v_dot2_f32_f16 v77, v103, v95, v77
	;;#ASMEND
	;;#ASMSTART
	v_dot2_f32_f16 v77, v104, v96, v77
	;;#ASMEND
	;;#ASMSTART
	v_dot2_f32_f16 v77, v105, v97, v77
	;;#ASMEND
	;;#ASMSTART
	v_dot2_f32_f16 v75, v102, v98, v75
	;;#ASMEND
	;;#ASMSTART
	v_dot2_f32_f16 v75, v103, v99, v75
	;;#ASMEND
	;;#ASMSTART
	v_dot2_f32_f16 v75, v104, v100, v75
	;;#ASMEND
	;;#ASMSTART
	v_dot2_f32_f16 v75, v105, v101, v75
	;;#ASMEND
	ds_load_b128 v[82:85], v42 offset:128
	ds_load_b128 v[86:89], v43 offset:128
	;; [unrolled: 1-line block ×6, first 2 shown]
	s_waitcnt lgkmcnt(4)
	;;#ASMSTART
	v_dot2_f32_f16 v80, v82, v86, v80
	;;#ASMEND
	;;#ASMSTART
	v_dot2_f32_f16 v80, v83, v87, v80
	;;#ASMEND
	;;#ASMSTART
	v_dot2_f32_f16 v80, v84, v88, v80
	;;#ASMEND
	;;#ASMSTART
	v_dot2_f32_f16 v80, v85, v89, v80
	;;#ASMEND
	s_waitcnt lgkmcnt(3)
	;;#ASMSTART
	v_dot2_f32_f16 v78, v82, v90, v78
	;;#ASMEND
	;;#ASMSTART
	v_dot2_f32_f16 v78, v83, v91, v78
	;;#ASMEND
	;;#ASMSTART
	v_dot2_f32_f16 v78, v84, v92, v78
	;;#ASMEND
	;;#ASMSTART
	v_dot2_f32_f16 v78, v85, v93, v78
	;;#ASMEND
	;; [unrolled: 13-line block ×5, first 2 shown]
	;;#ASMSTART
	v_dot2_f32_f16 v79, v102, v90, v79
	;;#ASMEND
	;;#ASMSTART
	v_dot2_f32_f16 v79, v103, v91, v79
	;;#ASMEND
	;; [unrolled: 3-line block ×12, first 2 shown]
	ds_load_b128 v[82:85], v42 offset:144
	ds_load_b128 v[86:89], v43 offset:144
	;; [unrolled: 1-line block ×6, first 2 shown]
	s_waitcnt lgkmcnt(4)
	;;#ASMSTART
	v_dot2_f32_f16 v80, v82, v86, v80
	;;#ASMEND
	;;#ASMSTART
	v_dot2_f32_f16 v80, v83, v87, v80
	;;#ASMEND
	;;#ASMSTART
	v_dot2_f32_f16 v80, v84, v88, v80
	;;#ASMEND
	;;#ASMSTART
	v_dot2_f32_f16 v80, v85, v89, v80
	;;#ASMEND
	s_waitcnt lgkmcnt(3)
	;;#ASMSTART
	v_dot2_f32_f16 v78, v82, v90, v78
	;;#ASMEND
	;;#ASMSTART
	v_dot2_f32_f16 v78, v83, v91, v78
	;;#ASMEND
	;;#ASMSTART
	v_dot2_f32_f16 v78, v84, v92, v78
	;;#ASMEND
	;;#ASMSTART
	v_dot2_f32_f16 v78, v85, v93, v78
	;;#ASMEND
	;; [unrolled: 13-line block ×5, first 2 shown]
	;;#ASMSTART
	v_dot2_f32_f16 v79, v102, v90, v79
	;;#ASMEND
	;;#ASMSTART
	v_dot2_f32_f16 v79, v103, v91, v79
	;;#ASMEND
	;; [unrolled: 3-line block ×12, first 2 shown]
	ds_load_b128 v[82:85], v42 offset:160
	ds_load_b128 v[86:89], v43 offset:160
	ds_load_b128 v[90:93], v43 offset:672
	ds_load_b128 v[94:97], v43 offset:1184
	ds_load_b128 v[98:101], v43 offset:1696
	ds_load_b128 v[102:105], v42 offset:8864
	s_waitcnt lgkmcnt(4)
	;;#ASMSTART
	v_dot2_f32_f16 v80, v82, v86, v80
	;;#ASMEND
	;;#ASMSTART
	v_dot2_f32_f16 v80, v83, v87, v80
	;;#ASMEND
	;;#ASMSTART
	v_dot2_f32_f16 v80, v84, v88, v80
	;;#ASMEND
	;;#ASMSTART
	v_dot2_f32_f16 v80, v85, v89, v80
	;;#ASMEND
	s_waitcnt lgkmcnt(3)
	;;#ASMSTART
	v_dot2_f32_f16 v78, v82, v90, v78
	;;#ASMEND
	;;#ASMSTART
	v_dot2_f32_f16 v78, v83, v91, v78
	;;#ASMEND
	;;#ASMSTART
	v_dot2_f32_f16 v78, v84, v92, v78
	;;#ASMEND
	;;#ASMSTART
	v_dot2_f32_f16 v78, v85, v93, v78
	;;#ASMEND
	s_waitcnt lgkmcnt(2)
	;;#ASMSTART
	v_dot2_f32_f16 v76, v82, v94, v76
	;;#ASMEND
	;;#ASMSTART
	v_dot2_f32_f16 v76, v83, v95, v76
	;;#ASMEND
	;;#ASMSTART
	v_dot2_f32_f16 v76, v84, v96, v76
	;;#ASMEND
	;;#ASMSTART
	v_dot2_f32_f16 v76, v85, v97, v76
	;;#ASMEND
	s_waitcnt lgkmcnt(1)
	;;#ASMSTART
	v_dot2_f32_f16 v74, v82, v98, v74
	;;#ASMEND
	;;#ASMSTART
	v_dot2_f32_f16 v74, v83, v99, v74
	;;#ASMEND
	;;#ASMSTART
	v_dot2_f32_f16 v74, v84, v100, v74
	;;#ASMEND
	;;#ASMSTART
	v_dot2_f32_f16 v74, v85, v101, v74
	;;#ASMEND
	s_waitcnt lgkmcnt(0)
	;;#ASMSTART
	v_dot2_f32_f16 v81, v102, v86, v81
	;;#ASMEND
	;;#ASMSTART
	v_dot2_f32_f16 v81, v103, v87, v81
	;;#ASMEND
	;;#ASMSTART
	v_dot2_f32_f16 v81, v104, v88, v81
	;;#ASMEND
	;;#ASMSTART
	v_dot2_f32_f16 v81, v105, v89, v81
	;;#ASMEND
	;;#ASMSTART
	v_dot2_f32_f16 v79, v102, v90, v79
	;;#ASMEND
	;;#ASMSTART
	v_dot2_f32_f16 v79, v103, v91, v79
	;;#ASMEND
	;; [unrolled: 3-line block ×12, first 2 shown]
	ds_load_b128 v[82:85], v42 offset:176
	ds_load_b128 v[86:89], v43 offset:176
	;; [unrolled: 1-line block ×6, first 2 shown]
	s_waitcnt lgkmcnt(4)
	;;#ASMSTART
	v_dot2_f32_f16 v80, v82, v86, v80
	;;#ASMEND
	;;#ASMSTART
	v_dot2_f32_f16 v80, v83, v87, v80
	;;#ASMEND
	;;#ASMSTART
	v_dot2_f32_f16 v80, v84, v88, v80
	;;#ASMEND
	;;#ASMSTART
	v_dot2_f32_f16 v80, v85, v89, v80
	;;#ASMEND
	s_waitcnt lgkmcnt(3)
	;;#ASMSTART
	v_dot2_f32_f16 v78, v82, v90, v78
	;;#ASMEND
	;;#ASMSTART
	v_dot2_f32_f16 v78, v83, v91, v78
	;;#ASMEND
	;;#ASMSTART
	v_dot2_f32_f16 v78, v84, v92, v78
	;;#ASMEND
	;;#ASMSTART
	v_dot2_f32_f16 v78, v85, v93, v78
	;;#ASMEND
	;; [unrolled: 13-line block ×5, first 2 shown]
	;;#ASMSTART
	v_dot2_f32_f16 v79, v102, v90, v79
	;;#ASMEND
	;;#ASMSTART
	v_dot2_f32_f16 v79, v103, v91, v79
	;;#ASMEND
	;; [unrolled: 3-line block ×12, first 2 shown]
	ds_load_b128 v[82:85], v42 offset:192
	ds_load_b128 v[86:89], v43 offset:192
	;; [unrolled: 1-line block ×6, first 2 shown]
	s_waitcnt lgkmcnt(4)
	;;#ASMSTART
	v_dot2_f32_f16 v80, v82, v86, v80
	;;#ASMEND
	;;#ASMSTART
	v_dot2_f32_f16 v80, v83, v87, v80
	;;#ASMEND
	;;#ASMSTART
	v_dot2_f32_f16 v80, v84, v88, v80
	;;#ASMEND
	;;#ASMSTART
	v_dot2_f32_f16 v80, v85, v89, v80
	;;#ASMEND
	s_waitcnt lgkmcnt(3)
	;;#ASMSTART
	v_dot2_f32_f16 v78, v82, v90, v78
	;;#ASMEND
	;;#ASMSTART
	v_dot2_f32_f16 v78, v83, v91, v78
	;;#ASMEND
	;;#ASMSTART
	v_dot2_f32_f16 v78, v84, v92, v78
	;;#ASMEND
	;;#ASMSTART
	v_dot2_f32_f16 v78, v85, v93, v78
	;;#ASMEND
	;; [unrolled: 13-line block ×5, first 2 shown]
	;;#ASMSTART
	v_dot2_f32_f16 v79, v102, v90, v79
	;;#ASMEND
	;;#ASMSTART
	v_dot2_f32_f16 v79, v103, v91, v79
	;;#ASMEND
	;; [unrolled: 3-line block ×12, first 2 shown]
	ds_load_b128 v[82:85], v42 offset:208
	ds_load_b128 v[86:89], v43 offset:208
	;; [unrolled: 1-line block ×6, first 2 shown]
	s_waitcnt lgkmcnt(4)
	;;#ASMSTART
	v_dot2_f32_f16 v80, v82, v86, v80
	;;#ASMEND
	;;#ASMSTART
	v_dot2_f32_f16 v80, v83, v87, v80
	;;#ASMEND
	;;#ASMSTART
	v_dot2_f32_f16 v80, v84, v88, v80
	;;#ASMEND
	;;#ASMSTART
	v_dot2_f32_f16 v80, v85, v89, v80
	;;#ASMEND
	s_waitcnt lgkmcnt(3)
	;;#ASMSTART
	v_dot2_f32_f16 v78, v82, v90, v78
	;;#ASMEND
	;;#ASMSTART
	v_dot2_f32_f16 v78, v83, v91, v78
	;;#ASMEND
	;;#ASMSTART
	v_dot2_f32_f16 v78, v84, v92, v78
	;;#ASMEND
	;;#ASMSTART
	v_dot2_f32_f16 v78, v85, v93, v78
	;;#ASMEND
	;; [unrolled: 13-line block ×5, first 2 shown]
	;;#ASMSTART
	v_dot2_f32_f16 v79, v102, v90, v79
	;;#ASMEND
	;;#ASMSTART
	v_dot2_f32_f16 v79, v103, v91, v79
	;;#ASMEND
	;; [unrolled: 3-line block ×12, first 2 shown]
	ds_load_b128 v[82:85], v42 offset:224
	ds_load_b128 v[86:89], v43 offset:224
	;; [unrolled: 1-line block ×6, first 2 shown]
	s_waitcnt lgkmcnt(4)
	;;#ASMSTART
	v_dot2_f32_f16 v80, v82, v86, v80
	;;#ASMEND
	;;#ASMSTART
	v_dot2_f32_f16 v80, v83, v87, v80
	;;#ASMEND
	;;#ASMSTART
	v_dot2_f32_f16 v80, v84, v88, v80
	;;#ASMEND
	;;#ASMSTART
	v_dot2_f32_f16 v80, v85, v89, v80
	;;#ASMEND
	s_waitcnt lgkmcnt(3)
	;;#ASMSTART
	v_dot2_f32_f16 v78, v82, v90, v78
	;;#ASMEND
	;;#ASMSTART
	v_dot2_f32_f16 v78, v83, v91, v78
	;;#ASMEND
	;;#ASMSTART
	v_dot2_f32_f16 v78, v84, v92, v78
	;;#ASMEND
	;;#ASMSTART
	v_dot2_f32_f16 v78, v85, v93, v78
	;;#ASMEND
	;; [unrolled: 13-line block ×5, first 2 shown]
	;;#ASMSTART
	v_dot2_f32_f16 v79, v102, v90, v79
	;;#ASMEND
	;;#ASMSTART
	v_dot2_f32_f16 v79, v103, v91, v79
	;;#ASMEND
	;; [unrolled: 3-line block ×12, first 2 shown]
	ds_load_b128 v[82:85], v42 offset:240
	ds_load_b128 v[86:89], v43 offset:240
	;; [unrolled: 1-line block ×6, first 2 shown]
	s_waitcnt lgkmcnt(4)
	;;#ASMSTART
	v_dot2_f32_f16 v80, v82, v86, v80
	;;#ASMEND
	;;#ASMSTART
	v_dot2_f32_f16 v80, v83, v87, v80
	;;#ASMEND
	;;#ASMSTART
	v_dot2_f32_f16 v80, v84, v88, v80
	;;#ASMEND
	;;#ASMSTART
	v_dot2_f32_f16 v80, v85, v89, v80
	;;#ASMEND
	s_waitcnt lgkmcnt(3)
	;;#ASMSTART
	v_dot2_f32_f16 v78, v82, v90, v78
	;;#ASMEND
	;;#ASMSTART
	v_dot2_f32_f16 v78, v83, v91, v78
	;;#ASMEND
	;;#ASMSTART
	v_dot2_f32_f16 v78, v84, v92, v78
	;;#ASMEND
	;;#ASMSTART
	v_dot2_f32_f16 v78, v85, v93, v78
	;;#ASMEND
	;; [unrolled: 13-line block ×5, first 2 shown]
	;;#ASMSTART
	v_dot2_f32_f16 v79, v102, v90, v79
	;;#ASMEND
	;;#ASMSTART
	v_dot2_f32_f16 v79, v103, v91, v79
	;;#ASMEND
	;; [unrolled: 3-line block ×12, first 2 shown]
	s_barrier
	buffer_gl0_inv
	s_clause 0x3
	global_load_b128 v[82:85], v[0:1], off offset:256
	global_load_b128 v[0:3], v[2:3], off offset:256
	;; [unrolled: 1-line block ×4, first 2 shown]
	s_waitcnt vmcnt(3)
	ds_store_b128 v38, v[82:85]
	s_waitcnt vmcnt(2)
	ds_store_b128 v39, v[0:3]
	;; [unrolled: 2-line block ×4, first 2 shown]
	s_waitcnt lgkmcnt(0)
	s_barrier
	buffer_gl0_inv
	ds_load_b128 v[0:3], v42
	ds_load_b128 v[4:7], v43 offset:256
	ds_load_b128 v[82:85], v43 offset:768
	;; [unrolled: 1-line block ×5, first 2 shown]
	s_waitcnt lgkmcnt(4)
	;;#ASMSTART
	v_dot2_f32_f16 v80, v0, v4, v80
	;;#ASMEND
	;;#ASMSTART
	v_dot2_f32_f16 v80, v1, v5, v80
	;;#ASMEND
	;;#ASMSTART
	v_dot2_f32_f16 v80, v2, v6, v80
	;;#ASMEND
	;;#ASMSTART
	v_dot2_f32_f16 v80, v3, v7, v80
	;;#ASMEND
	s_waitcnt lgkmcnt(3)
	;;#ASMSTART
	v_dot2_f32_f16 v78, v0, v82, v78
	;;#ASMEND
	;;#ASMSTART
	v_dot2_f32_f16 v78, v1, v83, v78
	;;#ASMEND
	;;#ASMSTART
	v_dot2_f32_f16 v78, v2, v84, v78
	;;#ASMEND
	;;#ASMSTART
	v_dot2_f32_f16 v78, v3, v85, v78
	;;#ASMEND
	;; [unrolled: 13-line block ×5, first 2 shown]
	;;#ASMSTART
	v_dot2_f32_f16 v79, v94, v82, v79
	;;#ASMEND
	;;#ASMSTART
	v_dot2_f32_f16 v79, v95, v83, v79
	;;#ASMEND
	;;#ASMSTART
	v_dot2_f32_f16 v79, v96, v84, v79
	;;#ASMEND
	;;#ASMSTART
	v_dot2_f32_f16 v79, v97, v85, v79
	;;#ASMEND
	;;#ASMSTART
	v_dot2_f32_f16 v77, v94, v86, v77
	;;#ASMEND
	;;#ASMSTART
	v_dot2_f32_f16 v77, v95, v87, v77
	;;#ASMEND
	;;#ASMSTART
	v_dot2_f32_f16 v77, v96, v88, v77
	;;#ASMEND
	;;#ASMSTART
	v_dot2_f32_f16 v77, v97, v89, v77
	;;#ASMEND
	;;#ASMSTART
	v_dot2_f32_f16 v75, v94, v90, v75
	;;#ASMEND
	;;#ASMSTART
	v_dot2_f32_f16 v75, v95, v91, v75
	;;#ASMEND
	;;#ASMSTART
	v_dot2_f32_f16 v75, v96, v92, v75
	;;#ASMEND
	;;#ASMSTART
	v_dot2_f32_f16 v75, v97, v93, v75
	;;#ASMEND
	ds_load_b128 v[0:3], v42 offset:16
	ds_load_b128 v[4:7], v43 offset:272
	;; [unrolled: 1-line block ×6, first 2 shown]
	s_waitcnt lgkmcnt(4)
	;;#ASMSTART
	v_dot2_f32_f16 v80, v0, v4, v80
	;;#ASMEND
	;;#ASMSTART
	v_dot2_f32_f16 v80, v1, v5, v80
	;;#ASMEND
	;;#ASMSTART
	v_dot2_f32_f16 v80, v2, v6, v80
	;;#ASMEND
	;;#ASMSTART
	v_dot2_f32_f16 v80, v3, v7, v80
	;;#ASMEND
	s_waitcnt lgkmcnt(3)
	;;#ASMSTART
	v_dot2_f32_f16 v78, v0, v82, v78
	;;#ASMEND
	;;#ASMSTART
	v_dot2_f32_f16 v78, v1, v83, v78
	;;#ASMEND
	;;#ASMSTART
	v_dot2_f32_f16 v78, v2, v84, v78
	;;#ASMEND
	;;#ASMSTART
	v_dot2_f32_f16 v78, v3, v85, v78
	;;#ASMEND
	s_waitcnt lgkmcnt(2)
	;;#ASMSTART
	v_dot2_f32_f16 v76, v0, v86, v76
	;;#ASMEND
	;;#ASMSTART
	v_dot2_f32_f16 v76, v1, v87, v76
	;;#ASMEND
	;;#ASMSTART
	v_dot2_f32_f16 v76, v2, v88, v76
	;;#ASMEND
	;;#ASMSTART
	v_dot2_f32_f16 v76, v3, v89, v76
	;;#ASMEND
	s_waitcnt lgkmcnt(1)
	;;#ASMSTART
	v_dot2_f32_f16 v74, v0, v90, v74
	;;#ASMEND
	;;#ASMSTART
	v_dot2_f32_f16 v74, v1, v91, v74
	;;#ASMEND
	;;#ASMSTART
	v_dot2_f32_f16 v74, v2, v92, v74
	;;#ASMEND
	;;#ASMSTART
	v_dot2_f32_f16 v74, v3, v93, v74
	;;#ASMEND
	s_waitcnt lgkmcnt(0)
	;;#ASMSTART
	v_dot2_f32_f16 v81, v94, v4, v81
	;;#ASMEND
	;;#ASMSTART
	v_dot2_f32_f16 v81, v95, v5, v81
	;;#ASMEND
	;;#ASMSTART
	v_dot2_f32_f16 v81, v96, v6, v81
	;;#ASMEND
	;;#ASMSTART
	v_dot2_f32_f16 v81, v97, v7, v81
	;;#ASMEND
	;;#ASMSTART
	v_dot2_f32_f16 v79, v94, v82, v79
	;;#ASMEND
	;;#ASMSTART
	v_dot2_f32_f16 v79, v95, v83, v79
	;;#ASMEND
	;; [unrolled: 3-line block ×12, first 2 shown]
	ds_load_b128 v[0:3], v42 offset:32
	ds_load_b128 v[4:7], v43 offset:288
	;; [unrolled: 1-line block ×6, first 2 shown]
	s_waitcnt lgkmcnt(4)
	;;#ASMSTART
	v_dot2_f32_f16 v80, v0, v4, v80
	;;#ASMEND
	;;#ASMSTART
	v_dot2_f32_f16 v80, v1, v5, v80
	;;#ASMEND
	;;#ASMSTART
	v_dot2_f32_f16 v80, v2, v6, v80
	;;#ASMEND
	;;#ASMSTART
	v_dot2_f32_f16 v80, v3, v7, v80
	;;#ASMEND
	s_waitcnt lgkmcnt(3)
	;;#ASMSTART
	v_dot2_f32_f16 v78, v0, v82, v78
	;;#ASMEND
	;;#ASMSTART
	v_dot2_f32_f16 v78, v1, v83, v78
	;;#ASMEND
	;;#ASMSTART
	v_dot2_f32_f16 v78, v2, v84, v78
	;;#ASMEND
	;;#ASMSTART
	v_dot2_f32_f16 v78, v3, v85, v78
	;;#ASMEND
	;; [unrolled: 13-line block ×5, first 2 shown]
	;;#ASMSTART
	v_dot2_f32_f16 v79, v94, v82, v79
	;;#ASMEND
	;;#ASMSTART
	v_dot2_f32_f16 v79, v95, v83, v79
	;;#ASMEND
	;; [unrolled: 3-line block ×12, first 2 shown]
	ds_load_b128 v[0:3], v42 offset:48
	ds_load_b128 v[4:7], v43 offset:304
	;; [unrolled: 1-line block ×6, first 2 shown]
	s_waitcnt lgkmcnt(4)
	;;#ASMSTART
	v_dot2_f32_f16 v80, v0, v4, v80
	;;#ASMEND
	;;#ASMSTART
	v_dot2_f32_f16 v80, v1, v5, v80
	;;#ASMEND
	;;#ASMSTART
	v_dot2_f32_f16 v80, v2, v6, v80
	;;#ASMEND
	;;#ASMSTART
	v_dot2_f32_f16 v80, v3, v7, v80
	;;#ASMEND
	s_waitcnt lgkmcnt(3)
	;;#ASMSTART
	v_dot2_f32_f16 v78, v0, v82, v78
	;;#ASMEND
	;;#ASMSTART
	v_dot2_f32_f16 v78, v1, v83, v78
	;;#ASMEND
	;;#ASMSTART
	v_dot2_f32_f16 v78, v2, v84, v78
	;;#ASMEND
	;;#ASMSTART
	v_dot2_f32_f16 v78, v3, v85, v78
	;;#ASMEND
	;; [unrolled: 13-line block ×5, first 2 shown]
	;;#ASMSTART
	v_dot2_f32_f16 v79, v94, v82, v79
	;;#ASMEND
	;;#ASMSTART
	v_dot2_f32_f16 v79, v95, v83, v79
	;;#ASMEND
	;; [unrolled: 3-line block ×12, first 2 shown]
	ds_load_b128 v[0:3], v42 offset:64
	ds_load_b128 v[4:7], v43 offset:320
	;; [unrolled: 1-line block ×6, first 2 shown]
	s_waitcnt lgkmcnt(4)
	;;#ASMSTART
	v_dot2_f32_f16 v80, v0, v4, v80
	;;#ASMEND
	;;#ASMSTART
	v_dot2_f32_f16 v80, v1, v5, v80
	;;#ASMEND
	;;#ASMSTART
	v_dot2_f32_f16 v80, v2, v6, v80
	;;#ASMEND
	;;#ASMSTART
	v_dot2_f32_f16 v80, v3, v7, v80
	;;#ASMEND
	s_waitcnt lgkmcnt(3)
	;;#ASMSTART
	v_dot2_f32_f16 v78, v0, v82, v78
	;;#ASMEND
	;;#ASMSTART
	v_dot2_f32_f16 v78, v1, v83, v78
	;;#ASMEND
	;;#ASMSTART
	v_dot2_f32_f16 v78, v2, v84, v78
	;;#ASMEND
	;;#ASMSTART
	v_dot2_f32_f16 v78, v3, v85, v78
	;;#ASMEND
	;; [unrolled: 13-line block ×5, first 2 shown]
	;;#ASMSTART
	v_dot2_f32_f16 v79, v94, v82, v79
	;;#ASMEND
	;;#ASMSTART
	v_dot2_f32_f16 v79, v95, v83, v79
	;;#ASMEND
	;; [unrolled: 3-line block ×12, first 2 shown]
	ds_load_b128 v[0:3], v42 offset:80
	ds_load_b128 v[4:7], v43 offset:336
	;; [unrolled: 1-line block ×6, first 2 shown]
	s_waitcnt lgkmcnt(4)
	;;#ASMSTART
	v_dot2_f32_f16 v80, v0, v4, v80
	;;#ASMEND
	;;#ASMSTART
	v_dot2_f32_f16 v80, v1, v5, v80
	;;#ASMEND
	;;#ASMSTART
	v_dot2_f32_f16 v80, v2, v6, v80
	;;#ASMEND
	;;#ASMSTART
	v_dot2_f32_f16 v80, v3, v7, v80
	;;#ASMEND
	s_waitcnt lgkmcnt(3)
	;;#ASMSTART
	v_dot2_f32_f16 v78, v0, v82, v78
	;;#ASMEND
	;;#ASMSTART
	v_dot2_f32_f16 v78, v1, v83, v78
	;;#ASMEND
	;;#ASMSTART
	v_dot2_f32_f16 v78, v2, v84, v78
	;;#ASMEND
	;;#ASMSTART
	v_dot2_f32_f16 v78, v3, v85, v78
	;;#ASMEND
	;; [unrolled: 13-line block ×5, first 2 shown]
	;;#ASMSTART
	v_dot2_f32_f16 v79, v94, v82, v79
	;;#ASMEND
	;;#ASMSTART
	v_dot2_f32_f16 v79, v95, v83, v79
	;;#ASMEND
	;; [unrolled: 3-line block ×12, first 2 shown]
	ds_load_b128 v[0:3], v42 offset:96
	ds_load_b128 v[4:7], v43 offset:352
	;; [unrolled: 1-line block ×6, first 2 shown]
	s_waitcnt lgkmcnt(4)
	;;#ASMSTART
	v_dot2_f32_f16 v80, v0, v4, v80
	;;#ASMEND
	;;#ASMSTART
	v_dot2_f32_f16 v80, v1, v5, v80
	;;#ASMEND
	;;#ASMSTART
	v_dot2_f32_f16 v80, v2, v6, v80
	;;#ASMEND
	;;#ASMSTART
	v_dot2_f32_f16 v80, v3, v7, v80
	;;#ASMEND
	s_waitcnt lgkmcnt(3)
	;;#ASMSTART
	v_dot2_f32_f16 v78, v0, v82, v78
	;;#ASMEND
	;;#ASMSTART
	v_dot2_f32_f16 v78, v1, v83, v78
	;;#ASMEND
	;;#ASMSTART
	v_dot2_f32_f16 v78, v2, v84, v78
	;;#ASMEND
	;;#ASMSTART
	v_dot2_f32_f16 v78, v3, v85, v78
	;;#ASMEND
	;; [unrolled: 13-line block ×5, first 2 shown]
	;;#ASMSTART
	v_dot2_f32_f16 v79, v94, v82, v79
	;;#ASMEND
	;;#ASMSTART
	v_dot2_f32_f16 v79, v95, v83, v79
	;;#ASMEND
	;; [unrolled: 3-line block ×12, first 2 shown]
	ds_load_b128 v[0:3], v42 offset:112
	ds_load_b128 v[4:7], v43 offset:368
	;; [unrolled: 1-line block ×6, first 2 shown]
	s_waitcnt lgkmcnt(4)
	;;#ASMSTART
	v_dot2_f32_f16 v80, v0, v4, v80
	;;#ASMEND
	;;#ASMSTART
	v_dot2_f32_f16 v80, v1, v5, v80
	;;#ASMEND
	;;#ASMSTART
	v_dot2_f32_f16 v80, v2, v6, v80
	;;#ASMEND
	;;#ASMSTART
	v_dot2_f32_f16 v80, v3, v7, v80
	;;#ASMEND
	s_waitcnt lgkmcnt(3)
	;;#ASMSTART
	v_dot2_f32_f16 v78, v0, v82, v78
	;;#ASMEND
	;;#ASMSTART
	v_dot2_f32_f16 v78, v1, v83, v78
	;;#ASMEND
	;;#ASMSTART
	v_dot2_f32_f16 v78, v2, v84, v78
	;;#ASMEND
	;;#ASMSTART
	v_dot2_f32_f16 v78, v3, v85, v78
	;;#ASMEND
	;; [unrolled: 13-line block ×5, first 2 shown]
	;;#ASMSTART
	v_dot2_f32_f16 v79, v94, v82, v79
	;;#ASMEND
	;;#ASMSTART
	v_dot2_f32_f16 v79, v95, v83, v79
	;;#ASMEND
	;; [unrolled: 3-line block ×12, first 2 shown]
	ds_load_b128 v[0:3], v42 offset:128
	ds_load_b128 v[4:7], v43 offset:384
	;; [unrolled: 1-line block ×6, first 2 shown]
	s_waitcnt lgkmcnt(4)
	;;#ASMSTART
	v_dot2_f32_f16 v80, v0, v4, v80
	;;#ASMEND
	;;#ASMSTART
	v_dot2_f32_f16 v80, v1, v5, v80
	;;#ASMEND
	;;#ASMSTART
	v_dot2_f32_f16 v80, v2, v6, v80
	;;#ASMEND
	;;#ASMSTART
	v_dot2_f32_f16 v80, v3, v7, v80
	;;#ASMEND
	s_waitcnt lgkmcnt(3)
	;;#ASMSTART
	v_dot2_f32_f16 v78, v0, v82, v78
	;;#ASMEND
	;;#ASMSTART
	v_dot2_f32_f16 v78, v1, v83, v78
	;;#ASMEND
	;;#ASMSTART
	v_dot2_f32_f16 v78, v2, v84, v78
	;;#ASMEND
	;;#ASMSTART
	v_dot2_f32_f16 v78, v3, v85, v78
	;;#ASMEND
	;; [unrolled: 13-line block ×5, first 2 shown]
	;;#ASMSTART
	v_dot2_f32_f16 v79, v94, v82, v79
	;;#ASMEND
	;;#ASMSTART
	v_dot2_f32_f16 v79, v95, v83, v79
	;;#ASMEND
	;; [unrolled: 3-line block ×12, first 2 shown]
	ds_load_b128 v[0:3], v42 offset:144
	ds_load_b128 v[4:7], v43 offset:400
	;; [unrolled: 1-line block ×6, first 2 shown]
	s_waitcnt lgkmcnt(4)
	;;#ASMSTART
	v_dot2_f32_f16 v80, v0, v4, v80
	;;#ASMEND
	;;#ASMSTART
	v_dot2_f32_f16 v80, v1, v5, v80
	;;#ASMEND
	;;#ASMSTART
	v_dot2_f32_f16 v80, v2, v6, v80
	;;#ASMEND
	;;#ASMSTART
	v_dot2_f32_f16 v80, v3, v7, v80
	;;#ASMEND
	s_waitcnt lgkmcnt(3)
	;;#ASMSTART
	v_dot2_f32_f16 v78, v0, v82, v78
	;;#ASMEND
	;;#ASMSTART
	v_dot2_f32_f16 v78, v1, v83, v78
	;;#ASMEND
	;;#ASMSTART
	v_dot2_f32_f16 v78, v2, v84, v78
	;;#ASMEND
	;;#ASMSTART
	v_dot2_f32_f16 v78, v3, v85, v78
	;;#ASMEND
	;; [unrolled: 13-line block ×5, first 2 shown]
	;;#ASMSTART
	v_dot2_f32_f16 v79, v94, v82, v79
	;;#ASMEND
	;;#ASMSTART
	v_dot2_f32_f16 v79, v95, v83, v79
	;;#ASMEND
	;; [unrolled: 3-line block ×12, first 2 shown]
	ds_load_b128 v[0:3], v42 offset:160
	ds_load_b128 v[4:7], v43 offset:416
	;; [unrolled: 1-line block ×6, first 2 shown]
	s_waitcnt lgkmcnt(4)
	;;#ASMSTART
	v_dot2_f32_f16 v80, v0, v4, v80
	;;#ASMEND
	;;#ASMSTART
	v_dot2_f32_f16 v80, v1, v5, v80
	;;#ASMEND
	;;#ASMSTART
	v_dot2_f32_f16 v80, v2, v6, v80
	;;#ASMEND
	;;#ASMSTART
	v_dot2_f32_f16 v80, v3, v7, v80
	;;#ASMEND
	s_waitcnt lgkmcnt(3)
	;;#ASMSTART
	v_dot2_f32_f16 v78, v0, v82, v78
	;;#ASMEND
	;;#ASMSTART
	v_dot2_f32_f16 v78, v1, v83, v78
	;;#ASMEND
	;;#ASMSTART
	v_dot2_f32_f16 v78, v2, v84, v78
	;;#ASMEND
	;;#ASMSTART
	v_dot2_f32_f16 v78, v3, v85, v78
	;;#ASMEND
	;; [unrolled: 13-line block ×5, first 2 shown]
	;;#ASMSTART
	v_dot2_f32_f16 v79, v94, v82, v79
	;;#ASMEND
	;;#ASMSTART
	v_dot2_f32_f16 v79, v95, v83, v79
	;;#ASMEND
	;;#ASMSTART
	v_dot2_f32_f16 v79, v96, v84, v79
	;;#ASMEND
	;;#ASMSTART
	v_dot2_f32_f16 v79, v97, v85, v79
	;;#ASMEND
	;;#ASMSTART
	v_dot2_f32_f16 v77, v94, v86, v77
	;;#ASMEND
	;;#ASMSTART
	v_dot2_f32_f16 v77, v95, v87, v77
	;;#ASMEND
	;;#ASMSTART
	v_dot2_f32_f16 v77, v96, v88, v77
	;;#ASMEND
	;;#ASMSTART
	v_dot2_f32_f16 v77, v97, v89, v77
	;;#ASMEND
	;;#ASMSTART
	v_dot2_f32_f16 v75, v94, v90, v75
	;;#ASMEND
	;;#ASMSTART
	v_dot2_f32_f16 v75, v95, v91, v75
	;;#ASMEND
	;;#ASMSTART
	v_dot2_f32_f16 v75, v96, v92, v75
	;;#ASMEND
	;;#ASMSTART
	v_dot2_f32_f16 v75, v97, v93, v75
	;;#ASMEND
	ds_load_b128 v[0:3], v42 offset:176
	ds_load_b128 v[4:7], v43 offset:432
	;; [unrolled: 1-line block ×6, first 2 shown]
	s_waitcnt lgkmcnt(4)
	;;#ASMSTART
	v_dot2_f32_f16 v80, v0, v4, v80
	;;#ASMEND
	;;#ASMSTART
	v_dot2_f32_f16 v80, v1, v5, v80
	;;#ASMEND
	;;#ASMSTART
	v_dot2_f32_f16 v80, v2, v6, v80
	;;#ASMEND
	;;#ASMSTART
	v_dot2_f32_f16 v80, v3, v7, v80
	;;#ASMEND
	s_waitcnt lgkmcnt(3)
	;;#ASMSTART
	v_dot2_f32_f16 v78, v0, v82, v78
	;;#ASMEND
	;;#ASMSTART
	v_dot2_f32_f16 v78, v1, v83, v78
	;;#ASMEND
	;;#ASMSTART
	v_dot2_f32_f16 v78, v2, v84, v78
	;;#ASMEND
	;;#ASMSTART
	v_dot2_f32_f16 v78, v3, v85, v78
	;;#ASMEND
	;; [unrolled: 13-line block ×5, first 2 shown]
	;;#ASMSTART
	v_dot2_f32_f16 v79, v94, v82, v79
	;;#ASMEND
	;;#ASMSTART
	v_dot2_f32_f16 v79, v95, v83, v79
	;;#ASMEND
	;;#ASMSTART
	v_dot2_f32_f16 v79, v96, v84, v79
	;;#ASMEND
	;;#ASMSTART
	v_dot2_f32_f16 v79, v97, v85, v79
	;;#ASMEND
	;;#ASMSTART
	v_dot2_f32_f16 v77, v94, v86, v77
	;;#ASMEND
	;;#ASMSTART
	v_dot2_f32_f16 v77, v95, v87, v77
	;;#ASMEND
	;;#ASMSTART
	v_dot2_f32_f16 v77, v96, v88, v77
	;;#ASMEND
	;;#ASMSTART
	v_dot2_f32_f16 v77, v97, v89, v77
	;;#ASMEND
	;;#ASMSTART
	v_dot2_f32_f16 v75, v94, v90, v75
	;;#ASMEND
	;;#ASMSTART
	v_dot2_f32_f16 v75, v95, v91, v75
	;;#ASMEND
	;;#ASMSTART
	v_dot2_f32_f16 v75, v96, v92, v75
	;;#ASMEND
	;;#ASMSTART
	v_dot2_f32_f16 v75, v97, v93, v75
	;;#ASMEND
	ds_load_b128 v[0:3], v42 offset:192
	ds_load_b128 v[4:7], v43 offset:448
	;; [unrolled: 1-line block ×6, first 2 shown]
	s_waitcnt lgkmcnt(4)
	;;#ASMSTART
	v_dot2_f32_f16 v80, v0, v4, v80
	;;#ASMEND
	;;#ASMSTART
	v_dot2_f32_f16 v80, v1, v5, v80
	;;#ASMEND
	;;#ASMSTART
	v_dot2_f32_f16 v80, v2, v6, v80
	;;#ASMEND
	;;#ASMSTART
	v_dot2_f32_f16 v80, v3, v7, v80
	;;#ASMEND
	s_waitcnt lgkmcnt(3)
	;;#ASMSTART
	v_dot2_f32_f16 v78, v0, v82, v78
	;;#ASMEND
	;;#ASMSTART
	v_dot2_f32_f16 v78, v1, v83, v78
	;;#ASMEND
	;;#ASMSTART
	v_dot2_f32_f16 v78, v2, v84, v78
	;;#ASMEND
	;;#ASMSTART
	v_dot2_f32_f16 v78, v3, v85, v78
	;;#ASMEND
	;; [unrolled: 13-line block ×5, first 2 shown]
	;;#ASMSTART
	v_dot2_f32_f16 v79, v94, v82, v79
	;;#ASMEND
	;;#ASMSTART
	v_dot2_f32_f16 v79, v95, v83, v79
	;;#ASMEND
	;; [unrolled: 3-line block ×12, first 2 shown]
	ds_load_b128 v[0:3], v42 offset:208
	ds_load_b128 v[4:7], v43 offset:464
	;; [unrolled: 1-line block ×6, first 2 shown]
	s_waitcnt lgkmcnt(4)
	;;#ASMSTART
	v_dot2_f32_f16 v80, v0, v4, v80
	;;#ASMEND
	;;#ASMSTART
	v_dot2_f32_f16 v80, v1, v5, v80
	;;#ASMEND
	;;#ASMSTART
	v_dot2_f32_f16 v80, v2, v6, v80
	;;#ASMEND
	;;#ASMSTART
	v_dot2_f32_f16 v80, v3, v7, v80
	;;#ASMEND
	s_waitcnt lgkmcnt(3)
	;;#ASMSTART
	v_dot2_f32_f16 v78, v0, v82, v78
	;;#ASMEND
	;;#ASMSTART
	v_dot2_f32_f16 v78, v1, v83, v78
	;;#ASMEND
	;;#ASMSTART
	v_dot2_f32_f16 v78, v2, v84, v78
	;;#ASMEND
	;;#ASMSTART
	v_dot2_f32_f16 v78, v3, v85, v78
	;;#ASMEND
	s_waitcnt lgkmcnt(2)
	;;#ASMSTART
	v_dot2_f32_f16 v76, v0, v86, v76
	;;#ASMEND
	;;#ASMSTART
	v_dot2_f32_f16 v76, v1, v87, v76
	;;#ASMEND
	;;#ASMSTART
	v_dot2_f32_f16 v76, v2, v88, v76
	;;#ASMEND
	;;#ASMSTART
	v_dot2_f32_f16 v76, v3, v89, v76
	;;#ASMEND
	s_waitcnt lgkmcnt(1)
	;;#ASMSTART
	v_dot2_f32_f16 v74, v0, v90, v74
	;;#ASMEND
	;;#ASMSTART
	v_dot2_f32_f16 v74, v1, v91, v74
	;;#ASMEND
	;;#ASMSTART
	v_dot2_f32_f16 v74, v2, v92, v74
	;;#ASMEND
	;;#ASMSTART
	v_dot2_f32_f16 v74, v3, v93, v74
	;;#ASMEND
	s_waitcnt lgkmcnt(0)
	;;#ASMSTART
	v_dot2_f32_f16 v81, v94, v4, v81
	;;#ASMEND
	;;#ASMSTART
	v_dot2_f32_f16 v81, v95, v5, v81
	;;#ASMEND
	;;#ASMSTART
	v_dot2_f32_f16 v81, v96, v6, v81
	;;#ASMEND
	;;#ASMSTART
	v_dot2_f32_f16 v81, v97, v7, v81
	;;#ASMEND
	;;#ASMSTART
	v_dot2_f32_f16 v79, v94, v82, v79
	;;#ASMEND
	;;#ASMSTART
	v_dot2_f32_f16 v79, v95, v83, v79
	;;#ASMEND
	;; [unrolled: 3-line block ×12, first 2 shown]
	ds_load_b128 v[0:3], v42 offset:224
	ds_load_b128 v[4:7], v43 offset:480
	;; [unrolled: 1-line block ×6, first 2 shown]
	s_waitcnt lgkmcnt(4)
	;;#ASMSTART
	v_dot2_f32_f16 v80, v0, v4, v80
	;;#ASMEND
	;;#ASMSTART
	v_dot2_f32_f16 v80, v1, v5, v80
	;;#ASMEND
	;;#ASMSTART
	v_dot2_f32_f16 v80, v2, v6, v80
	;;#ASMEND
	;;#ASMSTART
	v_dot2_f32_f16 v80, v3, v7, v80
	;;#ASMEND
	s_waitcnt lgkmcnt(3)
	;;#ASMSTART
	v_dot2_f32_f16 v78, v0, v82, v78
	;;#ASMEND
	;;#ASMSTART
	v_dot2_f32_f16 v78, v1, v83, v78
	;;#ASMEND
	;;#ASMSTART
	v_dot2_f32_f16 v78, v2, v84, v78
	;;#ASMEND
	;;#ASMSTART
	v_dot2_f32_f16 v78, v3, v85, v78
	;;#ASMEND
	s_waitcnt lgkmcnt(2)
	;;#ASMSTART
	v_dot2_f32_f16 v76, v0, v86, v76
	;;#ASMEND
	;;#ASMSTART
	v_dot2_f32_f16 v76, v1, v87, v76
	;;#ASMEND
	;;#ASMSTART
	v_dot2_f32_f16 v76, v2, v88, v76
	;;#ASMEND
	;;#ASMSTART
	v_dot2_f32_f16 v76, v3, v89, v76
	;;#ASMEND
	s_waitcnt lgkmcnt(1)
	;;#ASMSTART
	v_dot2_f32_f16 v74, v0, v90, v74
	;;#ASMEND
	;;#ASMSTART
	v_dot2_f32_f16 v74, v1, v91, v74
	;;#ASMEND
	;;#ASMSTART
	v_dot2_f32_f16 v74, v2, v92, v74
	;;#ASMEND
	;;#ASMSTART
	v_dot2_f32_f16 v74, v3, v93, v74
	;;#ASMEND
	s_waitcnt lgkmcnt(0)
	;;#ASMSTART
	v_dot2_f32_f16 v81, v94, v4, v81
	;;#ASMEND
	;;#ASMSTART
	v_dot2_f32_f16 v81, v95, v5, v81
	;;#ASMEND
	;;#ASMSTART
	v_dot2_f32_f16 v81, v96, v6, v81
	;;#ASMEND
	;;#ASMSTART
	v_dot2_f32_f16 v81, v97, v7, v81
	;;#ASMEND
	;;#ASMSTART
	v_dot2_f32_f16 v79, v94, v82, v79
	;;#ASMEND
	;;#ASMSTART
	v_dot2_f32_f16 v79, v95, v83, v79
	;;#ASMEND
	;; [unrolled: 3-line block ×12, first 2 shown]
	ds_load_b128 v[0:3], v42 offset:240
	ds_load_b128 v[4:7], v43 offset:496
	;; [unrolled: 1-line block ×6, first 2 shown]
	s_waitcnt lgkmcnt(4)
	;;#ASMSTART
	v_dot2_f32_f16 v80, v0, v4, v80
	;;#ASMEND
	;;#ASMSTART
	v_dot2_f32_f16 v80, v1, v5, v80
	;;#ASMEND
	;;#ASMSTART
	v_dot2_f32_f16 v80, v2, v6, v80
	;;#ASMEND
	;;#ASMSTART
	v_dot2_f32_f16 v80, v3, v7, v80
	;;#ASMEND
	s_waitcnt lgkmcnt(3)
	;;#ASMSTART
	v_dot2_f32_f16 v78, v0, v82, v78
	;;#ASMEND
	;;#ASMSTART
	v_dot2_f32_f16 v78, v1, v83, v78
	;;#ASMEND
	;;#ASMSTART
	v_dot2_f32_f16 v78, v2, v84, v78
	;;#ASMEND
	;;#ASMSTART
	v_dot2_f32_f16 v78, v3, v85, v78
	;;#ASMEND
	;; [unrolled: 13-line block ×5, first 2 shown]
	;;#ASMSTART
	v_dot2_f32_f16 v79, v94, v82, v79
	;;#ASMEND
	;;#ASMSTART
	v_dot2_f32_f16 v79, v95, v83, v79
	;;#ASMEND
	;; [unrolled: 3-line block ×5, first 2 shown]
	v_cmp_ngt_f32_e64 s18, 0x3f200000, |v80|
	;;#ASMSTART
	v_dot2_f32_f16 v77, v95, v87, v77
	;;#ASMEND
	;;#ASMSTART
	v_dot2_f32_f16 v77, v96, v88, v77
	;;#ASMEND
	;; [unrolled: 3-line block ×7, first 2 shown]
                                        ; implicit-def: $vgpr2
	s_and_saveexec_b32 s19, s18
	s_delay_alu instid0(SALU_CYCLE_1)
	s_xor_b32 s18, exec_lo, s19
	s_cbranch_execz .LBB65_11
; %bb.10:                               ;   in Loop: Header=BB65_9 Depth=1
	v_add_f32_e64 v0, |v80|, |v80|
	s_delay_alu instid0(VALU_DEP_1) | instskip(SKIP_1) | instid1(VALU_DEP_2)
	v_mul_f32_e32 v1, 0x3fb8aa3b, v0
	v_cmp_ngt_f32_e32 vcc_lo, 0xc2ce8ed0, v0
	v_rndne_f32_e32 v2, v1
	v_fma_f32 v3, 0x3fb8aa3b, v0, -v1
	s_delay_alu instid0(VALU_DEP_2) | instskip(NEXT) | instid1(VALU_DEP_2)
	v_sub_f32_e32 v1, v1, v2
	v_fmac_f32_e32 v3, 0x32a5705f, v0
	v_cvt_i32_f32_e32 v2, v2
	s_delay_alu instid0(VALU_DEP_2) | instskip(NEXT) | instid1(VALU_DEP_1)
	v_add_f32_e32 v1, v1, v3
	v_exp_f32_e32 v1, v1
	s_waitcnt_depctr 0xfff
	v_ldexp_f32 v1, v1, v2
	s_delay_alu instid0(VALU_DEP_1) | instskip(SKIP_1) | instid1(VALU_DEP_2)
	v_cndmask_b32_e32 v1, 0, v1, vcc_lo
	v_cmp_nlt_f32_e32 vcc_lo, 0x42b17218, v0
	v_cndmask_b32_e32 v0, 0x7f800000, v1, vcc_lo
	s_delay_alu instid0(VALU_DEP_1) | instskip(NEXT) | instid1(VALU_DEP_1)
	v_add_f32_e32 v0, 1.0, v0
	v_rcp_f32_e32 v0, v0
	s_waitcnt_depctr 0xfff
	v_fma_f32 v2, v0, -2.0, 1.0
.LBB65_11:                              ;   in Loop: Header=BB65_9 Depth=1
	s_and_not1_saveexec_b32 s18, s18
; %bb.12:                               ;   in Loop: Header=BB65_9 Depth=1
	v_mul_f32_e32 v0, v80, v80
	s_delay_alu instid0(VALU_DEP_1) | instskip(NEXT) | instid1(VALU_DEP_1)
	v_fmaak_f32 v1, s17, v0, 0x3ca908c9
	v_fmaak_f32 v1, v0, v1, 0xbd5c1c4e
	s_delay_alu instid0(VALU_DEP_1) | instskip(NEXT) | instid1(VALU_DEP_1)
	v_fmaak_f32 v1, v0, v1, 0x3e088382
	v_fmaak_f32 v1, v0, v1, 0xbeaaaa99
	s_delay_alu instid0(VALU_DEP_1) | instskip(NEXT) | instid1(VALU_DEP_1)
	v_mul_f32_e64 v1, |v80|, v1
	v_fma_f32 v2, v0, v1, |v80|
; %bb.13:                               ;   in Loop: Header=BB65_9 Depth=1
	s_or_b32 exec_lo, exec_lo, s18
	v_add_nc_u32_e32 v90, s3, v35
	v_cmp_ngt_f32_e64 s18, 0x3f200000, |v81|
                                        ; implicit-def: $vgpr3
	s_delay_alu instid0(VALU_DEP_2) | instskip(NEXT) | instid1(VALU_DEP_1)
	v_add_nc_u32_e32 v0, v90, v45
	v_ashrrev_i32_e32 v1, 31, v0
	s_delay_alu instid0(VALU_DEP_1) | instskip(NEXT) | instid1(VALU_DEP_1)
	v_lshlrev_b64 v[0:1], 1, v[0:1]
	v_add_co_u32 v0, vcc_lo, s36, v0
	s_delay_alu instid0(VALU_DEP_2) | instskip(SKIP_2) | instid1(SALU_CYCLE_1)
	v_add_co_ci_u32_e32 v1, vcc_lo, s37, v1, vcc_lo
	flat_load_u16 v86, v[0:1]
	s_and_saveexec_b32 s19, s18
	s_xor_b32 s18, exec_lo, s19
	s_cbranch_execz .LBB65_15
; %bb.14:                               ;   in Loop: Header=BB65_9 Depth=1
	v_add_f32_e64 v3, |v81|, |v81|
	s_delay_alu instid0(VALU_DEP_1) | instskip(SKIP_1) | instid1(VALU_DEP_2)
	v_mul_f32_e32 v4, 0x3fb8aa3b, v3
	v_cmp_ngt_f32_e32 vcc_lo, 0xc2ce8ed0, v3
	v_rndne_f32_e32 v5, v4
	v_fma_f32 v6, 0x3fb8aa3b, v3, -v4
	s_delay_alu instid0(VALU_DEP_2) | instskip(NEXT) | instid1(VALU_DEP_2)
	v_sub_f32_e32 v4, v4, v5
	v_fmac_f32_e32 v6, 0x32a5705f, v3
	v_cvt_i32_f32_e32 v5, v5
	s_delay_alu instid0(VALU_DEP_2) | instskip(NEXT) | instid1(VALU_DEP_1)
	v_add_f32_e32 v4, v4, v6
	v_exp_f32_e32 v4, v4
	s_waitcnt_depctr 0xfff
	v_ldexp_f32 v4, v4, v5
	s_delay_alu instid0(VALU_DEP_1) | instskip(SKIP_1) | instid1(VALU_DEP_2)
	v_cndmask_b32_e32 v4, 0, v4, vcc_lo
	v_cmp_nlt_f32_e32 vcc_lo, 0x42b17218, v3
	v_cndmask_b32_e32 v3, 0x7f800000, v4, vcc_lo
	s_delay_alu instid0(VALU_DEP_1) | instskip(NEXT) | instid1(VALU_DEP_1)
	v_add_f32_e32 v3, 1.0, v3
	v_rcp_f32_e32 v3, v3
	s_waitcnt_depctr 0xfff
	v_fma_f32 v3, v3, -2.0, 1.0
.LBB65_15:                              ;   in Loop: Header=BB65_9 Depth=1
	s_and_not1_saveexec_b32 s18, s18
; %bb.16:                               ;   in Loop: Header=BB65_9 Depth=1
	v_mul_f32_e32 v3, v81, v81
	s_delay_alu instid0(VALU_DEP_1) | instskip(NEXT) | instid1(VALU_DEP_1)
	v_fmaak_f32 v4, s17, v3, 0x3ca908c9
	v_fmaak_f32 v4, v3, v4, 0xbd5c1c4e
	s_delay_alu instid0(VALU_DEP_1) | instskip(NEXT) | instid1(VALU_DEP_1)
	v_fmaak_f32 v4, v3, v4, 0x3e088382
	v_fmaak_f32 v4, v3, v4, 0xbeaaaa99
	s_delay_alu instid0(VALU_DEP_1) | instskip(NEXT) | instid1(VALU_DEP_1)
	v_mul_f32_e64 v4, |v81|, v4
	v_fma_f32 v3, v3, v4, |v81|
; %bb.17:                               ;   in Loop: Header=BB65_9 Depth=1
	s_or_b32 exec_lo, exec_lo, s18
	flat_load_u16 v0, v[0:1] offset:64
	v_bfi_b32 v1, 0x7fffffff, v2, v80
	v_bfi_b32 v2, 0x7fffffff, v3, v81
	v_xor_b32_e32 v84, 16, v36
	v_xor_b32_e32 v83, 8, v36
	;; [unrolled: 1-line block ×3, first 2 shown]
	s_waitcnt vmcnt(1) lgkmcnt(1)
	v_fma_mix_f32 v7, v1, s16, v86 op_sel_hi:[0,0,1]
	v_xor_b32_e32 v81, 2, v36
	v_cmp_gt_i32_e32 vcc_lo, 32, v84
	v_xor_b32_e32 v80, 1, v36
	v_cmp_ngt_f32_e64 s18, 0x3f200000, |v78|
	v_add_f32_e32 v1, 0x40051340, v7
	s_waitcnt vmcnt(0) lgkmcnt(0)
	v_fma_mix_f32 v85, v2, s16, v0 op_sel_hi:[0,0,1]
	v_cndmask_b32_e32 v2, v36, v84, vcc_lo
	v_cmp_gt_i32_e32 vcc_lo, 32, v83
	s_delay_alu instid0(VALU_DEP_2) | instskip(SKIP_2) | instid1(VALU_DEP_3)
	v_dual_add_f32 v3, 0x40051340, v85 :: v_dual_lshlrev_b32 v2, 2, v2
	v_cndmask_b32_e32 v4, v36, v83, vcc_lo
	v_cmp_gt_i32_e32 vcc_lo, 32, v82
	v_max3_f32 v1, v71, v1, v3
	s_delay_alu instid0(VALU_DEP_3)
	v_lshlrev_b32_e32 v6, 2, v4
	v_cndmask_b32_e32 v4, v36, v82, vcc_lo
	v_cmp_gt_i32_e32 vcc_lo, 32, v81
	ds_bpermute_b32 v3, v2, v1
	v_dual_cndmask_b32 v4, v36, v81 :: v_dual_lshlrev_b32 v5, 2, v4
	v_cmp_gt_i32_e32 vcc_lo, 32, v80
	s_delay_alu instid0(VALU_DEP_2) | instskip(SKIP_3) | instid1(VALU_DEP_1)
	v_lshlrev_b32_e32 v4, 2, v4
	v_cndmask_b32_e32 v87, v36, v80, vcc_lo
	s_waitcnt lgkmcnt(0)
	v_max_f32_e32 v3, v3, v3
	v_max_f32_e32 v1, v1, v3
	ds_bpermute_b32 v3, v6, v1
	s_waitcnt lgkmcnt(0)
	v_max_f32_e32 v3, v3, v3
	s_delay_alu instid0(VALU_DEP_1) | instskip(SKIP_3) | instid1(VALU_DEP_1)
	v_max_f32_e32 v1, v1, v3
	ds_bpermute_b32 v3, v5, v1
	s_waitcnt lgkmcnt(0)
	v_max_f32_e32 v3, v3, v3
	v_max_f32_e32 v1, v1, v3
	ds_bpermute_b32 v3, v4, v1
	s_waitcnt lgkmcnt(0)
	v_max_f32_e32 v88, v3, v3
	s_delay_alu instid0(VALU_DEP_1) | instskip(SKIP_2) | instid1(SALU_CYCLE_1)
	v_dual_max_f32 v88, v1, v88 :: v_dual_lshlrev_b32 v3, 2, v87
                                        ; implicit-def: $vgpr1
	ds_bpermute_b32 v89, v3, v88
	s_and_saveexec_b32 s19, s18
	s_xor_b32 s18, exec_lo, s19
	s_cbranch_execz .LBB65_19
; %bb.18:                               ;   in Loop: Header=BB65_9 Depth=1
	v_add_f32_e64 v1, |v78|, |v78|
	s_delay_alu instid0(VALU_DEP_1) | instskip(SKIP_1) | instid1(VALU_DEP_2)
	v_mul_f32_e32 v87, 0x3fb8aa3b, v1
	v_cmp_ngt_f32_e32 vcc_lo, 0xc2ce8ed0, v1
	v_rndne_f32_e32 v91, v87
	v_fma_f32 v92, 0x3fb8aa3b, v1, -v87
	s_delay_alu instid0(VALU_DEP_1) | instskip(SKIP_1) | instid1(VALU_DEP_2)
	v_dual_sub_f32 v87, v87, v91 :: v_dual_fmac_f32 v92, 0x32a5705f, v1
	v_cvt_i32_f32_e32 v91, v91
	v_add_f32_e32 v87, v87, v92
	s_delay_alu instid0(VALU_DEP_1) | instskip(SKIP_2) | instid1(VALU_DEP_1)
	v_exp_f32_e32 v87, v87
	s_waitcnt_depctr 0xfff
	v_ldexp_f32 v87, v87, v91
	v_cndmask_b32_e32 v87, 0, v87, vcc_lo
	v_cmp_nlt_f32_e32 vcc_lo, 0x42b17218, v1
	s_delay_alu instid0(VALU_DEP_2) | instskip(NEXT) | instid1(VALU_DEP_1)
	v_cndmask_b32_e32 v1, 0x7f800000, v87, vcc_lo
	v_add_f32_e32 v1, 1.0, v1
	s_delay_alu instid0(VALU_DEP_1)
	v_rcp_f32_e32 v1, v1
	s_waitcnt_depctr 0xfff
	v_fma_f32 v1, v1, -2.0, 1.0
.LBB65_19:                              ;   in Loop: Header=BB65_9 Depth=1
	s_and_not1_saveexec_b32 s18, s18
; %bb.20:                               ;   in Loop: Header=BB65_9 Depth=1
	v_mul_f32_e32 v1, v78, v78
	s_delay_alu instid0(VALU_DEP_1) | instskip(NEXT) | instid1(VALU_DEP_1)
	v_fmaak_f32 v87, s17, v1, 0x3ca908c9
	v_fmaak_f32 v87, v1, v87, 0xbd5c1c4e
	s_delay_alu instid0(VALU_DEP_1) | instskip(NEXT) | instid1(VALU_DEP_1)
	v_fmaak_f32 v87, v1, v87, 0x3e088382
	v_fmaak_f32 v87, v1, v87, 0xbeaaaa99
	s_delay_alu instid0(VALU_DEP_1) | instskip(NEXT) | instid1(VALU_DEP_1)
	v_mul_f32_e64 v87, |v78|, v87
	v_fma_f32 v1, v1, v87, |v78|
; %bb.21:                               ;   in Loop: Header=BB65_9 Depth=1
	s_or_b32 exec_lo, exec_lo, s18
	v_cmp_ngt_f32_e64 s18, 0x3f200000, |v79|
                                        ; implicit-def: $vgpr91
	s_delay_alu instid0(VALU_DEP_1) | instskip(NEXT) | instid1(SALU_CYCLE_1)
	s_and_saveexec_b32 s19, s18
	s_xor_b32 s18, exec_lo, s19
	s_cbranch_execz .LBB65_23
; %bb.22:                               ;   in Loop: Header=BB65_9 Depth=1
	v_add_f32_e64 v87, |v79|, |v79|
	s_delay_alu instid0(VALU_DEP_1) | instskip(SKIP_1) | instid1(VALU_DEP_2)
	v_mul_f32_e32 v91, 0x3fb8aa3b, v87
	v_cmp_ngt_f32_e32 vcc_lo, 0xc2ce8ed0, v87
	v_rndne_f32_e32 v92, v91
	v_fma_f32 v93, 0x3fb8aa3b, v87, -v91
	s_delay_alu instid0(VALU_DEP_2) | instskip(NEXT) | instid1(VALU_DEP_2)
	v_sub_f32_e32 v91, v91, v92
	v_fmac_f32_e32 v93, 0x32a5705f, v87
	v_cvt_i32_f32_e32 v92, v92
	s_delay_alu instid0(VALU_DEP_2) | instskip(NEXT) | instid1(VALU_DEP_1)
	v_add_f32_e32 v91, v91, v93
	v_exp_f32_e32 v91, v91
	s_waitcnt_depctr 0xfff
	v_ldexp_f32 v91, v91, v92
	s_delay_alu instid0(VALU_DEP_1) | instskip(SKIP_1) | instid1(VALU_DEP_2)
	v_cndmask_b32_e32 v91, 0, v91, vcc_lo
	v_cmp_nlt_f32_e32 vcc_lo, 0x42b17218, v87
	v_cndmask_b32_e32 v87, 0x7f800000, v91, vcc_lo
	s_delay_alu instid0(VALU_DEP_1) | instskip(NEXT) | instid1(VALU_DEP_1)
	v_add_f32_e32 v87, 1.0, v87
	v_rcp_f32_e32 v87, v87
	s_waitcnt_depctr 0xfff
	v_fma_f32 v91, v87, -2.0, 1.0
.LBB65_23:                              ;   in Loop: Header=BB65_9 Depth=1
	s_and_not1_saveexec_b32 s18, s18
; %bb.24:                               ;   in Loop: Header=BB65_9 Depth=1
	v_mul_f32_e32 v87, v79, v79
	s_delay_alu instid0(VALU_DEP_1) | instskip(NEXT) | instid1(VALU_DEP_1)
	v_fmaak_f32 v91, s17, v87, 0x3ca908c9
	v_fmaak_f32 v91, v87, v91, 0xbd5c1c4e
	s_delay_alu instid0(VALU_DEP_1) | instskip(NEXT) | instid1(VALU_DEP_1)
	v_fmaak_f32 v91, v87, v91, 0x3e088382
	v_fmaak_f32 v91, v87, v91, 0xbeaaaa99
	s_delay_alu instid0(VALU_DEP_1) | instskip(NEXT) | instid1(VALU_DEP_1)
	v_mul_f32_e64 v91, |v79|, v91
	v_fma_f32 v91, v87, v91, |v79|
; %bb.25:                               ;   in Loop: Header=BB65_9 Depth=1
	s_or_b32 exec_lo, exec_lo, s18
	v_cvt_f32_f16_e32 v87, v86
	v_cvt_f32_f16_e32 v86, v0
	v_bfi_b32 v0, 0x7fffffff, v1, v78
	v_bfi_b32 v1, 0x7fffffff, v91, v79
	v_cmp_ngt_f32_e64 s18, 0x3f200000, |v76|
                                        ; implicit-def: $vgpr91
	s_delay_alu instid0(VALU_DEP_2) | instskip(NEXT) | instid1(VALU_DEP_1)
	v_dual_fmac_f32 v87, s16, v0 :: v_dual_fmac_f32 v86, s16, v1
	v_dual_add_f32 v0, 0x40051340, v87 :: v_dual_add_f32 v1, 0x40051340, v86
	s_delay_alu instid0(VALU_DEP_1) | instskip(SKIP_3) | instid1(VALU_DEP_1)
	v_max3_f32 v0, v72, v0, v1
	ds_bpermute_b32 v1, v2, v0
	s_waitcnt lgkmcnt(0)
	v_max_f32_e32 v1, v1, v1
	v_max_f32_e32 v0, v0, v1
	ds_bpermute_b32 v1, v6, v0
	s_waitcnt lgkmcnt(0)
	v_max_f32_e32 v1, v1, v1
	s_delay_alu instid0(VALU_DEP_1) | instskip(SKIP_3) | instid1(VALU_DEP_1)
	v_max_f32_e32 v0, v0, v1
	ds_bpermute_b32 v1, v5, v0
	s_waitcnt lgkmcnt(0)
	v_max_f32_e32 v1, v1, v1
	v_max_f32_e32 v0, v0, v1
	ds_bpermute_b32 v1, v4, v0
	s_waitcnt lgkmcnt(0)
	v_max_f32_e32 v1, v1, v1
	s_delay_alu instid0(VALU_DEP_1) | instskip(SKIP_2) | instid1(SALU_CYCLE_1)
	v_max_f32_e32 v78, v0, v1
	ds_bpermute_b32 v79, v3, v78
	s_and_saveexec_b32 s19, s18
	s_xor_b32 s18, exec_lo, s19
	s_cbranch_execz .LBB65_27
; %bb.26:                               ;   in Loop: Header=BB65_9 Depth=1
	v_add_f32_e64 v0, |v76|, |v76|
	s_delay_alu instid0(VALU_DEP_1) | instskip(SKIP_1) | instid1(VALU_DEP_2)
	v_mul_f32_e32 v1, 0x3fb8aa3b, v0
	v_cmp_ngt_f32_e32 vcc_lo, 0xc2ce8ed0, v0
	v_rndne_f32_e32 v91, v1
	v_fma_f32 v92, 0x3fb8aa3b, v0, -v1
	s_delay_alu instid0(VALU_DEP_1) | instskip(SKIP_1) | instid1(VALU_DEP_2)
	v_dual_sub_f32 v1, v1, v91 :: v_dual_fmac_f32 v92, 0x32a5705f, v0
	v_cvt_i32_f32_e32 v91, v91
	v_add_f32_e32 v1, v1, v92
	s_delay_alu instid0(VALU_DEP_1) | instskip(SKIP_2) | instid1(VALU_DEP_1)
	v_exp_f32_e32 v1, v1
	s_waitcnt_depctr 0xfff
	v_ldexp_f32 v1, v1, v91
	v_cndmask_b32_e32 v1, 0, v1, vcc_lo
	v_cmp_nlt_f32_e32 vcc_lo, 0x42b17218, v0
	s_delay_alu instid0(VALU_DEP_2) | instskip(NEXT) | instid1(VALU_DEP_1)
	v_cndmask_b32_e32 v0, 0x7f800000, v1, vcc_lo
	v_add_f32_e32 v0, 1.0, v0
	s_delay_alu instid0(VALU_DEP_1)
	v_rcp_f32_e32 v0, v0
	s_waitcnt_depctr 0xfff
	v_fma_f32 v91, v0, -2.0, 1.0
.LBB65_27:                              ;   in Loop: Header=BB65_9 Depth=1
	s_and_not1_saveexec_b32 s18, s18
; %bb.28:                               ;   in Loop: Header=BB65_9 Depth=1
	v_mul_f32_e32 v0, v76, v76
	s_delay_alu instid0(VALU_DEP_1) | instskip(NEXT) | instid1(VALU_DEP_1)
	v_fmaak_f32 v1, s17, v0, 0x3ca908c9
	v_fmaak_f32 v1, v0, v1, 0xbd5c1c4e
	s_delay_alu instid0(VALU_DEP_1) | instskip(NEXT) | instid1(VALU_DEP_1)
	v_fmaak_f32 v1, v0, v1, 0x3e088382
	v_fmaak_f32 v1, v0, v1, 0xbeaaaa99
	s_delay_alu instid0(VALU_DEP_1) | instskip(NEXT) | instid1(VALU_DEP_1)
	v_mul_f32_e64 v1, |v76|, v1
	v_fma_f32 v91, v0, v1, |v76|
; %bb.29:                               ;   in Loop: Header=BB65_9 Depth=1
	s_or_b32 exec_lo, exec_lo, s18
	v_add_nc_u32_e32 v0, v90, v46
	v_cmp_ngt_f32_e64 s18, 0x3f200000, |v77|
                                        ; implicit-def: $vgpr92
	s_delay_alu instid0(VALU_DEP_2) | instskip(NEXT) | instid1(VALU_DEP_1)
	v_ashrrev_i32_e32 v1, 31, v0
	v_lshlrev_b64 v[0:1], 1, v[0:1]
	s_delay_alu instid0(VALU_DEP_1) | instskip(NEXT) | instid1(VALU_DEP_2)
	v_add_co_u32 v0, vcc_lo, s36, v0
	v_add_co_ci_u32_e32 v1, vcc_lo, s37, v1, vcc_lo
	flat_load_u16 v90, v[0:1]
	s_and_saveexec_b32 s19, s18
	s_delay_alu instid0(SALU_CYCLE_1)
	s_xor_b32 s18, exec_lo, s19
	s_cbranch_execz .LBB65_31
; %bb.30:                               ;   in Loop: Header=BB65_9 Depth=1
	v_add_f32_e64 v92, |v77|, |v77|
	s_delay_alu instid0(VALU_DEP_1) | instskip(SKIP_1) | instid1(VALU_DEP_2)
	v_mul_f32_e32 v93, 0x3fb8aa3b, v92
	v_cmp_ngt_f32_e32 vcc_lo, 0xc2ce8ed0, v92
	v_rndne_f32_e32 v94, v93
	v_fma_f32 v95, 0x3fb8aa3b, v92, -v93
	s_delay_alu instid0(VALU_DEP_2) | instskip(NEXT) | instid1(VALU_DEP_2)
	v_sub_f32_e32 v93, v93, v94
	v_fmac_f32_e32 v95, 0x32a5705f, v92
	v_cvt_i32_f32_e32 v94, v94
	s_delay_alu instid0(VALU_DEP_2) | instskip(NEXT) | instid1(VALU_DEP_1)
	v_add_f32_e32 v93, v93, v95
	v_exp_f32_e32 v93, v93
	s_waitcnt_depctr 0xfff
	v_ldexp_f32 v93, v93, v94
	s_delay_alu instid0(VALU_DEP_1) | instskip(SKIP_1) | instid1(VALU_DEP_2)
	v_cndmask_b32_e32 v93, 0, v93, vcc_lo
	v_cmp_nlt_f32_e32 vcc_lo, 0x42b17218, v92
	v_cndmask_b32_e32 v92, 0x7f800000, v93, vcc_lo
	s_delay_alu instid0(VALU_DEP_1) | instskip(NEXT) | instid1(VALU_DEP_1)
	v_add_f32_e32 v92, 1.0, v92
	v_rcp_f32_e32 v92, v92
	s_waitcnt_depctr 0xfff
	v_fma_f32 v92, v92, -2.0, 1.0
.LBB65_31:                              ;   in Loop: Header=BB65_9 Depth=1
	s_and_not1_saveexec_b32 s18, s18
; %bb.32:                               ;   in Loop: Header=BB65_9 Depth=1
	v_mul_f32_e32 v92, v77, v77
	s_delay_alu instid0(VALU_DEP_1) | instskip(NEXT) | instid1(VALU_DEP_1)
	v_fmaak_f32 v93, s17, v92, 0x3ca908c9
	v_fmaak_f32 v93, v92, v93, 0xbd5c1c4e
	s_delay_alu instid0(VALU_DEP_1) | instskip(NEXT) | instid1(VALU_DEP_1)
	v_fmaak_f32 v93, v92, v93, 0x3e088382
	v_fmaak_f32 v93, v92, v93, 0xbeaaaa99
	s_delay_alu instid0(VALU_DEP_1) | instskip(NEXT) | instid1(VALU_DEP_1)
	v_mul_f32_e64 v93, |v77|, v93
	v_fma_f32 v92, v92, v93, |v77|
; %bb.33:                               ;   in Loop: Header=BB65_9 Depth=1
	s_or_b32 exec_lo, exec_lo, s18
	flat_load_u16 v0, v[0:1] offset:64
	v_bfi_b32 v1, 0x7fffffff, v91, v76
	v_bfi_b32 v77, 0x7fffffff, v92, v77
	v_cmp_ngt_f32_e64 s18, 0x3f200000, |v74|
                                        ; implicit-def: $vgpr92
	s_waitcnt vmcnt(1) lgkmcnt(1)
	s_delay_alu instid0(VALU_DEP_3) | instskip(NEXT) | instid1(VALU_DEP_1)
	v_fma_mix_f32 v76, v1, s16, v90 op_sel_hi:[0,0,1]
	v_add_f32_e32 v1, 0x40051340, v76
	s_waitcnt vmcnt(0) lgkmcnt(0)
	v_fma_mix_f32 v77, v77, s16, v0 op_sel_hi:[0,0,1]
	s_delay_alu instid0(VALU_DEP_1) | instskip(NEXT) | instid1(VALU_DEP_1)
	v_add_f32_e32 v91, 0x40051340, v77
	v_max3_f32 v1, v73, v1, v91
	ds_bpermute_b32 v91, v2, v1
	s_waitcnt lgkmcnt(0)
	v_max_f32_e32 v91, v91, v91
	s_delay_alu instid0(VALU_DEP_1) | instskip(SKIP_3) | instid1(VALU_DEP_1)
	v_max_f32_e32 v1, v1, v91
	ds_bpermute_b32 v91, v6, v1
	s_waitcnt lgkmcnt(0)
	v_max_f32_e32 v91, v91, v91
	v_max_f32_e32 v1, v1, v91
	ds_bpermute_b32 v91, v5, v1
	s_waitcnt lgkmcnt(0)
	v_max_f32_e32 v91, v91, v91
	s_delay_alu instid0(VALU_DEP_1) | instskip(SKIP_3) | instid1(VALU_DEP_1)
	v_max_f32_e32 v1, v1, v91
	ds_bpermute_b32 v91, v4, v1
	s_waitcnt lgkmcnt(0)
	v_max_f32_e32 v91, v91, v91
	v_max_f32_e32 v1, v1, v91
	ds_bpermute_b32 v91, v3, v1
	s_and_saveexec_b32 s19, s18
	s_delay_alu instid0(SALU_CYCLE_1)
	s_xor_b32 s18, exec_lo, s19
	s_cbranch_execz .LBB65_35
; %bb.34:                               ;   in Loop: Header=BB65_9 Depth=1
	v_add_f32_e64 v92, |v74|, |v74|
	s_delay_alu instid0(VALU_DEP_1) | instskip(SKIP_1) | instid1(VALU_DEP_2)
	v_mul_f32_e32 v93, 0x3fb8aa3b, v92
	v_cmp_ngt_f32_e32 vcc_lo, 0xc2ce8ed0, v92
	v_rndne_f32_e32 v94, v93
	v_fma_f32 v95, 0x3fb8aa3b, v92, -v93
	s_delay_alu instid0(VALU_DEP_2) | instskip(NEXT) | instid1(VALU_DEP_2)
	v_sub_f32_e32 v93, v93, v94
	v_fmac_f32_e32 v95, 0x32a5705f, v92
	v_cvt_i32_f32_e32 v94, v94
	s_delay_alu instid0(VALU_DEP_2) | instskip(NEXT) | instid1(VALU_DEP_1)
	v_add_f32_e32 v93, v93, v95
	v_exp_f32_e32 v93, v93
	s_waitcnt_depctr 0xfff
	v_ldexp_f32 v93, v93, v94
	s_delay_alu instid0(VALU_DEP_1) | instskip(SKIP_1) | instid1(VALU_DEP_2)
	v_cndmask_b32_e32 v93, 0, v93, vcc_lo
	v_cmp_nlt_f32_e32 vcc_lo, 0x42b17218, v92
	v_cndmask_b32_e32 v92, 0x7f800000, v93, vcc_lo
	s_delay_alu instid0(VALU_DEP_1) | instskip(NEXT) | instid1(VALU_DEP_1)
	v_add_f32_e32 v92, 1.0, v92
	v_rcp_f32_e32 v92, v92
	s_waitcnt_depctr 0xfff
	v_fma_f32 v92, v92, -2.0, 1.0
.LBB65_35:                              ;   in Loop: Header=BB65_9 Depth=1
	s_and_not1_saveexec_b32 s18, s18
; %bb.36:                               ;   in Loop: Header=BB65_9 Depth=1
	v_mul_f32_e32 v92, v74, v74
	s_delay_alu instid0(VALU_DEP_1) | instskip(NEXT) | instid1(VALU_DEP_1)
	v_fmaak_f32 v93, s17, v92, 0x3ca908c9
	v_fmaak_f32 v93, v92, v93, 0xbd5c1c4e
	s_delay_alu instid0(VALU_DEP_1) | instskip(NEXT) | instid1(VALU_DEP_1)
	v_fmaak_f32 v93, v92, v93, 0x3e088382
	v_fmaak_f32 v93, v92, v93, 0xbeaaaa99
	s_delay_alu instid0(VALU_DEP_1) | instskip(NEXT) | instid1(VALU_DEP_1)
	v_mul_f32_e64 v93, |v74|, v93
	v_fma_f32 v92, v92, v93, |v74|
; %bb.37:                               ;   in Loop: Header=BB65_9 Depth=1
	s_or_b32 exec_lo, exec_lo, s18
	v_cmp_ngt_f32_e64 s18, 0x3f200000, |v75|
                                        ; implicit-def: $vgpr93
	s_delay_alu instid0(VALU_DEP_1) | instskip(NEXT) | instid1(SALU_CYCLE_1)
	s_and_saveexec_b32 s19, s18
	s_xor_b32 s18, exec_lo, s19
	s_cbranch_execz .LBB65_39
; %bb.38:                               ;   in Loop: Header=BB65_9 Depth=1
	v_add_f32_e64 v93, |v75|, |v75|
	s_delay_alu instid0(VALU_DEP_1) | instskip(SKIP_1) | instid1(VALU_DEP_2)
	v_mul_f32_e32 v94, 0x3fb8aa3b, v93
	v_cmp_ngt_f32_e32 vcc_lo, 0xc2ce8ed0, v93
	v_rndne_f32_e32 v95, v94
	v_fma_f32 v96, 0x3fb8aa3b, v93, -v94
	s_delay_alu instid0(VALU_DEP_2) | instskip(NEXT) | instid1(VALU_DEP_2)
	v_sub_f32_e32 v94, v94, v95
	v_fmac_f32_e32 v96, 0x32a5705f, v93
	v_cvt_i32_f32_e32 v95, v95
	s_delay_alu instid0(VALU_DEP_2) | instskip(NEXT) | instid1(VALU_DEP_1)
	v_add_f32_e32 v94, v94, v96
	v_exp_f32_e32 v94, v94
	s_waitcnt_depctr 0xfff
	v_ldexp_f32 v94, v94, v95
	s_delay_alu instid0(VALU_DEP_1) | instskip(SKIP_1) | instid1(VALU_DEP_2)
	v_cndmask_b32_e32 v94, 0, v94, vcc_lo
	v_cmp_nlt_f32_e32 vcc_lo, 0x42b17218, v93
	v_cndmask_b32_e32 v93, 0x7f800000, v94, vcc_lo
	s_delay_alu instid0(VALU_DEP_1) | instskip(NEXT) | instid1(VALU_DEP_1)
	v_add_f32_e32 v93, 1.0, v93
	v_rcp_f32_e32 v93, v93
	s_waitcnt_depctr 0xfff
	v_fma_f32 v93, v93, -2.0, 1.0
.LBB65_39:                              ;   in Loop: Header=BB65_9 Depth=1
	s_and_not1_saveexec_b32 s18, s18
; %bb.40:                               ;   in Loop: Header=BB65_9 Depth=1
	v_mul_f32_e32 v93, v75, v75
	s_delay_alu instid0(VALU_DEP_1) | instskip(NEXT) | instid1(VALU_DEP_1)
	v_fmaak_f32 v94, s17, v93, 0x3ca908c9
	v_fmaak_f32 v94, v93, v94, 0xbd5c1c4e
	s_delay_alu instid0(VALU_DEP_1) | instskip(NEXT) | instid1(VALU_DEP_1)
	v_fmaak_f32 v94, v93, v94, 0x3e088382
	v_fmaak_f32 v94, v93, v94, 0xbeaaaa99
	s_delay_alu instid0(VALU_DEP_1) | instskip(NEXT) | instid1(VALU_DEP_1)
	v_mul_f32_e64 v94, |v75|, v94
	v_fma_f32 v93, v93, v94, |v75|
; %bb.41:                               ;   in Loop: Header=BB65_9 Depth=1
	s_or_b32 exec_lo, exec_lo, s18
	s_mul_hi_i32 s19, s3, s10
	s_mul_i32 s18, s3, s10
	s_waitcnt lgkmcnt(0)
	s_lshl_b64 s[18:19], s[18:19], 2
	s_barrier
	s_add_u32 s18, s11, s18
	s_addc_u32 s19, s13, s19
	v_add_co_u32 v94, vcc_lo, s18, v20
	v_add_co_ci_u32_e32 v95, vcc_lo, s19, v21, vcc_lo
	v_add_co_u32 v96, vcc_lo, s18, v22
	v_add_co_ci_u32_e32 v97, vcc_lo, s19, v23, vcc_lo
	s_delay_alu instid0(VALU_DEP_4) | instskip(NEXT) | instid1(VALU_DEP_4)
	v_add_co_u32 v94, vcc_lo, v94, v44
	v_add_co_ci_u32_e32 v95, vcc_lo, 0, v95, vcc_lo
	s_delay_alu instid0(VALU_DEP_4) | instskip(NEXT) | instid1(VALU_DEP_4)
	v_add_co_u32 v98, vcc_lo, v96, v44
	v_add_co_ci_u32_e32 v99, vcc_lo, 0, v97, vcc_lo
	v_add_co_u32 v96, vcc_lo, s18, v24
	v_add_co_ci_u32_e32 v97, vcc_lo, s19, v25, vcc_lo
	v_add_co_u32 v100, vcc_lo, s18, v26
	v_add_co_ci_u32_e32 v101, vcc_lo, s19, v27, vcc_lo
	s_delay_alu instid0(VALU_DEP_4) | instskip(NEXT) | instid1(VALU_DEP_4)
	v_add_co_u32 v102, vcc_lo, v96, v44
	v_add_co_ci_u32_e32 v103, vcc_lo, 0, v97, vcc_lo
	s_delay_alu instid0(VALU_DEP_4) | instskip(NEXT) | instid1(VALU_DEP_4)
	v_add_co_u32 v106, vcc_lo, v100, v44
	v_add_co_ci_u32_e32 v107, vcc_lo, 0, v101, vcc_lo
	buffer_gl0_inv
	s_clause 0x3
	global_load_b128 v[94:97], v[94:95], off
	global_load_b128 v[98:101], v[98:99], off
	;; [unrolled: 1-line block ×4, first 2 shown]
	v_cvt_f32_f16_e32 v90, v90
	v_cvt_f32_f16_e32 v110, v0
	v_bfi_b32 v0, 0x7fffffff, v92, v74
	v_bfi_b32 v74, 0x7fffffff, v93, v75
	v_max_f32_e32 v75, v79, v79
	v_dual_max_f32 v79, v89, v89 :: v_dual_max_f32 v88, v88, v88
	s_delay_alu instid0(VALU_DEP_4) | instskip(NEXT) | instid1(VALU_DEP_4)
	v_dual_max_f32 v89, v78, v78 :: v_dual_fmac_f32 v90, s16, v0
	v_dual_fmac_f32 v110, s16, v74 :: v_dual_max_f32 v91, v91, v91
	v_max_f32_e32 v92, v1, v1
	s_delay_alu instid0(VALU_DEP_3) | instskip(NEXT) | instid1(VALU_DEP_3)
	v_dual_max_f32 v1, v89, v75 :: v_dual_add_f32 v0, 0x40051340, v90
	v_add_f32_e32 v74, 0x40051340, v110
	s_or_b32 s18, s3, 32
	s_delay_alu instid0(VALU_DEP_2) | instskip(SKIP_1) | instid1(VALU_DEP_2)
	v_sub_f32_e32 v72, v72, v1
	s_mul_hi_i32 s19, s18, s10
	v_max3_f32 v74, v70, v0, v74
	v_max_f32_e32 v0, v88, v79
	s_mul_i32 s18, s18, s10
	s_delay_alu instid0(SALU_CYCLE_1)
	s_lshl_b64 s[18:19], s[18:19], 2
	ds_bpermute_b32 v79, v2, v74
	v_sub_f32_e32 v75, v85, v0
	v_sub_f32_e32 v85, v87, v1
	v_dual_sub_f32 v71, v71, v0 :: v_dual_max_f32 v2, v92, v91
	v_dual_sub_f32 v7, v7, v0 :: v_dual_sub_f32 v86, v86, v1
	s_delay_alu instid0(VALU_DEP_4) | instskip(NEXT) | instid1(VALU_DEP_3)
	v_mul_f32_e32 v87, 0x3fb8aa3b, v75
	v_dual_mul_f32 v89, 0x3fb8aa3b, v85 :: v_dual_sub_f32 v76, v76, v2
	v_dual_sub_f32 v77, v77, v2 :: v_dual_add_nc_u32 v78, 0x800, v48
	s_delay_alu instid0(VALU_DEP_3) | instskip(NEXT) | instid1(VALU_DEP_3)
	v_fma_f32 v115, 0x3fb8aa3b, v75, -v87
	v_fma_f32 v116, 0x3fb8aa3b, v85, -v89
	v_mul_f32_e32 v91, 0x3fb8aa3b, v7
	v_rndne_f32_e32 v117, v89
	v_mul_f32_e32 v112, 0x3fb8aa3b, v77
	v_dual_sub_f32 v73, v73, v2 :: v_dual_add_nc_u32 v88, v47, v48
	s_waitcnt lgkmcnt(0)
	v_dual_fmac_f32 v116, 0x32a5705f, v85 :: v_dual_max_f32 v79, v79, v79
	v_mul_f32_e32 v113, 0x3fb8aa3b, v76
	v_fma_f32 v126, 0x3fb8aa3b, v77, -v112
	v_fma_f32 v118, 0x3fb8aa3b, v7, -v91
	v_rndne_f32_e32 v127, v112
	v_max_f32_e32 v74, v74, v79
	v_rndne_f32_e32 v79, v87
	s_delay_alu instid0(VALU_DEP_4)
	v_dual_sub_f32 v89, v89, v117 :: v_dual_fmac_f32 v118, 0x32a5705f, v7
	v_dual_mul_f32 v92, 0x3fb8aa3b, v71 :: v_dual_mul_f32 v93, 0x3fb8aa3b, v86
	ds_bpermute_b32 v6, v6, v74
	v_fmac_f32_e32 v115, 0x32a5705f, v75
	v_dual_mul_f32 v111, 0x3fb8aa3b, v72 :: v_dual_mul_f32 v114, 0x3fb8aa3b, v73
	v_dual_sub_f32 v112, v112, v127 :: v_dual_add_f32 v89, v89, v116
	v_rndne_f32_e32 v119, v91
	v_fma_f32 v120, 0x3fb8aa3b, v71, -v92
	v_rndne_f32_e32 v121, v92
	v_fma_f32 v122, 0x3fb8aa3b, v86, -v93
	;; [unrolled: 2-line block ×3, first 2 shown]
	v_rndne_f32_e32 v125, v111
	v_rndne_f32_e32 v129, v113
	v_fma_f32 v130, 0x3fb8aa3b, v73, -v114
	v_rndne_f32_e32 v131, v114
	v_exp_f32_e32 v89, v89
	v_fma_f32 v128, 0x3fb8aa3b, v76, -v113
	v_cvt_i32_f32_e32 v117, v117
	s_waitcnt lgkmcnt(0)
	v_dual_sub_f32 v91, v91, v119 :: v_dual_max_f32 v6, v6, v6
	v_sub_f32_e32 v87, v87, v79
	v_cvt_i32_f32_e32 v79, v79
	v_dual_fmac_f32 v120, 0x32a5705f, v71 :: v_dual_sub_f32 v111, v111, v125
	s_delay_alu instid0(VALU_DEP_4) | instskip(NEXT) | instid1(VALU_DEP_4)
	v_max_f32_e32 v6, v74, v6
	v_dual_fmac_f32 v126, 0x32a5705f, v77 :: v_dual_add_f32 v87, v87, v115
	v_sub_f32_e32 v74, v92, v121
	v_dual_fmac_f32 v122, 0x32a5705f, v86 :: v_dual_sub_f32 v93, v93, v123
	ds_bpermute_b32 v5, v5, v6
	v_exp_f32_e32 v87, v87
	v_dual_fmac_f32 v124, 0x32a5705f, v72 :: v_dual_sub_f32 v113, v113, v129
	v_dual_fmac_f32 v130, 0x32a5705f, v73 :: v_dual_add_f32 v93, v93, v122
	s_delay_alu instid0(VALU_DEP_2)
	v_dual_sub_f32 v114, v114, v131 :: v_dual_add_f32 v111, v111, v124
	v_cmp_ngt_f32_e32 vcc_lo, 0xc2ce8ed0, v75
	v_dual_fmac_f32 v128, 0x32a5705f, v76 :: v_dual_add_f32 v91, v91, v118
	s_waitcnt_depctr 0xfff
	v_ldexp_f32 v79, v87, v79
	v_add_f32_e32 v74, v74, v120
	v_add_f32_e32 v114, v114, v130
	v_ldexp_f32 v87, v89, v117
	v_cvt_i32_f32_e32 v119, v119
	v_cndmask_b32_e32 v79, 0, v79, vcc_lo
	v_cmp_ngt_f32_e32 vcc_lo, 0xc2ce8ed0, v85
	v_cvt_i32_f32_e32 v92, v121
	v_cvt_i32_f32_e32 v121, v123
	s_waitcnt lgkmcnt(0)
	v_max_f32_e32 v5, v5, v5
	v_exp_f32_e32 v74, v74
	v_cndmask_b32_e32 v87, 0, v87, vcc_lo
	v_cmp_ngt_f32_e32 vcc_lo, 0xc2ce8ed0, v7
	v_dual_add_f32 v112, v112, v126 :: v_dual_add_f32 v113, v113, v128
	v_max_f32_e32 v5, v6, v5
	v_exp_f32_e32 v6, v91
	v_exp_f32_e32 v91, v93
	;; [unrolled: 1-line block ×3, first 2 shown]
	v_cvt_i32_f32_e32 v123, v125
	v_ldexp_f32 v74, v74, v92
	v_exp_f32_e32 v111, v112
	v_cvt_i32_f32_e32 v125, v127
	v_exp_f32_e32 v112, v113
	v_cvt_i32_f32_e32 v127, v129
	v_exp_f32_e32 v113, v114
	v_ldexp_f32 v6, v6, v119
	v_ldexp_f32 v89, v91, v121
	;; [unrolled: 1-line block ×3, first 2 shown]
	v_cvt_i32_f32_e32 v114, v131
	s_add_u32 s18, s11, s18
	v_cndmask_b32_e32 v6, 0, v6, vcc_lo
	ds_bpermute_b32 v4, v4, v5
	v_cmp_ngt_f32_e32 vcc_lo, 0xc2ce8ed0, v71
	v_ldexp_f32 v92, v111, v125
	v_ldexp_f32 v93, v112, v127
	v_ldexp_f32 v111, v113, v114
	s_addc_u32 s19, s13, s19
	v_cndmask_b32_e32 v74, 0, v74, vcc_lo
	v_cmp_ngt_f32_e32 vcc_lo, 0xc2ce8ed0, v86
	v_cndmask_b32_e32 v89, 0, v89, vcc_lo
	v_cmp_ngt_f32_e32 vcc_lo, 0xc2ce8ed0, v72
	s_waitcnt lgkmcnt(0)
	v_max_f32_e32 v4, v4, v4
	s_delay_alu instid0(VALU_DEP_1)
	v_dual_max_f32 v4, v5, v4 :: v_dual_cndmask_b32 v5, 0, v91
	v_cmp_ngt_f32_e32 vcc_lo, 0xc2ce8ed0, v77
	ds_bpermute_b32 v3, v3, v4
	v_cndmask_b32_e32 v91, 0, v92, vcc_lo
	v_cmp_ngt_f32_e32 vcc_lo, 0xc2ce8ed0, v76
	v_cndmask_b32_e32 v92, 0, v93, vcc_lo
	v_cmp_ngt_f32_e32 vcc_lo, 0xc2ce8ed0, v73
	v_cndmask_b32_e32 v93, 0, v111, vcc_lo
	v_cmp_nlt_f32_e32 vcc_lo, 0x42b17218, v75
	v_cndmask_b32_e32 v75, 0x7f800000, v79, vcc_lo
	v_cmp_nlt_f32_e32 vcc_lo, 0x42b17218, v85
	s_waitcnt lgkmcnt(0)
	v_max_f32_e32 v3, v3, v3
	v_cndmask_b32_e32 v79, 0x7f800000, v87, vcc_lo
	v_cmp_nlt_f32_e32 vcc_lo, 0x42b17218, v7
	s_delay_alu instid0(VALU_DEP_3) | instskip(NEXT) | instid1(VALU_DEP_3)
	v_max_f32_e32 v3, v4, v3
	v_cvt_f16_f32_e32 v4, v79
	v_cndmask_b32_e32 v6, 0x7f800000, v6, vcc_lo
	v_cmp_nlt_f32_e32 vcc_lo, 0x42b17218, v71
	v_cndmask_b32_e32 v7, 0x7f800000, v74, vcc_lo
	v_cmp_nlt_f32_e32 vcc_lo, 0x42b17218, v86
	v_dual_sub_f32 v86, v110, v3 :: v_dual_cndmask_b32 v71, 0x7f800000, v89
	v_cmp_nlt_f32_e32 vcc_lo, 0x42b17218, v72
	s_delay_alu instid0(VALU_DEP_2)
	v_mul_f32_e32 v89, 0x3fb8aa3b, v86
	v_cndmask_b32_e32 v5, 0x7f800000, v5, vcc_lo
	v_cmp_nlt_f32_e32 vcc_lo, 0x42b17218, v77
	v_cndmask_b32_e32 v72, 0x7f800000, v91, vcc_lo
	v_cmp_nlt_f32_e32 vcc_lo, 0x42b17218, v76
	;; [unrolled: 2-line block ×3, first 2 shown]
	v_fma_f32 v92, 0x3fb8aa3b, v86, -v89
	s_delay_alu instid0(VALU_DEP_3) | instskip(NEXT) | instid1(VALU_DEP_2)
	v_dual_add_f32 v76, v77, v72 :: v_dual_cndmask_b32 v73, 0x7f800000, v93
	v_fmac_f32_e32 v92, 0x32a5705f, v86
	v_rndne_f32_e32 v93, v89
	v_sub_f32_e32 v70, v70, v3
	v_cvt_f16_f32_e32 v110, v5
	v_fmac_f32_e32 v76, v9, v73
	v_add_f32_e32 v74, v6, v75
	v_cvt_f16_f32_e32 v85, v75
	v_add_f32_e32 v75, v79, v71
	v_sub_f32_e32 v79, v90, v3
	v_sub_f32_e32 v89, v89, v93
	v_cvt_f16_f32_e32 v111, v7
	v_dual_mul_f32 v113, 0x3fb8aa3b, v70 :: v_dual_fmac_f32 v74, v11, v7
	s_delay_alu instid0(VALU_DEP_4) | instskip(SKIP_1) | instid1(VALU_DEP_4)
	v_mul_f32_e32 v87, 0x3fb8aa3b, v79
	v_fmac_f32_e32 v75, v10, v5
	v_pk_mul_f16 v114, v111, v69 op_sel_hi:[0,1]
	s_delay_alu instid0(VALU_DEP_4)
	v_fma_f32 v11, 0x3fb8aa3b, v70, -v113
	v_pk_mul_f16 v115, v111, v68 op_sel_hi:[0,1]
	v_fma_f32 v90, 0x3fb8aa3b, v79, -v87
	v_rndne_f32_e32 v91, v87
	v_cvt_i32_f32_e32 v68, v93
	v_cmp_ngt_f32_e32 vcc_lo, 0xc2ce8ed0, v79
	s_delay_alu instid0(VALU_DEP_4) | instskip(NEXT) | instid1(VALU_DEP_4)
	v_dual_fmac_f32 v11, 0x32a5705f, v70 :: v_dual_fmac_f32 v90, 0x32a5705f, v79
	v_sub_f32_e32 v87, v87, v91
	v_cvt_f16_f32_e32 v6, v6
	v_cvt_f16_f32_e32 v71, v71
	v_cvt_f16_f32_e32 v72, v72
	v_cvt_f16_f32_e32 v77, v77
	v_add_f32_e32 v7, v87, v90
	v_add_f32_e32 v87, v89, v92
	v_rndne_f32_e32 v89, v113
	v_pack_b32_f16 v4, v6, v4
	v_pack_b32_f16 v6, v85, v71
	v_exp_f32_e32 v7, v7
	v_exp_f32_e32 v69, v87
	v_sub_f32_e32 v87, v113, v89
	v_pk_mul_f16 v113, v111, v67 op_sel_hi:[0,1]
	v_cvt_i32_f32_e32 v67, v91
	v_pk_mul_f16 v116, v110, v66 op_sel_hi:[0,1]
	v_cvt_f16_f32_e32 v112, v73
	v_pk_mul_f16 v63, v110, v63 op_sel_hi:[0,1]
	v_pk_mul_f16 v64, v110, v64 op_sel_hi:[0,1]
	s_delay_alu instid0(TRANS32_DEP_2) | instskip(NEXT) | instid1(TRANS32_DEP_1)
	v_ldexp_f32 v5, v7, v67
	v_ldexp_f32 v7, v69, v68
	v_pk_mul_f16 v61, v112, v61 op_sel_hi:[0,1]
	v_pk_mul_f16 v59, v112, v59 op_sel_hi:[0,1]
	;; [unrolled: 1-line block ×3, first 2 shown]
	v_cndmask_b32_e32 v5, 0, v5, vcc_lo
	v_cmp_ngt_f32_e32 vcc_lo, 0xc2ce8ed0, v86
	v_cndmask_b32_e32 v7, 0, v7, vcc_lo
	v_cmp_nlt_f32_e32 vcc_lo, 0x42b17218, v79
	s_delay_alu instid0(VALU_DEP_4) | instskip(SKIP_1) | instid1(VALU_DEP_4)
	v_cndmask_b32_e32 v79, 0x7f800000, v5, vcc_lo
	v_cmp_nlt_f32_e32 vcc_lo, 0x42b17218, v86
	v_cndmask_b32_e32 v86, 0x7f800000, v7, vcc_lo
	v_add_f32_e32 v11, v87, v11
	s_delay_alu instid0(VALU_DEP_4) | instskip(SKIP_1) | instid1(VALU_DEP_3)
	v_cvt_f16_f32_e32 v7, v79
	v_cmp_ngt_f32_e32 vcc_lo, 0xc2ce8ed0, v70
	v_exp_f32_e32 v10, v11
	v_cvt_i32_f32_e32 v11, v89
	s_waitcnt_depctr 0xfff
	v_ldexp_f32 v5, v10, v11
	v_cvt_f16_f32_e32 v10, v86
	s_delay_alu instid0(VALU_DEP_2) | instskip(SKIP_1) | instid1(VALU_DEP_3)
	v_cndmask_b32_e32 v11, 0, v5, vcc_lo
	v_pack_b32_f16 v5, v77, v7
	v_pack_b32_f16 v7, v72, v10
	v_cmp_nlt_f32_e32 vcc_lo, 0x42b17218, v70
	ds_store_2addr_b64 v88, v[4:5], v[6:7] offset1:32
	s_waitcnt vmcnt(3)
	ds_store_b128 v49, v[94:97]
	s_waitcnt vmcnt(2)
	ds_store_b128 v50, v[98:101]
	;; [unrolled: 2-line block ×4, first 2 shown]
	s_waitcnt lgkmcnt(0)
	s_barrier
	buffer_gl0_inv
	ds_load_2addr_b64 v[4:7], v48 offset1:32
	ds_load_b128 v[66:69], v47
	v_cndmask_b32_e32 v9, 0x7f800000, v11, vcc_lo
	v_add_f32_e32 v77, v79, v86
	v_add_co_u32 v189, vcc_lo, s18, v20
	v_add_co_ci_u32_e32 v190, vcc_lo, s19, v21, vcc_lo
	s_delay_alu instid0(VALU_DEP_4) | instskip(NEXT) | instid1(VALU_DEP_4)
	v_cvt_f16_f32_e32 v10, v9
	v_fmac_f32_e32 v77, v8, v9
	v_add_co_u32 v191, vcc_lo, s18, v22
	v_add_co_ci_u32_e32 v192, vcc_lo, s19, v23, vcc_lo
	s_delay_alu instid0(VALU_DEP_4)
	v_pk_mul_f16 v79, v10, v56 op_sel_hi:[0,1]
	v_pk_mul_f16 v109, v10, v57 op_sel_hi:[0,1]
	v_pk_mul_f16 v117, v10, v55 op_sel_hi:[0,1]
	v_pk_mul_f16 v118, v10, v54 op_sel_hi:[0,1]
	ds_load_b128 v[8:11], v47 offset:16
	ds_load_b128 v[54:57], v47 offset:32
	;; [unrolled: 1-line block ×3, first 2 shown]
	ds_load_2addr_b64 v[85:88], v48 offset0:64 offset1:96
	ds_load_2addr_b64 v[89:92], v48 offset0:128 offset1:160
	;; [unrolled: 1-line block ×3, first 2 shown]
	ds_load_2addr_b64 v[97:100], v78 offset1:32
	ds_load_2addr_b64 v[101:104], v78 offset0:64 offset1:96
	ds_load_2addr_b64 v[105:108], v78 offset0:128 offset1:160
	v_add_co_u32 v189, vcc_lo, v189, v44
	s_waitcnt lgkmcnt(9)
	v_pk_mul_f16 v119, v4, v66 op_sel_hi:[1,0]
	v_pk_mul_f16 v120, v4, v66 op_sel:[0,1]
	v_pk_mul_f16 v121, v4, v67 op_sel_hi:[1,0]
	v_pk_fma_f16 v4, v4, v67, v79 op_sel:[0,1,0]
	v_pk_fma_f16 v79, v5, v66, v114 op_sel_hi:[1,0,1]
	v_pk_fma_f16 v114, v5, v66, v116 op_sel:[0,1,0]
	v_pk_fma_f16 v61, v5, v67, v61 op_sel_hi:[1,0,1]
	;; [unrolled: 2-line block ×7, first 2 shown]
	v_pk_fma_f16 v62, v110, v62, v120 op_sel_hi:[0,1,1]
	v_pk_fma_f16 v58, v112, v58, v121 op_sel_hi:[0,1,1]
	s_waitcnt lgkmcnt(5)
	v_pk_fma_f16 v4, v85, v69, v4 op_sel:[0,1,0]
	v_pk_fma_f16 v66, v86, v68, v79 op_sel_hi:[1,0,1]
	v_pk_fma_f16 v67, v86, v68, v114 op_sel:[0,1,0]
	v_pk_fma_f16 v61, v86, v69, v61 op_sel_hi:[1,0,1]
	v_pk_fma_f16 v5, v86, v69, v5 op_sel:[0,1,0]
	v_pk_fma_f16 v79, v87, v68, v109 op_sel_hi:[1,0,1]
	v_pk_fma_f16 v63, v87, v68, v63 op_sel:[0,1,0]
	v_pk_fma_f16 v6, v87, v69, v6 op_sel:[0,1,0]
	v_pk_fma_f16 v86, v88, v68, v113 op_sel_hi:[1,0,1]
	v_pk_fma_f16 v64, v88, v68, v64 op_sel:[0,1,0]
	v_pk_fma_f16 v7, v88, v69, v7 op_sel:[0,1,0]
	v_pk_fma_f16 v65, v85, v68, v65 op_sel_hi:[1,0,1]
	v_pk_fma_f16 v62, v85, v68, v62 op_sel:[0,1,0]
	v_pk_fma_f16 v59, v87, v69, v59 op_sel_hi:[1,0,1]
	v_pk_fma_f16 v60, v88, v69, v60 op_sel_hi:[1,0,1]
	v_pk_fma_f16 v58, v85, v69, v58 op_sel_hi:[1,0,1]
	s_waitcnt lgkmcnt(4)
	v_pk_fma_f16 v4, v89, v9, v4 op_sel:[0,1,0]
	v_pk_fma_f16 v66, v90, v8, v66 op_sel_hi:[1,0,1]
	v_pk_fma_f16 v67, v90, v8, v67 op_sel:[0,1,0]
	v_pk_fma_f16 v61, v90, v9, v61 op_sel_hi:[1,0,1]
	v_pk_fma_f16 v5, v90, v9, v5 op_sel:[0,1,0]
	v_pk_fma_f16 v68, v91, v8, v79 op_sel_hi:[1,0,1]
	v_pk_fma_f16 v63, v91, v8, v63 op_sel:[0,1,0]
	v_pk_fma_f16 v6, v91, v9, v6 op_sel:[0,1,0]
	v_pk_fma_f16 v69, v92, v8, v86 op_sel_hi:[1,0,1]
	v_pk_fma_f16 v64, v92, v8, v64 op_sel:[0,1,0]
	v_pk_fma_f16 v7, v92, v9, v7 op_sel:[0,1,0]
	v_pk_fma_f16 v65, v89, v8, v65 op_sel_hi:[1,0,1]
	v_pk_fma_f16 v8, v89, v8, v62 op_sel:[0,1,0]
	v_pk_fma_f16 v59, v91, v9, v59 op_sel_hi:[1,0,1]
	;; [unrolled: 17-line block ×3, first 2 shown]
	v_pk_fma_f16 v60, v96, v11, v60 op_sel_hi:[1,0,1]
	v_pk_fma_f16 v9, v93, v11, v9 op_sel_hi:[1,0,1]
	s_waitcnt lgkmcnt(2)
	v_pk_fma_f16 v4, v97, v55, v4 op_sel:[0,1,0]
	v_pk_fma_f16 v10, v98, v54, v58 op_sel_hi:[1,0,1]
	v_pk_fma_f16 v11, v98, v54, v62 op_sel:[0,1,0]
	v_pk_fma_f16 v58, v98, v55, v61 op_sel_hi:[1,0,1]
	;; [unrolled: 2-line block ×3, first 2 shown]
	v_pk_fma_f16 v62, v99, v54, v63 op_sel:[0,1,0]
	v_pk_fma_f16 v6, v99, v55, v6 op_sel:[0,1,0]
	v_pk_fma_f16 v63, v100, v54, v67 op_sel_hi:[1,0,1]
	v_pk_fma_f16 v64, v100, v54, v64 op_sel:[0,1,0]
	v_pk_fma_f16 v65, v97, v54, v65 op_sel_hi:[1,0,1]
	v_pk_fma_f16 v8, v97, v54, v8 op_sel:[0,1,0]
	v_pk_fma_f16 v7, v100, v55, v7 op_sel:[0,1,0]
	v_pk_fma_f16 v59, v99, v55, v59 op_sel_hi:[1,0,1]
	v_pk_fma_f16 v9, v97, v55, v9 op_sel_hi:[1,0,1]
	;; [unrolled: 1-line block ×3, first 2 shown]
	s_waitcnt lgkmcnt(1)
	v_pk_fma_f16 v55, v101, v56, v65 op_sel_hi:[1,0,1]
	v_pk_fma_f16 v8, v101, v56, v8 op_sel:[0,1,0]
	v_pk_fma_f16 v60, v101, v57, v4 op_sel:[0,1,0]
	v_pk_fma_f16 v10, v102, v56, v10 op_sel_hi:[1,0,1]
	v_pk_fma_f16 v11, v102, v56, v11 op_sel:[0,1,0]
	v_pk_fma_f16 v65, v102, v57, v5 op_sel:[0,1,0]
	;; [unrolled: 3-line block ×4, first 2 shown]
	ds_load_2addr_b64 v[4:7], v78 offset0:192 offset1:224
	v_pk_fma_f16 v9, v101, v57, v9 op_sel_hi:[1,0,1]
	v_pk_fma_f16 v58, v102, v57, v58 op_sel_hi:[1,0,1]
	;; [unrolled: 1-line block ×3, first 2 shown]
	s_waitcnt lgkmcnt(1)
	v_pk_fma_f16 v67, v105, v70, v55 op_sel_hi:[1,0,1]
	v_add_nc_u32_e32 v55, 0x1000, v48
	v_pk_fma_f16 v54, v104, v57, v54 op_sel_hi:[1,0,1]
	v_pk_fma_f16 v68, v105, v70, v8 op_sel:[0,1,0]
	v_pk_fma_f16 v69, v105, v71, v9 op_sel_hi:[1,0,1]
	v_pk_fma_f16 v60, v105, v71, v60 op_sel:[0,1,0]
	;; [unrolled: 2-line block ×3, first 2 shown]
	v_pk_fma_f16 v86, v106, v71, v58 op_sel_hi:[1,0,1]
	v_pk_fma_f16 v61, v107, v70, v61 op_sel_hi:[1,0,1]
	v_pk_fma_f16 v62, v107, v70, v62 op_sel:[0,1,0]
	v_pk_fma_f16 v87, v107, v71, v59 op_sel_hi:[1,0,1]
	v_pk_fma_f16 v63, v108, v70, v63 op_sel_hi:[1,0,1]
	v_pk_fma_f16 v70, v108, v70, v56 op_sel:[0,1,0]
	ds_load_2addr_b64 v[8:11], v55 offset1:32
	ds_load_b128 v[56:59], v47 offset:64
	v_pk_fma_f16 v65, v106, v71, v65 op_sel:[0,1,0]
	v_pk_fma_f16 v66, v107, v71, v66 op_sel:[0,1,0]
	v_pk_fma_f16 v54, v108, v71, v54 op_sel_hi:[1,0,1]
	v_pk_fma_f16 v64, v108, v71, v64 op_sel:[0,1,0]
	s_waitcnt lgkmcnt(2)
	v_pk_fma_f16 v71, v4, v73, v60 op_sel:[0,1,0]
	v_pk_fma_f16 v88, v6, v72, v61 op_sel_hi:[1,0,1]
	v_pk_fma_f16 v89, v6, v72, v62 op_sel:[0,1,0]
	v_pk_fma_f16 v90, v7, v72, v63 op_sel_hi:[1,0,1]
	ds_load_2addr_b64 v[60:63], v55 offset0:64 offset1:96
	v_pk_fma_f16 v67, v4, v72, v67 op_sel_hi:[1,0,1]
	v_pk_fma_f16 v68, v4, v72, v68 op_sel:[0,1,0]
	v_pk_fma_f16 v69, v4, v73, v69 op_sel_hi:[1,0,1]
	v_pk_fma_f16 v79, v5, v72, v79 op_sel_hi:[1,0,1]
	v_pk_fma_f16 v85, v5, v72, v85 op_sel:[0,1,0]
	v_pk_fma_f16 v86, v5, v73, v86 op_sel_hi:[1,0,1]
	v_pk_fma_f16 v65, v5, v73, v65 op_sel:[0,1,0]
	;; [unrolled: 2-line block ×3, first 2 shown]
	v_pk_fma_f16 v70, v7, v72, v70 op_sel:[0,1,0]
	v_pk_fma_f16 v54, v7, v73, v54 op_sel_hi:[1,0,1]
	v_pk_fma_f16 v72, v7, v73, v64 op_sel:[0,1,0]
	ds_load_b128 v[4:7], v47 offset:80
	s_waitcnt lgkmcnt(2)
	v_pk_fma_f16 v73, v8, v56, v67 op_sel_hi:[1,0,1]
	v_pk_fma_f16 v68, v8, v56, v68 op_sel:[0,1,0]
	v_pk_fma_f16 v69, v8, v57, v69 op_sel_hi:[1,0,1]
	v_pk_fma_f16 v8, v8, v57, v71 op_sel:[0,1,0]
	;; [unrolled: 2-line block ×6, first 2 shown]
	ds_load_2addr_b64 v[64:67], v55 offset0:128 offset1:160
	v_pk_fma_f16 v89, v11, v56, v90 op_sel_hi:[1,0,1]
	v_pk_fma_f16 v56, v11, v56, v70 op_sel:[0,1,0]
	v_pk_fma_f16 v54, v11, v57, v54 op_sel_hi:[1,0,1]
	v_pk_fma_f16 v57, v11, v57, v72 op_sel:[0,1,0]
	s_waitcnt lgkmcnt(2)
	v_pk_fma_f16 v70, v60, v58, v73 op_sel_hi:[1,0,1]
	v_pk_fma_f16 v68, v60, v58, v68 op_sel:[0,1,0]
	v_pk_fma_f16 v69, v60, v59, v69 op_sel_hi:[1,0,1]
	v_pk_fma_f16 v60, v60, v59, v8 op_sel:[0,1,0]
	;; [unrolled: 2-line block ×6, first 2 shown]
	ds_load_2addr_b64 v[8:11], v55 offset0:192 offset1:224
	v_add_co_ci_u32_e32 v190, vcc_lo, 0, v190, vcc_lo
	v_add_co_u32 v193, vcc_lo, v191, v44
	v_add_co_ci_u32_e32 v194, vcc_lo, 0, v192, vcc_lo
	v_add_co_u32 v191, vcc_lo, s18, v24
	v_add_co_ci_u32_e32 v192, vcc_lo, s19, v25, vcc_lo
	v_pk_fma_f16 v87, v63, v58, v89 op_sel_hi:[1,0,1]
	v_pk_fma_f16 v56, v63, v58, v56 op_sel:[0,1,0]
	v_pk_fma_f16 v54, v63, v59, v54 op_sel_hi:[1,0,1]
	v_pk_fma_f16 v57, v63, v59, v57 op_sel:[0,1,0]
	s_waitcnt lgkmcnt(1)
	v_pk_fma_f16 v58, v64, v4, v70 op_sel_hi:[1,0,1]
	v_pk_fma_f16 v59, v64, v4, v68 op_sel:[0,1,0]
	v_pk_fma_f16 v63, v64, v5, v69 op_sel_hi:[1,0,1]
	v_pk_fma_f16 v60, v64, v5, v60 op_sel:[0,1,0]
	v_add_co_u32 v195, vcc_lo, s18, v26
	v_add_co_ci_u32_e32 v196, vcc_lo, s19, v27, vcc_lo
	v_add_co_u32 v197, vcc_lo, v191, v44
	v_pk_fma_f16 v64, v65, v4, v71 op_sel_hi:[1,0,1]
	v_pk_fma_f16 v205, v65, v4, v72 op_sel:[0,1,0]
	v_pk_fma_f16 v73, v65, v5, v73 op_sel_hi:[1,0,1]
	v_pk_fma_f16 v206, v65, v5, v61 op_sel:[0,1,0]
	;; [unrolled: 2-line block ×6, first 2 shown]
	s_waitcnt lgkmcnt(0)
	v_pk_fma_f16 v214, v8, v6, v58 op_sel_hi:[1,0,1]
	v_add_nc_u32_e32 v56, 0x1800, v48
	v_pk_fma_f16 v215, v8, v6, v59 op_sel:[0,1,0]
	v_pk_fma_f16 v216, v8, v7, v63 op_sel_hi:[1,0,1]
	v_pk_fma_f16 v217, v8, v7, v60 op_sel:[0,1,0]
	v_add_nc_u32_e32 v54, 0x2000, v48
	v_add_nc_u32_e32 v8, 0x2800, v48
	;; [unrolled: 1-line block ×4, first 2 shown]
	v_add_co_ci_u32_e32 v198, vcc_lo, 0, v192, vcc_lo
	v_add_co_u32 v201, vcc_lo, v195, v44
	v_add_co_ci_u32_e32 v202, vcc_lo, 0, v196, vcc_lo
	v_pk_fma_f16 v218, v9, v6, v64 op_sel_hi:[1,0,1]
	ds_load_2addr_b64 v[57:60], v56 offset1:32
	ds_load_2addr_b64 v[61:64], v56 offset0:64 offset1:96
	ds_load_2addr_b64 v[65:68], v56 offset0:128 offset1:160
	ds_load_b128 v[69:72], v47 offset:96
	ds_load_b128 v[85:88], v47 offset:112
	ds_load_2addr_b64 v[89:92], v56 offset0:192 offset1:224
	ds_load_2addr_b64 v[93:96], v54 offset1:32
	ds_load_2addr_b64 v[97:100], v54 offset0:64 offset1:96
	ds_load_2addr_b64 v[101:104], v54 offset0:128 offset1:160
	ds_load_b128 v[105:108], v47 offset:128
	ds_load_b128 v[109:112], v47 offset:144
	ds_load_2addr_b64 v[113:116], v54 offset0:192 offset1:224
	;; [unrolled: 6-line block ×5, first 2 shown]
	s_waitcnt lgkmcnt(0)
	s_barrier
	buffer_gl0_inv
	s_clause 0x3
	global_load_b128 v[189:192], v[189:190], off
	global_load_b128 v[193:196], v[193:194], off
	;; [unrolled: 1-line block ×4, first 2 shown]
	v_pk_fma_f16 v205, v9, v6, v205 op_sel:[0,1,0]
	v_pk_fma_f16 v73, v9, v7, v73 op_sel_hi:[1,0,1]
	v_pk_fma_f16 v9, v9, v7, v206 op_sel:[0,1,0]
	v_pk_fma_f16 v79, v10, v6, v79 op_sel_hi:[1,0,1]
	;; [unrolled: 2-line block ×20, first 2 shown]
	v_pk_fma_f16 v63, v64, v72, v69 op_sel_hi:[1,0,1]
	v_pk_fma_f16 v6, v64, v71, v6 op_sel:[0,1,0]
	v_pk_fma_f16 v7, v64, v72, v7 op_sel:[0,1,0]
	;; [unrolled: 1-line block ×3, first 2 shown]
	v_pk_fma_f16 v64, v65, v86, v70 op_sel_hi:[1,0,1]
	v_pk_fma_f16 v57, v65, v86, v57 op_sel:[0,1,0]
	v_pk_fma_f16 v61, v66, v85, v61 op_sel_hi:[1,0,1]
	v_pk_fma_f16 v58, v67, v85, v58 op_sel_hi:[1,0,1]
	v_pk_fma_f16 v62, v67, v85, v62 op_sel:[0,1,0]
	v_pk_fma_f16 v59, v68, v85, v59 op_sel_hi:[1,0,1]
	v_pk_fma_f16 v63, v68, v86, v63 op_sel_hi:[1,0,1]
	;; [unrolled: 1-line block ×3, first 2 shown]
	v_pk_fma_f16 v65, v66, v85, v205 op_sel:[0,1,0]
	v_pk_fma_f16 v69, v66, v86, v73 op_sel_hi:[1,0,1]
	v_pk_fma_f16 v9, v66, v86, v9 op_sel:[0,1,0]
	v_pk_fma_f16 v66, v67, v86, v79 op_sel_hi:[1,0,1]
	;; [unrolled: 2-line block ×4, first 2 shown]
	v_pk_fma_f16 v58, v91, v87, v58 op_sel_hi:[1,0,1]
	v_pk_fma_f16 v62, v91, v87, v62 op_sel:[0,1,0]
	v_pk_fma_f16 v59, v92, v87, v59 op_sel_hi:[1,0,1]
	v_pk_fma_f16 v63, v92, v88, v63 op_sel_hi:[1,0,1]
	v_pk_fma_f16 v10, v67, v86, v10 op_sel:[0,1,0]
	v_pk_fma_f16 v65, v90, v87, v65 op_sel:[0,1,0]
	v_pk_fma_f16 v67, v90, v88, v69 op_sel_hi:[1,0,1]
	v_pk_fma_f16 v66, v91, v88, v66 op_sel_hi:[1,0,1]
	v_pk_fma_f16 v60, v93, v105, v60 op_sel:[0,1,0]
	v_pk_fma_f16 v64, v93, v106, v64 op_sel_hi:[1,0,1]
	v_pk_fma_f16 v57, v93, v106, v57 op_sel:[0,1,0]
	v_pk_fma_f16 v61, v94, v105, v61 op_sel_hi:[1,0,1]
	v_pk_fma_f16 v58, v95, v105, v58 op_sel_hi:[1,0,1]
	v_pk_fma_f16 v62, v95, v105, v62 op_sel:[0,1,0]
	v_pk_fma_f16 v59, v96, v105, v59 op_sel_hi:[1,0,1]
	v_pk_fma_f16 v63, v96, v106, v63 op_sel_hi:[1,0,1]
	v_pk_fma_f16 v65, v94, v105, v65 op_sel:[0,1,0]
	v_pk_fma_f16 v67, v94, v106, v67 op_sel_hi:[1,0,1]
	v_pk_fma_f16 v66, v95, v106, v66 op_sel_hi:[1,0,1]
	v_pk_fma_f16 v6, v68, v85, v6 op_sel:[0,1,0]
	v_pk_fma_f16 v7, v68, v86, v7 op_sel:[0,1,0]
	v_pk_fma_f16 v11, v89, v87, v11 op_sel_hi:[1,0,1]
	v_pk_fma_f16 v9, v90, v88, v9 op_sel:[0,1,0]
	v_pk_fma_f16 v10, v91, v88, v10 op_sel:[0,1,0]
	v_pk_fma_f16 v60, v97, v107, v60 op_sel:[0,1,0]
	v_pk_fma_f16 v64, v97, v108, v64 op_sel_hi:[1,0,1]
	v_pk_fma_f16 v57, v97, v108, v57 op_sel:[0,1,0]
	v_pk_fma_f16 v61, v98, v107, v61 op_sel_hi:[1,0,1]
	v_pk_fma_f16 v58, v99, v107, v58 op_sel_hi:[1,0,1]
	v_pk_fma_f16 v62, v99, v107, v62 op_sel:[0,1,0]
	v_pk_fma_f16 v59, v100, v107, v59 op_sel_hi:[1,0,1]
	v_pk_fma_f16 v63, v100, v108, v63 op_sel_hi:[1,0,1]
	v_pk_fma_f16 v65, v98, v107, v65 op_sel:[0,1,0]
	v_pk_fma_f16 v67, v98, v108, v67 op_sel_hi:[1,0,1]
	v_pk_fma_f16 v66, v99, v108, v66 op_sel_hi:[1,0,1]
	v_pk_fma_f16 v6, v92, v87, v6 op_sel:[0,1,0]
	v_pk_fma_f16 v7, v92, v88, v7 op_sel:[0,1,0]
	v_pk_fma_f16 v11, v93, v105, v11 op_sel_hi:[1,0,1]
	v_pk_fma_f16 v9, v94, v106, v9 op_sel:[0,1,0]
	v_pk_fma_f16 v10, v95, v106, v10 op_sel:[0,1,0]
	;; [unrolled: 16-line block ×14, first 2 shown]
	v_pk_fma_f16 v68, v173, v181, v60 op_sel:[0,1,0]
	v_pk_fma_f16 v69, v173, v182, v64 op_sel_hi:[1,0,1]
	v_pk_fma_f16 v70, v173, v182, v57 op_sel:[0,1,0]
	v_pk_fma_f16 v71, v174, v181, v61 op_sel_hi:[1,0,1]
	v_pk_fma_f16 v72, v175, v181, v58 op_sel_hi:[1,0,1]
	v_pk_fma_f16 v73, v175, v181, v62 op_sel:[0,1,0]
	v_pk_fma_f16 v79, v176, v181, v59 op_sel_hi:[1,0,1]
	v_pk_fma_f16 v85, v176, v182, v63 op_sel_hi:[1,0,1]
	s_waitcnt vmcnt(3)
	ds_store_b128 v49, v[189:192]
	s_waitcnt vmcnt(2)
	ds_store_b128 v50, v[193:196]
	;; [unrolled: 2-line block ×4, first 2 shown]
	s_waitcnt lgkmcnt(0)
	s_barrier
	buffer_gl0_inv
	ds_load_2addr_b64 v[57:60], v48 offset1:32
	ds_load_b128 v[61:64], v47 offset:256
	v_pk_fma_f16 v65, v174, v181, v65 op_sel:[0,1,0]
	v_pk_fma_f16 v67, v174, v182, v67 op_sel_hi:[1,0,1]
	v_pk_fma_f16 v66, v175, v182, v66 op_sel_hi:[1,0,1]
	v_pk_fma_f16 v6, v168, v177, v6 op_sel:[0,1,0]
	v_pk_fma_f16 v7, v168, v178, v7 op_sel:[0,1,0]
	v_pk_fma_f16 v11, v169, v179, v11 op_sel_hi:[1,0,1]
	v_pk_fma_f16 v9, v170, v180, v9 op_sel:[0,1,0]
	v_pk_fma_f16 v10, v171, v180, v10 op_sel:[0,1,0]
	v_pk_fma_f16 v93, v185, v183, v68 op_sel:[0,1,0]
	v_pk_fma_f16 v94, v185, v184, v69 op_sel_hi:[1,0,1]
	v_pk_fma_f16 v95, v185, v184, v70 op_sel:[0,1,0]
	v_pk_fma_f16 v96, v186, v183, v71 op_sel_hi:[1,0,1]
	v_pk_fma_f16 v97, v186, v183, v65 op_sel:[0,1,0]
	v_pk_fma_f16 v98, v186, v184, v67 op_sel_hi:[1,0,1]
	v_pk_fma_f16 v99, v187, v183, v72 op_sel_hi:[1,0,1]
	;; [unrolled: 1-line block ×4, first 2 shown]
	ds_load_b128 v[65:68], v47 offset:272
	ds_load_2addr_b64 v[69:72], v48 offset0:64 offset1:96
	ds_load_b128 v[85:88], v47 offset:288
	ds_load_b128 v[89:92], v47 offset:304
	v_pk_fma_f16 v6, v172, v179, v6 op_sel:[0,1,0]
	v_pk_fma_f16 v7, v172, v180, v7 op_sel:[0,1,0]
	v_pk_fma_f16 v11, v173, v181, v11 op_sel_hi:[1,0,1]
	v_pk_fma_f16 v9, v174, v182, v9 op_sel:[0,1,0]
	v_pk_fma_f16 v10, v175, v182, v10 op_sel:[0,1,0]
	v_pk_fma_f16 v6, v176, v181, v6 op_sel:[0,1,0]
	v_pk_fma_f16 v7, v176, v182, v7 op_sel:[0,1,0]
	v_pk_fma_f16 v11, v185, v183, v11 op_sel_hi:[1,0,1]
	v_pk_fma_f16 v9, v186, v184, v9 op_sel:[0,1,0]
	v_pk_fma_f16 v73, v187, v183, v73 op_sel:[0,1,0]
	;; [unrolled: 1-line block ×3, first 2 shown]
	v_pk_fma_f16 v79, v188, v183, v79 op_sel_hi:[1,0,1]
	v_pk_fma_f16 v6, v188, v183, v6 op_sel:[0,1,0]
	v_pk_fma_f16 v7, v188, v184, v7 op_sel:[0,1,0]
	s_waitcnt lgkmcnt(4)
	v_pk_fma_f16 v11, v57, v61, v11 op_sel_hi:[1,0,1]
	v_pk_fma_f16 v102, v57, v61, v93 op_sel:[0,1,0]
	v_pk_fma_f16 v103, v57, v62, v94 op_sel_hi:[1,0,1]
	v_pk_fma_f16 v57, v57, v62, v95 op_sel:[0,1,0]
	;; [unrolled: 2-line block ×6, first 2 shown]
	v_pk_fma_f16 v59, v60, v61, v79 op_sel_hi:[1,0,1]
	ds_load_2addr_b64 v[93:96], v48 offset0:128 offset1:160
	v_pk_fma_f16 v6, v60, v61, v6 op_sel:[0,1,0]
	v_pk_fma_f16 v61, v60, v62, v101 op_sel_hi:[1,0,1]
	v_pk_fma_f16 v7, v60, v62, v7 op_sel:[0,1,0]
	s_waitcnt lgkmcnt(3)
	v_pk_fma_f16 v11, v69, v63, v11 op_sel_hi:[1,0,1]
	v_pk_fma_f16 v62, v69, v63, v102 op_sel:[0,1,0]
	v_pk_fma_f16 v79, v69, v64, v103 op_sel_hi:[1,0,1]
	v_pk_fma_f16 v69, v69, v64, v57 op_sel:[0,1,0]
	;; [unrolled: 2-line block ×6, first 2 shown]
	v_pk_fma_f16 v71, v72, v63, v59 op_sel_hi:[1,0,1]
	ds_load_2addr_b64 v[57:60], v48 offset0:192 offset1:224
	v_pk_fma_f16 v6, v72, v63, v6 op_sel:[0,1,0]
	v_pk_fma_f16 v101, v72, v64, v61 op_sel_hi:[1,0,1]
	v_pk_fma_f16 v7, v72, v64, v7 op_sel:[0,1,0]
	s_waitcnt lgkmcnt(1)
	v_pk_fma_f16 v11, v93, v65, v11 op_sel_hi:[1,0,1]
	v_pk_fma_f16 v72, v93, v65, v62 op_sel:[0,1,0]
	v_pk_fma_f16 v79, v93, v66, v79 op_sel_hi:[1,0,1]
	v_pk_fma_f16 v69, v93, v66, v69 op_sel:[0,1,0]
	;; [unrolled: 2-line block ×6, first 2 shown]
	v_pk_fma_f16 v71, v96, v65, v71 op_sel_hi:[1,0,1]
	ds_load_2addr_b64 v[61:64], v78 offset1:32
	v_pk_fma_f16 v6, v96, v65, v6 op_sel:[0,1,0]
	v_pk_fma_f16 v65, v96, v66, v101 op_sel_hi:[1,0,1]
	v_pk_fma_f16 v7, v96, v66, v7 op_sel:[0,1,0]
	s_waitcnt lgkmcnt(1)
	v_pk_fma_f16 v11, v57, v67, v11 op_sel_hi:[1,0,1]
	v_pk_fma_f16 v66, v57, v67, v72 op_sel:[0,1,0]
	v_pk_fma_f16 v79, v57, v68, v79 op_sel_hi:[1,0,1]
	v_pk_fma_f16 v57, v57, v68, v69 op_sel:[0,1,0]
	v_pk_fma_f16 v93, v58, v67, v93 op_sel_hi:[1,0,1]
	v_pk_fma_f16 v95, v58, v67, v97 op_sel:[0,1,0]
	v_pk_fma_f16 v96, v58, v68, v98 op_sel_hi:[1,0,1]
	v_pk_fma_f16 v9, v58, v68, v9 op_sel:[0,1,0]
	v_pk_fma_f16 v58, v59, v67, v70 op_sel_hi:[1,0,1]
	v_pk_fma_f16 v73, v59, v67, v73 op_sel:[0,1,0]
	v_pk_fma_f16 v94, v59, v68, v94 op_sel_hi:[1,0,1]
	v_pk_fma_f16 v10, v59, v68, v10 op_sel:[0,1,0]
	v_pk_fma_f16 v59, v60, v67, v71 op_sel_hi:[1,0,1]
	ds_load_2addr_b64 v[69:72], v78 offset0:64 offset1:96
	v_pk_fma_f16 v6, v60, v67, v6 op_sel:[0,1,0]
	v_pk_fma_f16 v65, v60, v68, v65 op_sel_hi:[1,0,1]
	v_pk_fma_f16 v7, v60, v68, v7 op_sel:[0,1,0]
	s_waitcnt lgkmcnt(1)
	v_pk_fma_f16 v11, v61, v85, v11 op_sel_hi:[1,0,1]
	v_pk_fma_f16 v66, v61, v85, v66 op_sel:[0,1,0]
	v_pk_fma_f16 v67, v61, v86, v79 op_sel_hi:[1,0,1]
	v_pk_fma_f16 v61, v61, v86, v57 op_sel:[0,1,0]
	v_pk_fma_f16 v68, v62, v85, v93 op_sel_hi:[1,0,1]
	v_pk_fma_f16 v79, v62, v85, v95 op_sel:[0,1,0]
	v_pk_fma_f16 v93, v62, v86, v96 op_sel_hi:[1,0,1]
	v_pk_fma_f16 v9, v62, v86, v9 op_sel:[0,1,0]
	v_pk_fma_f16 v62, v63, v85, v58 op_sel_hi:[1,0,1]
	v_pk_fma_f16 v73, v63, v85, v73 op_sel:[0,1,0]
	v_pk_fma_f16 v94, v63, v86, v94 op_sel_hi:[1,0,1]
	v_pk_fma_f16 v10, v63, v86, v10 op_sel:[0,1,0]
	v_pk_fma_f16 v63, v64, v85, v59 op_sel_hi:[1,0,1]
	ds_load_2addr_b64 v[57:60], v78 offset0:128 offset1:160
	;; [unrolled: 18-line block ×3, first 2 shown]
	v_pk_fma_f16 v6, v72, v87, v6 op_sel:[0,1,0]
	v_pk_fma_f16 v65, v72, v88, v65 op_sel_hi:[1,0,1]
	v_pk_fma_f16 v7, v72, v88, v7 op_sel:[0,1,0]
	s_waitcnt lgkmcnt(1)
	v_pk_fma_f16 v11, v57, v89, v11 op_sel_hi:[1,0,1]
	v_pk_fma_f16 v78, v57, v89, v66 op_sel:[0,1,0]
	v_pk_fma_f16 v87, v57, v90, v67 op_sel_hi:[1,0,1]
	v_pk_fma_f16 v57, v57, v90, v69 op_sel:[0,1,0]
	;; [unrolled: 2-line block ×7, first 2 shown]
	v_pk_fma_f16 v89, v60, v90, v65 op_sel_hi:[1,0,1]
	ds_load_2addr_b64 v[65:68], v55 offset1:32
	ds_load_b128 v[69:72], v47 offset:320
	v_pk_fma_f16 v7, v60, v90, v7 op_sel:[0,1,0]
	s_waitcnt lgkmcnt(2)
	v_pk_fma_f16 v90, v61, v92, v57 op_sel:[0,1,0]
	v_pk_fma_f16 v93, v63, v91, v58 op_sel_hi:[1,0,1]
	v_pk_fma_f16 v94, v64, v91, v59 op_sel_hi:[1,0,1]
	ds_load_2addr_b64 v[57:60], v55 offset0:64 offset1:96
	v_pk_fma_f16 v11, v61, v91, v11 op_sel_hi:[1,0,1]
	v_pk_fma_f16 v78, v61, v91, v78 op_sel:[0,1,0]
	v_pk_fma_f16 v87, v61, v92, v87 op_sel_hi:[1,0,1]
	v_pk_fma_f16 v88, v62, v91, v88 op_sel_hi:[1,0,1]
	v_pk_fma_f16 v79, v62, v91, v79 op_sel:[0,1,0]
	v_pk_fma_f16 v85, v62, v92, v85 op_sel_hi:[1,0,1]
	v_pk_fma_f16 v9, v62, v92, v9 op_sel:[0,1,0]
	v_pk_fma_f16 v73, v63, v91, v73 op_sel:[0,1,0]
	v_pk_fma_f16 v86, v63, v92, v86 op_sel_hi:[1,0,1]
	v_pk_fma_f16 v10, v63, v92, v10 op_sel:[0,1,0]
	v_pk_fma_f16 v6, v64, v91, v6 op_sel:[0,1,0]
	v_pk_fma_f16 v89, v64, v92, v89 op_sel_hi:[1,0,1]
	v_pk_fma_f16 v7, v64, v92, v7 op_sel:[0,1,0]
	ds_load_b128 v[61:64], v47 offset:336
	s_waitcnt lgkmcnt(2)
	v_pk_fma_f16 v11, v65, v69, v11 op_sel_hi:[1,0,1]
	v_pk_fma_f16 v78, v65, v69, v78 op_sel:[0,1,0]
	v_pk_fma_f16 v91, v65, v70, v87 op_sel_hi:[1,0,1]
	v_pk_fma_f16 v65, v65, v70, v90 op_sel:[0,1,0]
	;; [unrolled: 2-line block ×6, first 2 shown]
	v_pk_fma_f16 v67, v68, v69, v94 op_sel_hi:[1,0,1]
	ds_load_2addr_b64 v[85:88], v55 offset0:128 offset1:160
	v_pk_fma_f16 v6, v68, v69, v6 op_sel:[0,1,0]
	v_pk_fma_f16 v69, v68, v70, v89 op_sel_hi:[1,0,1]
	v_pk_fma_f16 v7, v68, v70, v7 op_sel:[0,1,0]
	s_waitcnt lgkmcnt(2)
	v_pk_fma_f16 v11, v57, v71, v11 op_sel_hi:[1,0,1]
	v_pk_fma_f16 v70, v57, v71, v78 op_sel:[0,1,0]
	v_pk_fma_f16 v78, v57, v72, v91 op_sel_hi:[1,0,1]
	v_pk_fma_f16 v57, v57, v72, v65 op_sel:[0,1,0]
	;; [unrolled: 2-line block ×6, first 2 shown]
	v_pk_fma_f16 v59, v60, v71, v67 op_sel_hi:[1,0,1]
	ds_load_2addr_b64 v[65:68], v55 offset0:192 offset1:224
	v_pk_fma_f16 v6, v60, v71, v6 op_sel:[0,1,0]
	v_pk_fma_f16 v69, v60, v72, v69 op_sel_hi:[1,0,1]
	v_pk_fma_f16 v7, v60, v72, v7 op_sel:[0,1,0]
	s_waitcnt lgkmcnt(1)
	v_pk_fma_f16 v11, v85, v61, v11 op_sel_hi:[1,0,1]
	v_pk_fma_f16 v55, v85, v61, v70 op_sel:[0,1,0]
	v_pk_fma_f16 v78, v85, v62, v78 op_sel_hi:[1,0,1]
	v_pk_fma_f16 v85, v85, v62, v57 op_sel:[0,1,0]
	;; [unrolled: 2-line block ×7, first 2 shown]
	v_pk_fma_f16 v61, v88, v62, v69 op_sel_hi:[1,0,1]
	ds_load_2addr_b64 v[57:60], v56 offset1:32
	ds_load_b128 v[69:72], v47 offset:352
	v_pk_fma_f16 v7, v88, v62, v7 op_sel:[0,1,0]
	s_waitcnt lgkmcnt(2)
	v_pk_fma_f16 v11, v65, v63, v11 op_sel_hi:[1,0,1]
	v_pk_fma_f16 v55, v65, v63, v55 op_sel:[0,1,0]
	v_pk_fma_f16 v78, v65, v64, v78 op_sel_hi:[1,0,1]
	v_pk_fma_f16 v65, v65, v64, v85 op_sel:[0,1,0]
	;; [unrolled: 2-line block ×6, first 2 shown]
	v_pk_fma_f16 v67, v68, v63, v87 op_sel_hi:[1,0,1]
	ds_load_2addr_b64 v[85:88], v56 offset0:64 offset1:96
	v_pk_fma_f16 v6, v68, v63, v6 op_sel:[0,1,0]
	v_pk_fma_f16 v92, v68, v64, v61 op_sel_hi:[1,0,1]
	v_pk_fma_f16 v7, v68, v64, v7 op_sel:[0,1,0]
	ds_load_b128 v[61:64], v47 offset:368
	s_waitcnt lgkmcnt(2)
	v_pk_fma_f16 v11, v57, v69, v11 op_sel_hi:[1,0,1]
	v_pk_fma_f16 v55, v57, v69, v55 op_sel:[0,1,0]
	v_pk_fma_f16 v78, v57, v70, v78 op_sel_hi:[1,0,1]
	v_pk_fma_f16 v57, v57, v70, v65 op_sel:[0,1,0]
	;; [unrolled: 2-line block ×6, first 2 shown]
	v_pk_fma_f16 v59, v60, v69, v67 op_sel_hi:[1,0,1]
	ds_load_2addr_b64 v[65:68], v56 offset0:128 offset1:160
	v_pk_fma_f16 v6, v60, v69, v6 op_sel:[0,1,0]
	v_pk_fma_f16 v69, v60, v70, v92 op_sel_hi:[1,0,1]
	v_pk_fma_f16 v7, v60, v70, v7 op_sel:[0,1,0]
	s_waitcnt lgkmcnt(2)
	v_pk_fma_f16 v11, v85, v71, v11 op_sel_hi:[1,0,1]
	v_pk_fma_f16 v60, v85, v71, v55 op_sel:[0,1,0]
	v_pk_fma_f16 v70, v85, v72, v78 op_sel_hi:[1,0,1]
	v_pk_fma_f16 v78, v85, v72, v57 op_sel:[0,1,0]
	;; [unrolled: 2-line block ×4, first 2 shown]
	v_pk_fma_f16 v86, v87, v71, v58 op_sel_hi:[1,0,1]
	ds_load_2addr_b64 v[55:58], v56 offset0:192 offset1:224
	v_pk_fma_f16 v73, v87, v71, v73 op_sel:[0,1,0]
	v_pk_fma_f16 v59, v88, v71, v59 op_sel_hi:[1,0,1]
	v_pk_fma_f16 v6, v88, v71, v6 op_sel:[0,1,0]
	v_pk_fma_f16 v69, v88, v72, v69 op_sel_hi:[1,0,1]
	v_pk_fma_f16 v90, v87, v72, v91 op_sel_hi:[1,0,1]
	v_pk_fma_f16 v10, v87, v72, v10 op_sel:[0,1,0]
	v_pk_fma_f16 v7, v88, v72, v7 op_sel:[0,1,0]
	s_waitcnt lgkmcnt(1)
	v_pk_fma_f16 v11, v65, v61, v11 op_sel_hi:[1,0,1]
	v_pk_fma_f16 v60, v65, v61, v60 op_sel:[0,1,0]
	v_pk_fma_f16 v91, v65, v62, v70 op_sel_hi:[1,0,1]
	v_pk_fma_f16 v65, v65, v62, v78 op_sel:[0,1,0]
	;; [unrolled: 2-line block ×6, first 2 shown]
	v_pk_fma_f16 v61, v68, v62, v69 op_sel_hi:[1,0,1]
	ds_load_2addr_b64 v[69:72], v54 offset1:32
	ds_load_b128 v[85:88], v47 offset:384
	v_pk_fma_f16 v90, v67, v62, v90 op_sel_hi:[1,0,1]
	v_pk_fma_f16 v10, v67, v62, v10 op_sel:[0,1,0]
	v_pk_fma_f16 v7, v68, v62, v7 op_sel:[0,1,0]
	s_waitcnt lgkmcnt(2)
	v_pk_fma_f16 v67, v55, v63, v60 op_sel:[0,1,0]
	v_pk_fma_f16 v68, v55, v64, v91 op_sel_hi:[1,0,1]
	v_pk_fma_f16 v91, v58, v63, v59 op_sel_hi:[1,0,1]
	;; [unrolled: 1-line block ×3, first 2 shown]
	ds_load_2addr_b64 v[59:62], v54 offset0:64 offset1:96
	v_pk_fma_f16 v11, v55, v63, v11 op_sel_hi:[1,0,1]
	v_pk_fma_f16 v65, v55, v64, v65 op_sel:[0,1,0]
	v_pk_fma_f16 v78, v56, v63, v78 op_sel_hi:[1,0,1]
	v_pk_fma_f16 v79, v56, v63, v79 op_sel:[0,1,0]
	;; [unrolled: 2-line block ×5, first 2 shown]
	v_pk_fma_f16 v6, v58, v63, v6 op_sel:[0,1,0]
	v_pk_fma_f16 v7, v58, v64, v7 op_sel:[0,1,0]
	ds_load_b128 v[55:58], v47 offset:400
	s_waitcnt lgkmcnt(2)
	v_pk_fma_f16 v11, v69, v85, v11 op_sel_hi:[1,0,1]
	v_pk_fma_f16 v67, v69, v85, v67 op_sel:[0,1,0]
	v_pk_fma_f16 v68, v69, v86, v68 op_sel_hi:[1,0,1]
	v_pk_fma_f16 v69, v69, v86, v65 op_sel:[0,1,0]
	;; [unrolled: 2-line block ×4, first 2 shown]
	v_pk_fma_f16 v70, v71, v85, v66 op_sel_hi:[1,0,1]
	ds_load_2addr_b64 v[63:66], v54 offset0:128 offset1:160
	v_pk_fma_f16 v73, v71, v85, v73 op_sel:[0,1,0]
	v_pk_fma_f16 v90, v71, v86, v90 op_sel_hi:[1,0,1]
	v_pk_fma_f16 v10, v71, v86, v10 op_sel:[0,1,0]
	v_pk_fma_f16 v71, v72, v85, v91 op_sel_hi:[1,0,1]
	;; [unrolled: 2-line block ×3, first 2 shown]
	v_pk_fma_f16 v7, v72, v86, v7 op_sel:[0,1,0]
	s_waitcnt lgkmcnt(2)
	v_pk_fma_f16 v11, v59, v87, v11 op_sel_hi:[1,0,1]
	v_pk_fma_f16 v72, v59, v87, v67 op_sel:[0,1,0]
	v_pk_fma_f16 v86, v59, v88, v68 op_sel_hi:[1,0,1]
	v_pk_fma_f16 v59, v59, v88, v69 op_sel:[0,1,0]
	v_pk_fma_f16 v78, v60, v87, v78 op_sel_hi:[1,0,1]
	v_pk_fma_f16 v79, v60, v87, v79 op_sel:[0,1,0]
	v_pk_fma_f16 v89, v60, v88, v89 op_sel_hi:[1,0,1]
	v_pk_fma_f16 v9, v60, v88, v9 op_sel:[0,1,0]
	v_pk_fma_f16 v60, v61, v87, v70 op_sel_hi:[1,0,1]
	ds_load_2addr_b64 v[67:70], v54 offset0:192 offset1:224
	v_pk_fma_f16 v73, v61, v87, v73 op_sel:[0,1,0]
	v_pk_fma_f16 v90, v61, v88, v90 op_sel_hi:[1,0,1]
	v_pk_fma_f16 v10, v61, v88, v10 op_sel:[0,1,0]
	v_pk_fma_f16 v61, v62, v87, v71 op_sel_hi:[1,0,1]
	;; [unrolled: 2-line block ×3, first 2 shown]
	v_pk_fma_f16 v7, v62, v88, v7 op_sel:[0,1,0]
	s_waitcnt lgkmcnt(1)
	v_pk_fma_f16 v11, v63, v55, v11 op_sel_hi:[1,0,1]
	v_pk_fma_f16 v54, v63, v55, v72 op_sel:[0,1,0]
	v_pk_fma_f16 v72, v63, v56, v86 op_sel_hi:[1,0,1]
	v_pk_fma_f16 v63, v63, v56, v59 op_sel:[0,1,0]
	;; [unrolled: 2-line block ×7, first 2 shown]
	v_pk_fma_f16 v55, v66, v56, v71 op_sel_hi:[1,0,1]
	ds_load_2addr_b64 v[59:62], v8 offset1:32
	ds_load_b128 v[85:88], v47 offset:416
	v_pk_fma_f16 v7, v66, v56, v7 op_sel:[0,1,0]
	s_waitcnt lgkmcnt(2)
	v_pk_fma_f16 v11, v67, v57, v11 op_sel_hi:[1,0,1]
	v_pk_fma_f16 v71, v67, v57, v54 op_sel:[0,1,0]
	v_pk_fma_f16 v78, v68, v57, v78 op_sel_hi:[1,0,1]
	v_pk_fma_f16 v79, v68, v57, v79 op_sel:[0,1,0]
	;; [unrolled: 2-line block ×6, first 2 shown]
	v_pk_fma_f16 v91, v70, v58, v55 op_sel_hi:[1,0,1]
	ds_load_2addr_b64 v[54:57], v8 offset0:64 offset1:96
	v_pk_fma_f16 v72, v67, v58, v72 op_sel_hi:[1,0,1]
	v_pk_fma_f16 v67, v67, v58, v63 op_sel:[0,1,0]
	v_pk_fma_f16 v7, v70, v58, v7 op_sel:[0,1,0]
	ds_load_b128 v[63:66], v47 offset:432
	s_waitcnt lgkmcnt(2)
	v_pk_fma_f16 v11, v59, v85, v11 op_sel_hi:[1,0,1]
	v_pk_fma_f16 v70, v59, v85, v71 op_sel:[0,1,0]
	v_pk_fma_f16 v71, v59, v86, v72 op_sel_hi:[1,0,1]
	v_pk_fma_f16 v67, v59, v86, v67 op_sel:[0,1,0]
	;; [unrolled: 2-line block ×7, first 2 shown]
	ds_load_2addr_b64 v[58:61], v8 offset0:128 offset1:160
	v_pk_fma_f16 v85, v62, v86, v91 op_sel_hi:[1,0,1]
	v_pk_fma_f16 v62, v62, v86, v7 op_sel:[0,1,0]
	s_waitcnt lgkmcnt(2)
	v_pk_fma_f16 v11, v54, v87, v11 op_sel_hi:[1,0,1]
	v_pk_fma_f16 v70, v54, v87, v70 op_sel:[0,1,0]
	v_pk_fma_f16 v71, v54, v88, v71 op_sel_hi:[1,0,1]
	v_pk_fma_f16 v54, v54, v88, v67 op_sel:[0,1,0]
	;; [unrolled: 2-line block ×7, first 2 shown]
	ds_load_2addr_b64 v[6:9], v8 offset0:192 offset1:224
	v_pk_fma_f16 v85, v57, v88, v85 op_sel_hi:[1,0,1]
	v_pk_fma_f16 v62, v57, v88, v62 op_sel:[0,1,0]
	s_waitcnt lgkmcnt(1)
	v_pk_fma_f16 v11, v58, v63, v11 op_sel_hi:[1,0,1]
	v_pk_fma_f16 v86, v58, v63, v70 op_sel:[0,1,0]
	v_pk_fma_f16 v71, v58, v64, v71 op_sel_hi:[1,0,1]
	v_pk_fma_f16 v58, v58, v64, v54 op_sel:[0,1,0]
	;; [unrolled: 2-line block ×7, first 2 shown]
	ds_load_2addr_b64 v[54:57], v5 offset1:32
	ds_load_b128 v[67:70], v47 offset:448
	v_pk_fma_f16 v85, v61, v64, v85 op_sel_hi:[1,0,1]
	v_pk_fma_f16 v62, v61, v64, v62 op_sel:[0,1,0]
	s_waitcnt lgkmcnt(2)
	v_pk_fma_f16 v64, v6, v65, v86 op_sel:[0,1,0]
	v_pk_fma_f16 v86, v6, v66, v58 op_sel:[0,1,0]
	;; [unrolled: 1-line block ×3, first 2 shown]
	v_pk_fma_f16 v90, v9, v65, v60 op_sel_hi:[1,0,1]
	ds_load_2addr_b64 v[58:61], v5 offset0:64 offset1:96
	v_pk_fma_f16 v11, v6, v65, v11 op_sel_hi:[1,0,1]
	v_pk_fma_f16 v71, v6, v66, v71 op_sel_hi:[1,0,1]
	v_pk_fma_f16 v87, v7, v65, v87 op_sel_hi:[1,0,1]
	v_pk_fma_f16 v72, v7, v65, v72 op_sel:[0,1,0]
	v_pk_fma_f16 v78, v7, v66, v78 op_sel_hi:[1,0,1]
	v_pk_fma_f16 v88, v8, v65, v88 op_sel_hi:[1,0,1]
	v_pk_fma_f16 v73, v8, v65, v73 op_sel:[0,1,0]
	v_pk_fma_f16 v79, v8, v66, v79 op_sel_hi:[1,0,1]
	v_pk_fma_f16 v10, v8, v66, v10 op_sel:[0,1,0]
	v_pk_fma_f16 v63, v9, v65, v63 op_sel:[0,1,0]
	v_pk_fma_f16 v85, v9, v66, v85 op_sel_hi:[1,0,1]
	v_pk_fma_f16 v66, v9, v66, v62 op_sel:[0,1,0]
	ds_load_b128 v[6:9], v47 offset:464
	s_waitcnt lgkmcnt(2)
	v_pk_fma_f16 v11, v54, v67, v11 op_sel_hi:[1,0,1]
	v_pk_fma_f16 v91, v54, v67, v64 op_sel:[0,1,0]
	v_pk_fma_f16 v71, v54, v68, v71 op_sel_hi:[1,0,1]
	v_pk_fma_f16 v54, v54, v68, v86 op_sel:[0,1,0]
	;; [unrolled: 2-line block ×7, first 2 shown]
	ds_load_2addr_b64 v[62:65], v5 offset0:128 offset1:160
	v_pk_fma_f16 v85, v57, v68, v85 op_sel_hi:[1,0,1]
	v_pk_fma_f16 v66, v57, v68, v66 op_sel:[0,1,0]
	s_waitcnt lgkmcnt(2)
	v_pk_fma_f16 v11, v58, v69, v11 op_sel_hi:[1,0,1]
	v_pk_fma_f16 v68, v58, v69, v91 op_sel:[0,1,0]
	v_pk_fma_f16 v71, v58, v70, v71 op_sel_hi:[1,0,1]
	v_pk_fma_f16 v58, v58, v70, v54 op_sel:[0,1,0]
	;; [unrolled: 2-line block ×6, first 2 shown]
	v_pk_fma_f16 v60, v61, v69, v56 op_sel_hi:[1,0,1]
	ds_load_2addr_b64 v[54:57], v5 offset0:192 offset1:224
	v_pk_fma_f16 v67, v61, v69, v67 op_sel:[0,1,0]
	v_pk_fma_f16 v69, v61, v70, v85 op_sel_hi:[1,0,1]
	v_pk_fma_f16 v5, v61, v70, v66 op_sel:[0,1,0]
	s_waitcnt lgkmcnt(1)
	v_pk_fma_f16 v11, v62, v6, v11 op_sel_hi:[1,0,1]
	v_pk_fma_f16 v70, v62, v6, v68 op_sel:[0,1,0]
	v_pk_fma_f16 v71, v62, v7, v71 op_sel_hi:[1,0,1]
	v_pk_fma_f16 v62, v62, v7, v58 op_sel:[0,1,0]
	v_pk_fma_f16 v85, v63, v6, v86 op_sel_hi:[1,0,1]
	v_pk_fma_f16 v72, v63, v6, v72 op_sel:[0,1,0]
	v_pk_fma_f16 v78, v63, v7, v78 op_sel_hi:[1,0,1]
	v_pk_fma_f16 v63, v63, v7, v59 op_sel:[0,1,0]
	v_pk_fma_f16 v86, v64, v6, v87 op_sel_hi:[1,0,1]
	v_pk_fma_f16 v73, v64, v6, v73 op_sel:[0,1,0]
	v_pk_fma_f16 v79, v64, v7, v79 op_sel_hi:[1,0,1]
	v_pk_fma_f16 v10, v64, v7, v10 op_sel:[0,1,0]
	v_pk_fma_f16 v64, v65, v6, v60 op_sel_hi:[1,0,1]
	v_pk_fma_f16 v6, v65, v6, v67 op_sel:[0,1,0]
	v_pk_fma_f16 v87, v65, v7, v69 op_sel_hi:[1,0,1]
	ds_load_2addr_b64 v[58:61], v4 offset1:32
	ds_load_b128 v[66:69], v47 offset:480
	v_pk_fma_f16 v65, v65, v7, v5 op_sel:[0,1,0]
	s_waitcnt lgkmcnt(2)
	v_pk_fma_f16 v11, v54, v8, v11 op_sel_hi:[1,0,1]
	v_pk_fma_f16 v88, v54, v8, v70 op_sel:[0,1,0]
	v_pk_fma_f16 v89, v54, v9, v71 op_sel_hi:[1,0,1]
	v_pk_fma_f16 v54, v54, v9, v62 op_sel:[0,1,0]
	;; [unrolled: 2-line block ×7, first 2 shown]
	ds_load_2addr_b64 v[5:8], v4 offset0:64 offset1:96
	v_pk_fma_f16 v87, v57, v9, v87 op_sel_hi:[1,0,1]
	v_pk_fma_f16 v9, v57, v9, v65 op_sel:[0,1,0]
	ds_load_b128 v[70:73], v47 offset:496
	s_waitcnt lgkmcnt(2)
	v_pk_fma_f16 v11, v58, v66, v11 op_sel_hi:[1,0,1]
	v_pk_fma_f16 v65, v58, v66, v88 op_sel:[0,1,0]
	v_pk_fma_f16 v88, v58, v67, v89 op_sel_hi:[1,0,1]
	v_pk_fma_f16 v58, v58, v67, v54 op_sel:[0,1,0]
	;; [unrolled: 2-line block ×6, first 2 shown]
	v_pk_fma_f16 v60, v61, v66, v56 op_sel_hi:[1,0,1]
	ds_load_2addr_b64 v[54:57], v4 offset0:128 offset1:160
	v_pk_fma_f16 v64, v61, v66, v64 op_sel:[0,1,0]
	v_pk_fma_f16 v66, v61, v67, v87 op_sel_hi:[1,0,1]
	v_pk_fma_f16 v9, v61, v67, v9 op_sel:[0,1,0]
	s_waitcnt lgkmcnt(2)
	v_pk_fma_f16 v11, v5, v68, v11 op_sel_hi:[1,0,1]
	v_pk_fma_f16 v61, v5, v68, v65 op_sel:[0,1,0]
	v_pk_fma_f16 v65, v5, v69, v88 op_sel_hi:[1,0,1]
	v_pk_fma_f16 v58, v5, v69, v58 op_sel:[0,1,0]
	;; [unrolled: 2-line block ×6, first 2 shown]
	ds_load_2addr_b64 v[4:7], v4 offset0:192 offset1:224
	s_waitcnt lgkmcnt(0)
	s_barrier
	buffer_gl0_inv
	s_load_b32 s18, s[4:5], 0x4
	v_pk_fma_f16 v60, v8, v68, v60 op_sel_hi:[1,0,1]
	v_pk_fma_f16 v64, v8, v68, v64 op_sel:[0,1,0]
	v_pk_fma_f16 v66, v8, v69, v66 op_sel_hi:[1,0,1]
	v_pk_fma_f16 v8, v8, v69, v9 op_sel:[0,1,0]
	;; [unrolled: 2-line block ×10, first 2 shown]
	s_waitcnt lgkmcnt(0)
	s_lshl_b32 s18, s18, 6
	v_pk_fma_f16 v65, v4, v72, v9 op_sel_hi:[1,0,1]
	v_pk_fma_f16 v62, v4, v72, v11 op_sel:[0,1,0]
	v_pk_fma_f16 v58, v4, v73, v61 op_sel_hi:[1,0,1]
	v_pk_fma_f16 v56, v4, v73, v54 op_sel:[0,1,0]
	;; [unrolled: 2-line block ×8, first 2 shown]
	s_add_i32 s3, s18, s3
	s_delay_alu instid0(SALU_CYCLE_1)
	s_cmp_ge_i32 s3, s34
	s_cbranch_scc1 .LBB65_43
; %bb.42:                               ;   in Loop: Header=BB65_9 Depth=1
	v_dual_mov_b32 v71, v0 :: v_dual_mov_b32 v72, v1
	v_dual_mov_b32 v73, v2 :: v_dual_mov_b32 v70, v3
	v_dual_mov_b32 v11, v74 :: v_dual_mov_b32 v10, v75
	v_dual_mov_b32 v9, v76 :: v_dual_mov_b32 v8, v77
	s_branch .LBB65_9
.LBB65_43:
	v_mov_b32_e32 v7, v36
.LBB65_44:
	v_cmp_lt_i32_e32 vcc_lo, v84, v37
	s_cmp_lg_u64 s[24:25], 0
	s_cselect_b32 s3, -1, 0
	s_cmp_eq_u32 s14, 0
	v_cndmask_b32_e32 v4, v7, v84, vcc_lo
	v_cmp_lt_i32_e32 vcc_lo, v83, v37
	s_cselect_b32 s4, -1, 0
	s_delay_alu instid0(SALU_CYCLE_1) | instskip(SKIP_2) | instid1(VALU_DEP_2)
	s_and_b32 s3, s4, s3
	v_cndmask_b32_e32 v9, v7, v83, vcc_lo
	v_cmp_lt_i32_e32 vcc_lo, v82, v37
	v_lshlrev_b32_e32 v9, 2, v9
	v_dual_cndmask_b32 v13, v7, v82 :: v_dual_lshlrev_b32 v4, 2, v4
	v_cmp_lt_i32_e32 vcc_lo, v81, v37
	ds_bpermute_b32 v5, v4, v74
	v_lshlrev_b32_e32 v13, 2, v13
	s_waitcnt lgkmcnt(0)
	v_add_f32_e32 v5, v74, v5
	ds_bpermute_b32 v6, v4, v75
	ds_bpermute_b32 v8, v4, v76
	ds_bpermute_b32 v4, v4, v77
	ds_bpermute_b32 v10, v9, v5
	s_waitcnt lgkmcnt(3)
	v_add_f32_e32 v6, v75, v6
	s_waitcnt lgkmcnt(2)
	v_add_f32_e32 v8, v76, v8
	;; [unrolled: 2-line block ×3, first 2 shown]
	ds_bpermute_b32 v11, v9, v6
	ds_bpermute_b32 v12, v9, v8
	;; [unrolled: 1-line block ×3, first 2 shown]
	s_waitcnt lgkmcnt(2)
	v_dual_add_f32 v5, v5, v10 :: v_dual_add_f32 v6, v6, v11
	s_waitcnt lgkmcnt(1)
	v_add_f32_e32 v8, v8, v12
	s_waitcnt lgkmcnt(0)
	v_add_f32_e32 v4, v4, v9
	ds_bpermute_b32 v9, v13, v5
	ds_bpermute_b32 v10, v13, v6
	;; [unrolled: 1-line block ×4, first 2 shown]
	v_cndmask_b32_e32 v13, v7, v81, vcc_lo
	v_cmp_lt_i32_e32 vcc_lo, v80, v37
	s_delay_alu instid0(VALU_DEP_2) | instskip(SKIP_2) | instid1(VALU_DEP_1)
	v_lshlrev_b32_e32 v13, 2, v13
	v_cndmask_b32_e32 v7, v7, v80, vcc_lo
	s_and_b32 vcc_lo, exec_lo, s3
	v_lshlrev_b32_e32 v7, 2, v7
	s_waitcnt lgkmcnt(2)
	v_dual_add_f32 v5, v5, v9 :: v_dual_add_f32 v6, v6, v10
	s_waitcnt lgkmcnt(1)
	v_add_f32_e32 v8, v8, v11
	s_waitcnt lgkmcnt(0)
	v_add_f32_e32 v4, v4, v12
	ds_bpermute_b32 v9, v13, v5
	ds_bpermute_b32 v10, v13, v6
	;; [unrolled: 1-line block ×4, first 2 shown]
	s_waitcnt lgkmcnt(2)
	v_dual_add_f32 v5, v5, v9 :: v_dual_add_f32 v6, v6, v10
	s_waitcnt lgkmcnt(0)
	v_add_f32_e32 v9, v4, v12
	ds_bpermute_b32 v4, v7, v5
	ds_bpermute_b32 v10, v7, v6
	v_add_f32_e32 v8, v8, v11
	s_waitcnt lgkmcnt(0)
	v_dual_add_f32 v4, v5, v4 :: v_dual_add_f32 v5, v6, v10
	ds_bpermute_b32 v11, v7, v8
	ds_bpermute_b32 v7, v7, v9
	s_waitcnt lgkmcnt(1)
	v_add_f32_e32 v6, v8, v11
	s_waitcnt lgkmcnt(0)
	v_add_f32_e32 v7, v9, v7
	s_cbranch_vccz .LBB65_47
; %bb.45:
	s_ashr_i32 s3, s2, 31
	v_dual_mov_b32 v8, 0 :: v_dual_max_f32 v9, v1, v1
	s_lshl_b64 s[4:5], s[2:3], 2
	v_max_f32_e32 v15, v3, v3
	s_add_u32 s4, s24, s4
	s_addc_u32 s5, s25, s5
	global_load_b64 v[12:13], v8, s[4:5]
	s_waitcnt vmcnt(0)
	v_dual_max_f32 v8, v0, v0 :: v_dual_max_f32 v11, v13, v13
	v_max_f32_e32 v10, v12, v12
	s_delay_alu instid0(VALU_DEP_2) | instskip(NEXT) | instid1(VALU_DEP_2)
	v_dual_max_f32 v14, v2, v2 :: v_dual_max_f32 v9, v9, v11
	v_dual_max_f32 v8, v8, v10 :: v_dual_max_f32 v11, v15, v11
	s_delay_alu instid0(VALU_DEP_2) | instskip(NEXT) | instid1(VALU_DEP_3)
	v_max_f32_e32 v10, v14, v10
	v_sub_f32_e32 v16, v1, v9
	s_delay_alu instid0(VALU_DEP_3) | instskip(NEXT) | instid1(VALU_DEP_3)
	v_dual_sub_f32 v14, v0, v8 :: v_dual_sub_f32 v17, v13, v9
	v_dual_sub_f32 v15, v12, v8 :: v_dual_sub_f32 v18, v2, v10
	;; [unrolled: 1-line block ×3, first 2 shown]
	v_dual_sub_f32 v19, v3, v11 :: v_dual_mov_b32 v0, v8
	v_mov_b32_e32 v3, v11
	v_dual_mov_b32 v1, v9 :: v_dual_mov_b32 v2, v10
	v_dual_mul_f32 v9, 0x3fb8aa3b, v15 :: v_dual_mul_f32 v8, 0x3fb8aa3b, v14
	v_dual_mul_f32 v11, 0x3fb8aa3b, v17 :: v_dual_mul_f32 v10, 0x3fb8aa3b, v16
	;; [unrolled: 1-line block ×3, first 2 shown]
	v_mul_f32_e32 v21, 0x3fb8aa3b, v12
	s_delay_alu instid0(VALU_DEP_4)
	v_fma_f32 v24, 0x3fb8aa3b, v14, -v8
	v_rndne_f32_e32 v25, v8
	v_fma_f32 v36, 0x3fb8aa3b, v16, -v10
	v_fma_f32 v26, 0x3fb8aa3b, v15, -v9
	;; [unrolled: 1-line block ×3, first 2 shown]
	v_rndne_f32_e32 v43, v21
	v_rndne_f32_e32 v27, v9
	v_fma_f32 v38, 0x3fb8aa3b, v17, -v11
	v_rndne_f32_e32 v39, v11
	v_fmac_f32_e32 v24, 0x32a5705f, v14
	v_sub_f32_e32 v8, v8, v25
	v_dual_fmac_f32 v36, 0x32a5705f, v16 :: v_dual_sub_f32 v21, v21, v43
	v_dual_fmac_f32 v42, 0x32a5705f, v12 :: v_dual_sub_f32 v9, v9, v27
	;; [unrolled: 1-line block ×3, first 2 shown]
	s_delay_alu instid0(VALU_DEP_2) | instskip(SKIP_2) | instid1(VALU_DEP_4)
	v_dual_add_f32 v8, v8, v24 :: v_dual_add_f32 v21, v21, v42
	v_fmac_f32_e32 v26, 0x32a5705f, v15
	v_rndne_f32_e32 v37, v10
	v_dual_add_f32 v11, v11, v38 :: v_dual_mul_f32 v22, 0x3fb8aa3b, v19
	s_delay_alu instid0(VALU_DEP_4) | instskip(NEXT) | instid1(VALU_DEP_3)
	v_exp_f32_e32 v8, v8
	v_add_f32_e32 v9, v9, v26
	v_rndne_f32_e32 v47, v23
	v_cvt_i32_f32_e32 v25, v25
	v_sub_f32_e32 v10, v10, v37
	v_fma_f32 v40, 0x3fb8aa3b, v18, -v20
	v_exp_f32_e32 v9, v9
	v_rndne_f32_e32 v41, v20
	v_fma_f32 v46, 0x3fb8aa3b, v13, -v23
	v_sub_f32_e32 v23, v23, v47
	v_cvt_i32_f32_e32 v27, v27
	v_add_f32_e32 v10, v10, v36
	v_ldexp_f32 v8, v8, v25
	v_cmp_ngt_f32_e32 vcc_lo, 0xc2ce8ed0, v14
	v_fmac_f32_e32 v46, 0x32a5705f, v13
	v_sub_f32_e32 v20, v20, v41
	v_exp_f32_e32 v10, v10
	v_ldexp_f32 v9, v9, v27
	v_cndmask_b32_e32 v8, 0, v8, vcc_lo
	v_cmp_ngt_f32_e32 vcc_lo, 0xc2ce8ed0, v15
	v_fmac_f32_e32 v40, 0x32a5705f, v18
	v_cvt_i32_f32_e32 v37, v37
	v_add_f32_e32 v23, v23, v46
	v_exp_f32_e32 v11, v11
	s_delay_alu instid0(VALU_DEP_3)
	v_dual_cndmask_b32 v9, 0, v9 :: v_dual_add_f32 v20, v20, v40
	v_cvt_i32_f32_e32 v39, v39
	v_ldexp_f32 v10, v10, v37
	v_cmp_ngt_f32_e32 vcc_lo, 0xc2ce8ed0, v16
	v_cvt_i32_f32_e32 v41, v41
	v_exp_f32_e32 v20, v20
	v_exp_f32_e32 v21, v21
	;; [unrolled: 1-line block ×3, first 2 shown]
	v_ldexp_f32 v11, v11, v39
	v_cndmask_b32_e32 v10, 0, v10, vcc_lo
	v_cmp_ngt_f32_e32 vcc_lo, 0xc2ce8ed0, v17
	v_fma_f32 v44, 0x3fb8aa3b, v19, -v22
	v_rndne_f32_e32 v45, v22
	v_cvt_i32_f32_e32 v43, v43
	v_cvt_i32_f32_e32 v26, v47
	v_ldexp_f32 v20, v20, v41
	v_cndmask_b32_e32 v11, 0, v11, vcc_lo
	v_cmp_ngt_f32_e32 vcc_lo, 0xc2ce8ed0, v18
	v_ldexp_f32 v21, v21, v43
	v_ldexp_f32 v23, v23, v26
	v_sub_f32_e32 v22, v22, v45
	v_cvt_i32_f32_e32 v24, v45
	v_cndmask_b32_e32 v20, 0, v20, vcc_lo
	v_cmp_ngt_f32_e32 vcc_lo, 0xc2ce8ed0, v12
	v_dual_fmac_f32 v44, 0x32a5705f, v19 :: v_dual_cndmask_b32 v21, 0, v21
	s_delay_alu instid0(VALU_DEP_1) | instskip(SKIP_1) | instid1(VALU_DEP_2)
	v_add_f32_e32 v22, v22, v44
	v_cmp_ngt_f32_e32 vcc_lo, 0xc2ce8ed0, v19
	v_exp_f32_e32 v22, v22
	s_waitcnt_depctr 0xfff
	v_ldexp_f32 v22, v22, v24
	s_delay_alu instid0(VALU_DEP_1)
	v_cndmask_b32_e32 v22, 0, v22, vcc_lo
	v_cmp_ngt_f32_e32 vcc_lo, 0xc2ce8ed0, v13
	v_cndmask_b32_e32 v23, 0, v23, vcc_lo
	v_cmp_nlt_f32_e32 vcc_lo, 0x42b17218, v14
	v_cndmask_b32_e32 v14, 0x7f800000, v8, vcc_lo
	v_cmp_nlt_f32_e32 vcc_lo, 0x42b17218, v15
	;; [unrolled: 2-line block ×3, first 2 shown]
	s_delay_alu instid0(VALU_DEP_2)
	v_fmac_f32_e32 v8, v4, v14
	v_cndmask_b32_e32 v15, 0x7f800000, v10, vcc_lo
	v_cmp_nlt_f32_e32 vcc_lo, 0x42b17218, v17
	v_cvt_f16_f32_e32 v4, v14
	v_cndmask_b32_e32 v9, 0x7f800000, v11, vcc_lo
	v_cmp_nlt_f32_e32 vcc_lo, 0x42b17218, v18
	s_delay_alu instid0(VALU_DEP_3)
	v_pk_mul_f16 v65, v4, v65 op_sel_hi:[0,1]
	v_pk_mul_f16 v69, v4, v69 op_sel_hi:[0,1]
	;; [unrolled: 1-line block ×3, first 2 shown]
	v_dual_fmac_f32 v9, v5, v15 :: v_dual_cndmask_b32 v16, 0x7f800000, v20
	v_cmp_nlt_f32_e32 vcc_lo, 0x42b17218, v12
	v_cvt_f16_f32_e32 v5, v15
	v_pk_mul_f16 v68, v4, v68 op_sel_hi:[0,1]
	v_mov_b32_e32 v4, v8
	v_cndmask_b32_e32 v10, 0x7f800000, v21, vcc_lo
	v_cmp_nlt_f32_e32 vcc_lo, 0x42b17218, v19
	v_pk_mul_f16 v62, v5, v62 op_sel_hi:[0,1]
	v_pk_mul_f16 v66, v5, v66 op_sel_hi:[0,1]
	v_pk_mul_f16 v63, v5, v63 op_sel_hi:[0,1]
	v_fmac_f32_e32 v10, v6, v16
	v_cndmask_b32_e32 v12, 0x7f800000, v22, vcc_lo
	v_cmp_nlt_f32_e32 vcc_lo, 0x42b17218, v13
	v_cvt_f16_f32_e32 v6, v16
	v_pk_mul_f16 v64, v5, v64 op_sel_hi:[0,1]
	v_mov_b32_e32 v5, v9
	v_cndmask_b32_e32 v11, 0x7f800000, v23, vcc_lo
	s_delay_alu instid0(VALU_DEP_4)
	v_pk_mul_f16 v58, v6, v58 op_sel_hi:[0,1]
	v_pk_mul_f16 v61, v6, v61 op_sel_hi:[0,1]
	;; [unrolled: 1-line block ×4, first 2 shown]
	v_fmac_f32_e32 v11, v7, v12
	v_cvt_f16_f32_e32 v7, v12
	v_mov_b32_e32 v6, v10
	s_delay_alu instid0(VALU_DEP_2)
	v_pk_mul_f16 v56, v7, v56 op_sel_hi:[0,1]
	v_pk_mul_f16 v57, v7, v57 op_sel_hi:[0,1]
	;; [unrolled: 1-line block ×4, first 2 shown]
	v_mov_b32_e32 v7, v11
	s_mov_b32 s3, exec_lo
	v_cmpx_gt_i32_e64 s6, v34
	s_cbranch_execnz .LBB65_48
.LBB65_46:
	s_nop 0
	s_sendmsg sendmsg(MSG_DEALLOC_VGPRS)
	s_endpgm
.LBB65_47:
	s_delay_alu instid0(VALU_DEP_1)
	v_dual_mov_b32 v11, v7 :: v_dual_mov_b32 v10, v6
	v_dual_mov_b32 v9, v5 :: v_dual_mov_b32 v8, v4
	s_mov_b32 s3, exec_lo
	v_cmpx_gt_i32_e64 s6, v34
	s_cbranch_execz .LBB65_46
.LBB65_48:
	s_load_b32 s1, s[0:1], 0xd4
	v_mov_b32_e32 v14, 1.0
	s_waitcnt lgkmcnt(0)
	s_cmp_lg_u32 s1, 1
	s_cselect_b32 s4, -1, 0
	s_cmp_eq_u32 s1, 1
	s_cselect_b32 s5, -1, 0
	s_and_b32 vcc_lo, exec_lo, s4
	s_cbranch_vccnz .LBB65_50
; %bb.49:
	v_div_scale_f32 v12, null, v4, v4, 1.0
	s_delay_alu instid0(VALU_DEP_1) | instskip(SKIP_2) | instid1(VALU_DEP_1)
	v_rcp_f32_e32 v13, v12
	s_waitcnt_depctr 0xfff
	v_fma_f32 v14, -v12, v13, 1.0
	v_fmac_f32_e32 v13, v14, v13
	v_div_scale_f32 v14, vcc_lo, 1.0, v4, 1.0
	s_delay_alu instid0(VALU_DEP_1) | instskip(NEXT) | instid1(VALU_DEP_1)
	v_mul_f32_e32 v15, v14, v13
	v_fma_f32 v16, -v12, v15, v14
	s_delay_alu instid0(VALU_DEP_1) | instskip(NEXT) | instid1(VALU_DEP_1)
	v_fmac_f32_e32 v15, v16, v13
	v_fma_f32 v12, -v12, v15, v14
	s_delay_alu instid0(VALU_DEP_1) | instskip(NEXT) | instid1(VALU_DEP_1)
	v_div_fmas_f32 v12, v12, v13, v15
	v_div_fixup_f32 v14, v12, v4, 1.0
.LBB65_50:
	s_mul_i32 s3, s33, s6
	v_cvt_f32_f16_e32 v16, v69
	s_add_i32 s3, s3, s15
	v_lshrrev_b32_e32 v15, 16, v69
	v_add_nc_u32_e32 v4, s3, v33
	v_lshrrev_b32_e32 v18, 16, v65
	v_cvt_f32_f16_e32 v19, v65
	v_lshrrev_b32_e32 v20, 16, v68
	v_lshrrev_b32_e32 v22, 16, v67
	v_mul_lo_u32 v4, v4, s7
	v_cvt_f32_f16_e32 v25, v67
	v_cvt_f32_f16_e32 v27, v15
	v_mul_f32_e32 v15, v14, v19
	v_cvt_f32_f16_e32 v20, v20
	v_cmp_eq_u32_e32 vcc_lo, 0, v35
	v_dual_mul_f32 v19, v14, v25 :: v_dual_mov_b32 v24, 0
	v_add_nc_u32_e32 v17, s2, v4
	s_and_b32 s4, vcc_lo, s4
	s_delay_alu instid0(VALU_DEP_1) | instskip(SKIP_4) | instid1(VALU_DEP_4)
	v_mad_u64_u32 v[12:13], null, s1, v17, s[14:15]
	v_cvt_f32_f16_e32 v13, v68
	v_mul_f32_e32 v17, v14, v16
	v_cvt_f32_f16_e32 v16, v18
	v_mul_f32_e32 v18, v14, v27
	v_mul_f32_e32 v21, v14, v13
	v_lshl_add_u32 v23, v12, 8, v31
	v_cvt_f32_f16_e32 v13, v22
	v_mul_f32_e32 v22, v14, v20
	v_mul_f32_e32 v16, v14, v16
	s_delay_alu instid0(VALU_DEP_4) | instskip(NEXT) | instid1(VALU_DEP_4)
	v_lshlrev_b64 v[25:26], 2, v[23:24]
	v_dual_mul_f32 v20, v14, v13 :: v_dual_add_nc_u32 v23, 0x80, v23
	s_delay_alu instid0(VALU_DEP_1) | instskip(NEXT) | instid1(VALU_DEP_3)
	v_lshlrev_b64 v[13:14], 2, v[23:24]
	v_add_co_u32 v23, s0, s28, v25
	s_delay_alu instid0(VALU_DEP_1) | instskip(NEXT) | instid1(VALU_DEP_3)
	v_add_co_ci_u32_e64 v24, s0, s29, v26, s0
	v_add_co_u32 v13, s0, s28, v13
	s_delay_alu instid0(VALU_DEP_1)
	v_add_co_ci_u32_e64 v14, s0, s29, v14, s0
	s_clause 0x1
	global_store_b128 v[23:24], v[15:18], off
	global_store_b128 v[13:14], v[19:22], off
	s_and_saveexec_b32 s0, s4
	s_cbranch_execz .LBB65_52
; %bb.51:
	v_ashrrev_i32_e32 v13, 31, v12
	v_mov_b32_e32 v14, v0
	v_mov_b32_e32 v15, v8
	s_delay_alu instid0(VALU_DEP_3) | instskip(NEXT) | instid1(VALU_DEP_1)
	v_lshlrev_b64 v[12:13], 3, v[12:13]
	v_add_co_u32 v12, vcc_lo, s30, v12
	s_delay_alu instid0(VALU_DEP_2)
	v_add_co_ci_u32_e32 v13, vcc_lo, s31, v13, vcc_lo
	global_store_b64 v[12:13], v[14:15], off
.LBB65_52:
	s_or_b32 exec_lo, exec_lo, s0
	v_cndmask_b32_e64 v12, 0, 1, s5
	v_mov_b32_e32 v0, 1.0
	s_and_not1_b32 vcc_lo, exec_lo, s5
	s_cbranch_vccnz .LBB65_54
; %bb.53:
	v_div_scale_f32 v0, null, v5, v5, 1.0
	s_delay_alu instid0(VALU_DEP_1) | instskip(SKIP_2) | instid1(VALU_DEP_1)
	v_rcp_f32_e32 v8, v0
	s_waitcnt_depctr 0xfff
	v_fma_f32 v13, -v0, v8, 1.0
	v_fmac_f32_e32 v8, v13, v8
	v_div_scale_f32 v13, vcc_lo, 1.0, v5, 1.0
	s_delay_alu instid0(VALU_DEP_1) | instskip(NEXT) | instid1(VALU_DEP_1)
	v_mul_f32_e32 v14, v13, v8
	v_fma_f32 v15, -v0, v14, v13
	s_delay_alu instid0(VALU_DEP_1) | instskip(NEXT) | instid1(VALU_DEP_1)
	v_fmac_f32_e32 v14, v15, v8
	v_fma_f32 v0, -v0, v14, v13
	s_delay_alu instid0(VALU_DEP_1) | instskip(NEXT) | instid1(VALU_DEP_1)
	v_div_fmas_f32 v0, v0, v8, v14
	v_div_fixup_f32 v0, v0, v5, 1.0
.LBB65_54:
	s_add_i32 s0, s2, 1
	v_cvt_f32_f16_e32 v14, v66
	v_add_nc_u32_e32 v8, s0, v4
	v_lshrrev_b32_e32 v13, 16, v66
	v_lshrrev_b32_e32 v16, 16, v64
	;; [unrolled: 1-line block ×3, first 2 shown]
	v_mul_f32_e32 v15, v0, v14
	v_mad_u64_u32 v[4:5], null, s1, v8, s[14:15]
	v_cvt_f32_f16_e32 v8, v62
	v_mov_b32_e32 v18, 0
	v_cvt_f32_f16_e32 v22, v13
	v_lshrrev_b32_e32 v5, 16, v62
	v_cvt_f32_f16_e32 v25, v64
	v_mul_f32_e32 v13, v0, v8
	v_lshl_add_u32 v17, v4, 8, v31
	v_cvt_f32_f16_e32 v8, v16
	v_mul_f32_e32 v16, v0, v22
	v_cvt_f32_f16_e32 v5, v5
	v_cvt_f32_f16_e32 v26, v21
	v_lshlrev_b64 v[19:20], 2, v[17:18]
	v_add_nc_u32_e32 v17, 0x80, v17
	s_delay_alu instid0(VALU_DEP_4) | instskip(SKIP_1) | instid1(VALU_DEP_3)
	v_mul_f32_e32 v14, v0, v5
	v_cvt_f32_f16_e32 v5, v63
	v_lshlrev_b64 v[23:24], 2, v[17:18]
	v_add_co_u32 v21, vcc_lo, s28, v19
	v_add_co_ci_u32_e32 v22, vcc_lo, s29, v20, vcc_lo
	v_mul_f32_e32 v20, v0, v8
	s_delay_alu instid0(VALU_DEP_4)
	v_add_co_u32 v23, vcc_lo, s28, v23
	v_mul_f32_e32 v19, v0, v25
	v_mul_f32_e32 v18, v0, v26
	;; [unrolled: 1-line block ×3, first 2 shown]
	v_add_co_ci_u32_e32 v24, vcc_lo, s29, v24, vcc_lo
	s_clause 0x1
	global_store_b128 v[21:22], v[13:16], off
	global_store_b128 v[23:24], v[17:20], off
	s_and_saveexec_b32 s5, s4
	s_cbranch_execz .LBB65_56
; %bb.55:
	v_ashrrev_i32_e32 v5, 31, v4
	v_mov_b32_e32 v8, v1
	s_delay_alu instid0(VALU_DEP_2) | instskip(NEXT) | instid1(VALU_DEP_1)
	v_lshlrev_b64 v[4:5], 3, v[4:5]
	v_add_co_u32 v4, vcc_lo, s30, v4
	s_delay_alu instid0(VALU_DEP_2)
	v_add_co_ci_u32_e32 v5, vcc_lo, s31, v5, vcc_lo
	global_store_b64 v[4:5], v[8:9], off
.LBB65_56:
	s_or_b32 exec_lo, exec_lo, s5
	v_cmp_gt_i32_e32 vcc_lo, s6, v32
	s_and_b32 exec_lo, exec_lo, vcc_lo
	s_cbranch_execz .LBB65_46
; %bb.57:
	v_cmp_ne_u32_e32 vcc_lo, 1, v12
	v_mov_b32_e32 v4, 1.0
	s_cbranch_vccnz .LBB65_59
; %bb.58:
	v_div_scale_f32 v0, null, v6, v6, 1.0
	s_delay_alu instid0(VALU_DEP_1) | instskip(SKIP_2) | instid1(VALU_DEP_1)
	v_rcp_f32_e32 v1, v0
	s_waitcnt_depctr 0xfff
	v_fma_f32 v4, -v0, v1, 1.0
	v_fmac_f32_e32 v1, v4, v1
	v_div_scale_f32 v4, vcc_lo, 1.0, v6, 1.0
	s_delay_alu instid0(VALU_DEP_1) | instskip(NEXT) | instid1(VALU_DEP_1)
	v_mul_f32_e32 v5, v4, v1
	v_fma_f32 v8, -v0, v5, v4
	s_delay_alu instid0(VALU_DEP_1) | instskip(NEXT) | instid1(VALU_DEP_1)
	v_fmac_f32_e32 v5, v8, v1
	v_fma_f32 v0, -v0, v5, v4
	s_delay_alu instid0(VALU_DEP_1) | instskip(NEXT) | instid1(VALU_DEP_1)
	v_div_fmas_f32 v0, v0, v1, v5
	v_div_fixup_f32 v4, v0, v6, 1.0
.LBB65_59:
	v_cvt_f32_f16_e32 v9, v61
	v_add_nc_u32_e32 v0, s3, v30
	v_lshrrev_b32_e32 v8, 16, v61
	v_lshrrev_b32_e32 v13, 16, v58
	v_cvt_f32_f16_e32 v14, v58
	v_mul_f32_e32 v15, v4, v9
	v_mad_u64_u32 v[5:6], null, v0, s7, s[2:3]
	v_mov_b32_e32 v6, 0
	v_lshrrev_b32_e32 v16, 16, v60
	v_lshrrev_b32_e32 v17, 16, v59
	v_cvt_f32_f16_e32 v18, v59
	v_cvt_f32_f16_e32 v20, v8
	;; [unrolled: 1-line block ×3, first 2 shown]
	v_mul_f32_e32 v13, v4, v14
	v_mad_u64_u32 v[0:1], null, s1, v5, s[14:15]
	v_cvt_f32_f16_e32 v1, v60
	v_cvt_f32_f16_e32 v22, v16
	v_mul_f32_e32 v14, v4, v21
	v_mul_f32_e32 v16, v4, v20
	s_delay_alu instid0(VALU_DEP_4) | instskip(SKIP_4) | instid1(VALU_DEP_4)
	v_mul_f32_e32 v19, v4, v1
	v_lshl_add_u32 v5, v0, 8, v31
	v_cvt_f32_f16_e32 v1, v17
	v_mul_f32_e32 v17, v4, v18
	v_mul_f32_e32 v20, v4, v22
	v_lshlrev_b64 v[8:9], 2, v[5:6]
	v_add_nc_u32_e32 v5, 0x80, v5
	v_mul_f32_e32 v18, v4, v1
	s_delay_alu instid0(VALU_DEP_2) | instskip(NEXT) | instid1(VALU_DEP_4)
	v_lshlrev_b64 v[4:5], 2, v[5:6]
	v_add_co_u32 v8, vcc_lo, s28, v8
	v_add_co_ci_u32_e32 v9, vcc_lo, s29, v9, vcc_lo
	s_delay_alu instid0(VALU_DEP_3) | instskip(NEXT) | instid1(VALU_DEP_4)
	v_add_co_u32 v4, vcc_lo, s28, v4
	v_add_co_ci_u32_e32 v5, vcc_lo, s29, v5, vcc_lo
	s_clause 0x1
	global_store_b128 v[8:9], v[13:16], off
	global_store_b128 v[4:5], v[17:20], off
	s_and_saveexec_b32 s2, s4
	s_cbranch_execz .LBB65_61
; %bb.60:
	v_ashrrev_i32_e32 v1, 31, v0
	v_mov_b32_e32 v9, v2
	s_delay_alu instid0(VALU_DEP_2) | instskip(NEXT) | instid1(VALU_DEP_1)
	v_lshlrev_b64 v[0:1], 3, v[0:1]
	v_add_co_u32 v0, vcc_lo, s30, v0
	s_delay_alu instid0(VALU_DEP_2)
	v_add_co_ci_u32_e32 v1, vcc_lo, s31, v1, vcc_lo
	global_store_b64 v[0:1], v[9:10], off
.LBB65_61:
	s_or_b32 exec_lo, exec_lo, s2
	v_cmp_gt_i32_e32 vcc_lo, s6, v29
	s_and_b32 exec_lo, exec_lo, vcc_lo
	s_cbranch_execz .LBB65_46
; %bb.62:
	v_cmp_ne_u32_e32 vcc_lo, 1, v12
	v_mov_b32_e32 v2, 1.0
	s_cbranch_vccnz .LBB65_64
; %bb.63:
	v_div_scale_f32 v0, null, v7, v7, 1.0
	s_delay_alu instid0(VALU_DEP_1) | instskip(SKIP_2) | instid1(VALU_DEP_1)
	v_rcp_f32_e32 v1, v0
	s_waitcnt_depctr 0xfff
	v_fma_f32 v2, -v0, v1, 1.0
	v_fmac_f32_e32 v1, v2, v1
	v_div_scale_f32 v2, vcc_lo, 1.0, v7, 1.0
	s_delay_alu instid0(VALU_DEP_1) | instskip(NEXT) | instid1(VALU_DEP_1)
	v_mul_f32_e32 v4, v2, v1
	v_fma_f32 v5, -v0, v4, v2
	s_delay_alu instid0(VALU_DEP_1) | instskip(NEXT) | instid1(VALU_DEP_1)
	v_fmac_f32_e32 v4, v5, v1
	v_fma_f32 v0, -v0, v4, v2
	s_delay_alu instid0(VALU_DEP_1) | instskip(NEXT) | instid1(VALU_DEP_1)
	v_div_fmas_f32 v0, v0, v1, v4
	v_div_fixup_f32 v2, v0, v7, 1.0
.LBB65_64:
	v_dual_mov_b32 v9, 0 :: v_dual_add_nc_u32 v0, s3, v28
	v_cvt_f32_f16_e32 v8, v56
	v_lshrrev_b32_e32 v7, 16, v56
	v_lshrrev_b32_e32 v10, 16, v54
	s_delay_alu instid0(VALU_DEP_4)
	v_mad_u64_u32 v[4:5], null, v0, s7, s[0:1]
	v_lshrrev_b32_e32 v5, 16, v57
	v_lshrrev_b32_e32 v12, 16, v55
	v_cvt_f32_f16_e32 v6, v57
	v_cvt_f32_f16_e32 v13, v55
	;; [unrolled: 1-line block ×4, first 2 shown]
	v_mad_u64_u32 v[0:1], null, s1, v4, s[14:15]
	v_cvt_f32_f16_e32 v1, v54
	v_mul_f32_e32 v4, v2, v8
	v_cvt_f32_f16_e32 v10, v10
	v_mul_f32_e32 v6, v2, v6
	v_mul_f32_e32 v7, v2, v5
	;; [unrolled: 1-line block ×3, first 2 shown]
	v_lshl_add_u32 v8, v0, 8, v31
	v_cvt_f32_f16_e32 v1, v12
	v_mul_f32_e32 v12, v2, v13
	v_mul_f32_e32 v5, v2, v15
	v_mul_f32_e32 v15, v2, v10
	v_lshlrev_b64 v[16:17], 2, v[8:9]
	v_dual_mul_f32 v13, v2, v1 :: v_dual_add_nc_u32 v8, 0x80, v8
	s_delay_alu instid0(VALU_DEP_1) | instskip(NEXT) | instid1(VALU_DEP_3)
	v_lshlrev_b64 v[1:2], 2, v[8:9]
	v_add_co_u32 v8, vcc_lo, s28, v16
	s_delay_alu instid0(VALU_DEP_4) | instskip(NEXT) | instid1(VALU_DEP_3)
	v_add_co_ci_u32_e32 v9, vcc_lo, s29, v17, vcc_lo
	v_add_co_u32 v1, vcc_lo, s28, v1
	s_delay_alu instid0(VALU_DEP_4)
	v_add_co_ci_u32_e32 v2, vcc_lo, s29, v2, vcc_lo
	s_clause 0x1
	global_store_b128 v[8:9], v[4:7], off
	global_store_b128 v[1:2], v[12:15], off
	s_and_b32 exec_lo, exec_lo, s4
	s_cbranch_execz .LBB65_46
; %bb.65:
	v_ashrrev_i32_e32 v1, 31, v0
	v_mov_b32_e32 v10, v3
	s_delay_alu instid0(VALU_DEP_2) | instskip(NEXT) | instid1(VALU_DEP_1)
	v_lshlrev_b64 v[0:1], 3, v[0:1]
	v_add_co_u32 v0, vcc_lo, s30, v0
	s_delay_alu instid0(VALU_DEP_2)
	v_add_co_ci_u32_e32 v1, vcc_lo, s31, v1, vcc_lo
	global_store_b64 v[0:1], v[10:11], off
	s_nop 0
	s_sendmsg sendmsg(MSG_DEALLOC_VGPRS)
	s_endpgm
	.section	.rodata,"a",@progbits
	.p2align	6, 0x0
	.amdhsa_kernel _ZL15flash_attn_tileILi256ELi256ELi16ELi2ELb1EEvPKcS1_S1_S1_S1_PKiPfP15HIP_vector_typeIfLj2EEffffjfiS5_IjLj3EEiiiiiiiiiiiliiliiiiil
		.amdhsa_group_segment_fixed_size 37888
		.amdhsa_private_segment_fixed_size 0
		.amdhsa_kernarg_size 464
		.amdhsa_user_sgpr_count 13
		.amdhsa_user_sgpr_dispatch_ptr 0
		.amdhsa_user_sgpr_queue_ptr 0
		.amdhsa_user_sgpr_kernarg_segment_ptr 1
		.amdhsa_user_sgpr_dispatch_id 0
		.amdhsa_user_sgpr_private_segment_size 0
		.amdhsa_wavefront_size32 1
		.amdhsa_uses_dynamic_stack 0
		.amdhsa_enable_private_segment 0
		.amdhsa_system_sgpr_workgroup_id_x 1
		.amdhsa_system_sgpr_workgroup_id_y 1
		.amdhsa_system_sgpr_workgroup_id_z 1
		.amdhsa_system_sgpr_workgroup_info 0
		.amdhsa_system_vgpr_workitem_id 1
		.amdhsa_next_free_vgpr 219
		.amdhsa_next_free_sgpr 43
		.amdhsa_reserve_vcc 1
		.amdhsa_float_round_mode_32 0
		.amdhsa_float_round_mode_16_64 0
		.amdhsa_float_denorm_mode_32 3
		.amdhsa_float_denorm_mode_16_64 3
		.amdhsa_dx10_clamp 1
		.amdhsa_ieee_mode 1
		.amdhsa_fp16_overflow 0
		.amdhsa_workgroup_processor_mode 1
		.amdhsa_memory_ordered 1
		.amdhsa_forward_progress 0
		.amdhsa_shared_vgpr_count 0
		.amdhsa_exception_fp_ieee_invalid_op 0
		.amdhsa_exception_fp_denorm_src 0
		.amdhsa_exception_fp_ieee_div_zero 0
		.amdhsa_exception_fp_ieee_overflow 0
		.amdhsa_exception_fp_ieee_underflow 0
		.amdhsa_exception_fp_ieee_inexact 0
		.amdhsa_exception_int_div_zero 0
	.end_amdhsa_kernel
	.section	.text._ZL15flash_attn_tileILi256ELi256ELi16ELi2ELb1EEvPKcS1_S1_S1_S1_PKiPfP15HIP_vector_typeIfLj2EEffffjfiS5_IjLj3EEiiiiiiiiiiiliiliiiiil,"axG",@progbits,_ZL15flash_attn_tileILi256ELi256ELi16ELi2ELb1EEvPKcS1_S1_S1_S1_PKiPfP15HIP_vector_typeIfLj2EEffffjfiS5_IjLj3EEiiiiiiiiiiiliiliiiiil,comdat
.Lfunc_end65:
	.size	_ZL15flash_attn_tileILi256ELi256ELi16ELi2ELb1EEvPKcS1_S1_S1_S1_PKiPfP15HIP_vector_typeIfLj2EEffffjfiS5_IjLj3EEiiiiiiiiiiiliiliiiiil, .Lfunc_end65-_ZL15flash_attn_tileILi256ELi256ELi16ELi2ELb1EEvPKcS1_S1_S1_S1_PKiPfP15HIP_vector_typeIfLj2EEffffjfiS5_IjLj3EEiiiiiiiiiiiliiliiiiil
                                        ; -- End function
	.section	.AMDGPU.csdata,"",@progbits
; Kernel info:
; codeLenInByte = 42424
; NumSgprs: 45
; NumVgprs: 219
; ScratchSize: 0
; MemoryBound: 0
; FloatMode: 240
; IeeeMode: 1
; LDSByteSize: 37888 bytes/workgroup (compile time only)
; SGPRBlocks: 5
; VGPRBlocks: 27
; NumSGPRsForWavesPerEU: 45
; NumVGPRsForWavesPerEU: 219
; Occupancy: 6
; WaveLimiterHint : 1
; COMPUTE_PGM_RSRC2:SCRATCH_EN: 0
; COMPUTE_PGM_RSRC2:USER_SGPR: 13
; COMPUTE_PGM_RSRC2:TRAP_HANDLER: 0
; COMPUTE_PGM_RSRC2:TGID_X_EN: 1
; COMPUTE_PGM_RSRC2:TGID_Y_EN: 1
; COMPUTE_PGM_RSRC2:TGID_Z_EN: 1
; COMPUTE_PGM_RSRC2:TIDIG_COMP_CNT: 1
	.section	.text._ZL15flash_attn_tileILi256ELi256ELi8ELi2ELb1EEvPKcS1_S1_S1_S1_PKiPfP15HIP_vector_typeIfLj2EEffffjfiS5_IjLj3EEiiiiiiiiiiiliiliiiiil,"axG",@progbits,_ZL15flash_attn_tileILi256ELi256ELi8ELi2ELb1EEvPKcS1_S1_S1_S1_PKiPfP15HIP_vector_typeIfLj2EEffffjfiS5_IjLj3EEiiiiiiiiiiiliiliiiiil,comdat
	.globl	_ZL15flash_attn_tileILi256ELi256ELi8ELi2ELb1EEvPKcS1_S1_S1_S1_PKiPfP15HIP_vector_typeIfLj2EEffffjfiS5_IjLj3EEiiiiiiiiiiiliiliiiiil ; -- Begin function _ZL15flash_attn_tileILi256ELi256ELi8ELi2ELb1EEvPKcS1_S1_S1_S1_PKiPfP15HIP_vector_typeIfLj2EEffffjfiS5_IjLj3EEiiiiiiiiiiiliiliiiiil
	.p2align	8
	.type	_ZL15flash_attn_tileILi256ELi256ELi8ELi2ELb1EEvPKcS1_S1_S1_S1_PKiPfP15HIP_vector_typeIfLj2EEffffjfiS5_IjLj3EEiiiiiiiiiiiliiliiiiil,@function
_ZL15flash_attn_tileILi256ELi256ELi8ELi2ELb1EEvPKcS1_S1_S1_S1_PKiPfP15HIP_vector_typeIfLj2EEffffjfiS5_IjLj3EEiiiiiiiiiiiliiliiiiil: ; @_ZL15flash_attn_tileILi256ELi256ELi8ELi2ELb1EEvPKcS1_S1_S1_S1_PKiPfP15HIP_vector_typeIfLj2EEffffjfiS5_IjLj3EEiiiiiiiiiiiliiliiiiil
; %bb.0:
	s_clause 0x3
	s_load_b128 s[4:7], s[0:1], 0x5c
	s_load_b64 s[34:35], s[0:1], 0x80
	s_load_b512 s[16:31], s[0:1], 0x0
	s_load_b64 s[38:39], s[0:1], 0xb8
	s_mov_b64 s[36:37], 0
	s_waitcnt lgkmcnt(0)
	s_lshr_b32 s2, s7, 31
	s_delay_alu instid0(SALU_CYCLE_1) | instskip(NEXT) | instid1(SALU_CYCLE_1)
	s_add_i32 s2, s7, s2
	s_ashr_i32 s2, s2, 1
	s_delay_alu instid0(SALU_CYCLE_1) | instskip(SKIP_1) | instid1(VALU_DEP_1)
	v_cvt_f32_u32_e32 v1, s2
	s_sub_i32 s8, 0, s2
	v_rcp_iflag_f32_e32 v1, v1
	s_waitcnt_depctr 0xfff
	v_mul_f32_e32 v1, 0x4f7ffffe, v1
	s_delay_alu instid0(VALU_DEP_1) | instskip(NEXT) | instid1(VALU_DEP_1)
	v_cvt_u32_f32_e32 v1, v1
	v_readfirstlane_b32 s3, v1
	s_delay_alu instid0(VALU_DEP_1) | instskip(NEXT) | instid1(SALU_CYCLE_1)
	s_mul_i32 s8, s8, s3
	s_mul_hi_u32 s8, s3, s8
	s_delay_alu instid0(SALU_CYCLE_1) | instskip(NEXT) | instid1(SALU_CYCLE_1)
	s_add_i32 s3, s3, s8
	s_mul_hi_u32 s3, s15, s3
	s_delay_alu instid0(SALU_CYCLE_1) | instskip(SKIP_2) | instid1(SALU_CYCLE_1)
	s_mul_i32 s8, s3, s2
	s_add_i32 s9, s3, 1
	s_sub_i32 s8, s15, s8
	s_sub_i32 s10, s8, s2
	s_cmp_ge_u32 s8, s2
	s_cselect_b32 s3, s9, s3
	s_cselect_b32 s8, s10, s8
	s_add_i32 s9, s3, 1
	s_cmp_ge_u32 s8, s2
	s_cselect_b32 s12, s9, s3
	s_abs_i32 s3, s35
	s_abs_i32 s11, s7
	v_cvt_f32_u32_e32 v1, s3
	s_sub_i32 s8, 0, s3
	s_lshl_b32 s9, s15, 1
	s_mul_i32 s10, s12, s7
	s_delay_alu instid0(VALU_DEP_1) | instskip(SKIP_2) | instid1(VALU_DEP_1)
	v_rcp_iflag_f32_e32 v1, v1
	s_waitcnt_depctr 0xfff
	v_mul_f32_e32 v1, 0x4f7ffffe, v1
	v_cvt_u32_f32_e32 v1, v1
	s_delay_alu instid0(VALU_DEP_1) | instskip(NEXT) | instid1(VALU_DEP_1)
	v_readfirstlane_b32 s2, v1
	s_mul_i32 s8, s8, s2
	s_delay_alu instid0(SALU_CYCLE_1) | instskip(NEXT) | instid1(SALU_CYCLE_1)
	s_mul_hi_u32 s8, s2, s8
	s_add_i32 s8, s2, s8
	s_sub_i32 s2, s9, s10
	s_mul_hi_u32 s8, s11, s8
	s_xor_b32 s9, s7, s35
	s_mul_i32 s10, s8, s3
	s_ashr_i32 s9, s9, 31
	s_sub_i32 s10, s11, s10
	s_add_i32 s11, s8, 1
	s_sub_i32 s15, s10, s3
	s_cmp_ge_u32 s10, s3
	s_cselect_b32 s8, s11, s8
	s_cselect_b32 s10, s15, s10
	s_add_i32 s11, s8, 1
	s_cmp_ge_u32 s10, s3
	s_cselect_b32 s3, s11, s8
	s_delay_alu instid0(SALU_CYCLE_1) | instskip(NEXT) | instid1(SALU_CYCLE_1)
	s_xor_b32 s3, s3, s9
	s_sub_i32 s33, s3, s9
	s_delay_alu instid0(SALU_CYCLE_1) | instskip(SKIP_2) | instid1(VALU_DEP_1)
	s_abs_i32 s15, s33
	s_cmp_eq_u64 s[22:23], 0
	v_cvt_f32_u32_e32 v1, s15
	v_rcp_iflag_f32_e32 v1, v1
	s_waitcnt_depctr 0xfff
	v_mul_f32_e32 v1, 0x4f7ffffe, v1
	s_delay_alu instid0(VALU_DEP_1) | instskip(NEXT) | instid1(VALU_DEP_1)
	v_cvt_u32_f32_e32 v1, v1
	v_readfirstlane_b32 s35, v1
	s_cbranch_scc1 .LBB66_2
; %bb.1:
	s_abs_i32 s3, s38
	s_abs_i32 s10, s12
	v_cvt_f32_u32_e32 v1, s3
	s_sub_i32 s9, 0, s3
	s_delay_alu instid0(VALU_DEP_1) | instskip(SKIP_2) | instid1(VALU_DEP_1)
	v_rcp_iflag_f32_e32 v1, v1
	s_waitcnt_depctr 0xfff
	v_mul_f32_e32 v1, 0x4f7ffffe, v1
	v_cvt_u32_f32_e32 v1, v1
	s_delay_alu instid0(VALU_DEP_1) | instskip(NEXT) | instid1(VALU_DEP_1)
	v_readfirstlane_b32 s8, v1
	s_mul_i32 s9, s9, s8
	s_delay_alu instid0(SALU_CYCLE_1) | instskip(NEXT) | instid1(SALU_CYCLE_1)
	s_mul_hi_u32 s9, s8, s9
	s_add_i32 s11, s8, s9
	s_load_b64 s[8:9], s[0:1], 0xc8
	s_mul_hi_u32 s11, s10, s11
	s_delay_alu instid0(SALU_CYCLE_1) | instskip(NEXT) | instid1(SALU_CYCLE_1)
	s_mul_i32 s11, s11, s3
	s_sub_i32 s10, s10, s11
	s_ashr_i32 s11, s12, 31
	s_sub_i32 s36, s10, s3
	s_cmp_ge_u32 s10, s3
	s_cselect_b32 s10, s36, s10
	s_delay_alu instid0(SALU_CYCLE_1) | instskip(SKIP_2) | instid1(SALU_CYCLE_1)
	s_sub_i32 s36, s10, s3
	s_cmp_ge_u32 s10, s3
	s_cselect_b32 s3, s36, s10
	s_xor_b32 s3, s3, s11
	s_delay_alu instid0(SALU_CYCLE_1)
	s_sub_i32 s3, s3, s11
	s_waitcnt lgkmcnt(0)
	s_mul_i32 s9, s3, s9
	s_mul_hi_u32 s10, s3, s8
	s_ashr_i32 s11, s3, 31
	s_add_i32 s9, s10, s9
	s_mul_i32 s11, s11, s8
	s_mul_i32 s3, s3, s8
	s_add_i32 s9, s9, s11
	s_add_u32 s36, s22, s3
	s_addc_u32 s37, s23, s9
.LBB66_2:
	v_bfe_u32 v1, v0, 10, 10
	s_load_b128 s[8:11], s[0:1], 0x70
	v_and_b32_e32 v17, 0x3ff, v0
	s_delay_alu instid0(VALU_DEP_2) | instskip(SKIP_1) | instid1(VALU_DEP_3)
	v_lshl_add_u32 v16, s13, 3, v1
	v_lshlrev_b32_e32 v15, 8, v1
	v_lshlrev_b32_e32 v0, 4, v17
	s_delay_alu instid0(VALU_DEP_3) | instskip(NEXT) | instid1(VALU_DEP_1)
	v_mul_hi_u32 v2, s4, v16
	v_add_nc_u32_e32 v2, v16, v2
	s_waitcnt lgkmcnt(0)
	s_mul_i32 s3, s12, s10
	s_mul_i32 s4, s2, s9
	s_delay_alu instid0(VALU_DEP_1)
	v_lshrrev_b32_e32 v2, s5, v2
	s_ashr_i32 s5, s3, 31
	s_add_u32 s3, s16, s3
	s_addc_u32 s5, s17, s5
	s_ashr_i32 s10, s4, 31
	v_mul_lo_u32 v2, v2, s6
	s_add_u32 s3, s3, s4
	s_addc_u32 s4, s5, s10
	s_ashr_i32 s5, s8, 31
	s_delay_alu instid0(SALU_CYCLE_1) | instskip(SKIP_1) | instid1(VALU_DEP_2)
	v_alignbit_b32 v5, s5, s8, 2
	s_lshr_b32 s5, s5, 2
	v_sub_nc_u32_e32 v2, v16, v2
	s_delay_alu instid0(VALU_DEP_1) | instskip(NEXT) | instid1(VALU_DEP_1)
	v_mad_u64_u32 v[3:4], null, v5, v2, 0
	v_mad_u64_u32 v[5:6], null, s5, v2, v[4:5]
	s_mov_b32 s5, 0
	s_delay_alu instid0(VALU_DEP_1) | instskip(NEXT) | instid1(VALU_DEP_1)
	v_mov_b32_e32 v4, v5
	v_lshlrev_b64 v[3:4], 2, v[3:4]
	s_delay_alu instid0(VALU_DEP_1) | instskip(NEXT) | instid1(VALU_DEP_2)
	v_add_co_u32 v3, vcc_lo, s3, v3
	v_add_co_ci_u32_e32 v4, vcc_lo, s4, v4, vcc_lo
	s_and_b32 s4, s9, -4
	s_delay_alu instid0(VALU_DEP_2) | instskip(NEXT) | instid1(VALU_DEP_2)
	v_add_co_u32 v11, vcc_lo, v3, v0
	v_add_co_ci_u32_e32 v12, vcc_lo, 0, v4, vcc_lo
	s_ashr_i32 s3, s9, 31
	s_delay_alu instid0(VALU_DEP_2) | instskip(NEXT) | instid1(VALU_DEP_2)
	v_add_co_u32 v18, vcc_lo, v11, s4
	v_add_co_ci_u32_e32 v19, vcc_lo, s3, v12, vcc_lo
	s_clause 0x1
	global_load_b128 v[3:6], v[11:12], off
	global_load_b128 v[7:10], v[11:12], off offset:512
	s_load_b32 s3, s[0:1], 0x40
	v_lshlrev_b32_e32 v0, 1, v17
	s_clause 0x1
	global_load_b128 v[11:14], v[18:19], off
	global_load_b128 v[18:21], v[18:19], off offset:512
	s_cmp_eq_u64 s[26:27], 0
	v_add_lshl_u32 v15, v0, v15, 2
	s_waitcnt vmcnt(3) lgkmcnt(0)
	v_fma_mixlo_f16 v23, v5, s3, 0
	v_fma_mixlo_f16 v22, v3, s3, 0
	s_waitcnt vmcnt(2)
	v_fma_mixlo_f16 v25, v9, s3, 0
	v_fma_mixlo_f16 v24, v7, s3, 0
	s_waitcnt vmcnt(1)
	v_fma_mixlo_f16 v3, v11, s3, 0
	v_fma_mixhi_f16 v23, v6, s3, 0
	v_fma_mixhi_f16 v22, v4, s3, 0
	v_fma_mixlo_f16 v4, v13, s3, 0
	s_waitcnt vmcnt(0)
	v_fma_mixlo_f16 v6, v20, s3, 0
	v_fma_mixlo_f16 v5, v18, s3, 0
	v_add_nc_u32_e32 v9, 0x4000, v15
	v_fma_mixhi_f16 v25, v10, s3, 0
	v_fma_mixhi_f16 v24, v8, s3, 0
	;; [unrolled: 1-line block ×6, first 2 shown]
	ds_store_2addr_b64 v9, v[22:23], v[24:25] offset0:64 offset1:96
	ds_store_2addr_b64 v9, v[3:4], v[5:6] offset0:128 offset1:160
	s_waitcnt lgkmcnt(0)
	s_barrier
	buffer_gl0_inv
	s_cbranch_scc1 .LBB66_4
; %bb.3:
	s_load_b32 s3, s[0:1], 0xd0
	s_waitcnt lgkmcnt(0)
	s_mul_i32 s3, s3, s12
	s_delay_alu instid0(SALU_CYCLE_1) | instskip(NEXT) | instid1(SALU_CYCLE_1)
	s_add_i32 s4, s3, s13
	s_lshl_b64 s[4:5], s[4:5], 2
	s_delay_alu instid0(SALU_CYCLE_1)
	s_add_u32 s4, s26, s4
	s_addc_u32 s5, s27, s5
	s_load_b32 s34, s[4:5], 0x0
.LBB66_4:
	v_lshlrev_b32_e32 v37, 2, v17
	v_mbcnt_lo_u32_b32 v38, -1, 0
	s_lshl_b32 s3, s14, 5
	s_waitcnt lgkmcnt(0)
	s_cmp_lt_i32 s3, s34
	s_cbranch_scc1 .LBB66_6
; %bb.5:
	v_mbcnt_lo_u32_b32 v3, -1, 0
	v_mov_b32_e32 v43, 32
	s_mov_b32 s4, 0
	s_mov_b32 s5, 0xfeffffff
	s_delay_alu instid0(VALU_DEP_2)
	v_xor_b32_e32 v70, 16, v3
	v_xor_b32_e32 v66, 8, v3
	;; [unrolled: 1-line block ×5, first 2 shown]
	s_branch .LBB66_7
.LBB66_6:
	s_mov_b32 s4, -1
                                        ; implicit-def: $sgpr5
                                        ; implicit-def: $vgpr3
                                        ; implicit-def: $vgpr43
                                        ; implicit-def: $vgpr70
                                        ; implicit-def: $vgpr66
                                        ; implicit-def: $vgpr67
                                        ; implicit-def: $vgpr68
                                        ; implicit-def: $vgpr69
.LBB66_7:
	s_delay_alu instid0(SALU_CYCLE_1) | instskip(SKIP_2) | instid1(VALU_DEP_3)
	v_cndmask_b32_e64 v4, 0, 1, s4
	v_dual_mov_b32 v36, s5 :: v_dual_mov_b32 v35, s5
	v_dual_mov_b32 v72, s4 :: v_dual_mov_b32 v45, s4
	v_cmp_ne_u32_e32 vcc_lo, 1, v4
	v_dual_mov_b32 v44, s4 :: v_dual_mov_b32 v39, s4
	v_dual_mov_b32 v46, s4 :: v_dual_mov_b32 v41, s4
	v_mov_b32_e32 v48, s4
	v_mov_b32_e32 v50, s4
	;; [unrolled: 1-line block ×4, first 2 shown]
	s_cbranch_vccnz .LBB66_20
; %bb.8:
	s_clause 0x1
	s_load_b128 s[8:11], s[0:1], 0x98
	s_load_b64 s[4:5], s[0:1], 0x8c
	s_sub_i32 s13, 0, s15
	s_load_b64 s[16:17], s[0:1], 0xa8
	s_mul_i32 s13, s13, s35
	s_abs_i32 s22, s2
	s_mul_hi_u32 s13, s35, s13
	s_ashr_i32 s26, s33, 31
	s_add_i32 s35, s35, s13
	s_ashr_i32 s27, s39, 1
	s_mul_hi_u32 s33, s22, s35
	s_ashr_i32 s35, s12, 31
	s_ashr_i32 s23, s2, 31
	s_mul_i32 s38, s33, s15
	v_dual_mov_b32 v40, 0 :: v_dual_lshlrev_b32 v47, 2, v37
	v_lshl_add_u32 v55, v1, 10, 0x4200
	v_lshl_add_u32 v56, v1, 7, 0x6200
	v_mad_u64_u32 v[18:19], null, v2, s27, v[17:18]
	s_waitcnt lgkmcnt(0)
	s_mul_i32 s39, s35, s8
	s_ashr_i32 s13, s4, 2
	s_mul_i32 s4, s12, s9
	s_mul_hi_u32 s9, s12, s8
	s_mul_i32 s8, s12, s8
	s_add_i32 s4, s9, s4
	s_ashr_i32 s10, s10, 2
	s_add_i32 s4, s4, s39
	s_add_u32 s8, s18, s8
	s_addc_u32 s4, s19, s4
	s_sub_i32 s18, s22, s38
	s_xor_b32 s9, s23, s26
	s_add_i32 s19, s33, 1
	s_sub_i32 s22, s18, s15
	s_cmp_ge_u32 s18, s15
	s_mul_i32 s35, s35, s16
	s_cselect_b32 s19, s19, s33
	s_cselect_b32 s18, s22, s18
	s_add_i32 s22, s19, 1
	s_cmp_ge_u32 s18, s15
	s_mul_i32 s15, s12, s17
	s_cselect_b32 s17, s22, s19
	s_mul_hi_u32 s18, s12, s16
	s_xor_b32 s17, s17, s9
	v_mul_lo_u32 v3, s13, v1
	s_sub_i32 s17, s17, s9
	v_mul_lo_u32 v7, s10, v1
	s_mul_i32 s5, s17, s5
	s_mul_i32 s16, s12, s16
	s_ashr_i32 s9, s5, 31
	s_add_u32 s8, s8, s5
	s_addc_u32 s9, s4, s9
	s_add_i32 s4, s18, s15
	s_mul_i32 s17, s17, s11
	s_add_i32 s4, s4, s35
	s_add_u32 s5, s20, s16
	s_addc_u32 s4, s21, s4
	s_ashr_i32 s15, s17, 31
	s_add_u32 s11, s5, s17
	s_addc_u32 s15, s4, s15
	s_lshl_b32 s4, s13, 3
	s_lshl_b32 s5, s10, 3
	v_dual_mov_b32 v46, 0 :: v_dual_add_nc_u32 v5, s4, v3
	v_dual_mov_b32 v64, 0xfeffffff :: v_dual_add_nc_u32 v13, s5, v7
	v_mad_u32_u24 v49, 0x210, v1, v47
	s_delay_alu instid0(VALU_DEP_3) | instskip(SKIP_1) | instid1(VALU_DEP_4)
	v_dual_mov_b32 v42, 0 :: v_dual_add_nc_u32 v9, s4, v5
	v_lshl_add_u32 v57, v1, 9, v47
	v_add_nc_u32_e32 v1, s5, v13
	s_load_b32 s16, s[0:1], 0x54
	s_delay_alu instid0(VALU_DEP_3) | instskip(SKIP_1) | instid1(VALU_DEP_3)
	v_dual_mov_b32 v44, 0 :: v_dual_add_nc_u32 v11, s4, v9
	v_ashrrev_i32_e32 v4, 31, v3
	v_add_nc_u32_e32 v33, s5, v1
	v_ashrrev_i32_e32 v6, 31, v5
	v_ashrrev_i32_e32 v10, 31, v9
	;; [unrolled: 1-line block ×7, first 2 shown]
	v_lshlrev_b64 v[19:20], 2, v[3:4]
	v_lshlrev_b64 v[21:22], 2, v[5:6]
	;; [unrolled: 1-line block ×8, first 2 shown]
	v_dual_mov_b32 v50, 0 :: v_dual_add_nc_u32 v51, 0x1080, v49
	v_dual_mov_b32 v43, 32 :: v_dual_add_nc_u32 v52, 0x2100, v49
	;; [unrolled: 1-line block ×3, first 2 shown]
	v_mul_u32_u24_e32 v54, 0x210, v17
	v_lshl_add_u32 v58, v0, 1, v56
	v_add_nc_u32_e32 v59, 0x1000, v57
	v_dual_mov_b32 v41, 0 :: v_dual_add_nc_u32 v60, 0x2000, v57
	v_add_nc_u32_e32 v61, 0x3000, v57
	v_dual_mov_b32 v65, 0xfeffffff :: v_dual_lshlrev_b32 v62, 2, v0
	v_mov_b32_e32 v39, 0
	v_mov_b32_e32 v45, 0
	;; [unrolled: 1-line block ×3, first 2 shown]
	s_add_u32 s4, s0, 0xd0
	s_addc_u32 s5, s1, 0
	s_mov_b32 s17, 0xbbbac73d
.LBB66_9:                               ; =>This Inner Loop Header: Depth=1
	s_mul_hi_i32 s19, s3, s13
	s_mul_i32 s18, s3, s13
	v_mov_b32_e32 v35, 0
	s_lshl_b64 s[18:19], s[18:19], 2
	s_delay_alu instid0(SALU_CYCLE_1)
	s_add_u32 s18, s8, s18
	s_addc_u32 s19, s9, s19
	v_add_co_u32 v0, vcc_lo, s18, v19
	v_add_co_ci_u32_e32 v1, vcc_lo, s19, v20, vcc_lo
	v_add_co_u32 v2, vcc_lo, s18, v21
	v_add_co_ci_u32_e32 v3, vcc_lo, s19, v22, vcc_lo
	s_delay_alu instid0(VALU_DEP_4) | instskip(NEXT) | instid1(VALU_DEP_4)
	v_add_co_u32 v0, vcc_lo, v0, v47
	v_add_co_ci_u32_e32 v1, vcc_lo, 0, v1, vcc_lo
	s_delay_alu instid0(VALU_DEP_4) | instskip(NEXT) | instid1(VALU_DEP_4)
	v_add_co_u32 v4, vcc_lo, v2, v47
	v_add_co_ci_u32_e32 v5, vcc_lo, 0, v3, vcc_lo
	v_add_co_u32 v2, vcc_lo, s18, v23
	v_add_co_ci_u32_e32 v3, vcc_lo, s19, v24, vcc_lo
	;; [unrolled: 2-line block ×3, first 2 shown]
	s_delay_alu instid0(VALU_DEP_4) | instskip(NEXT) | instid1(VALU_DEP_4)
	v_add_co_u32 v8, vcc_lo, v2, v47
	v_add_co_ci_u32_e32 v9, vcc_lo, 0, v3, vcc_lo
	s_delay_alu instid0(VALU_DEP_4) | instskip(NEXT) | instid1(VALU_DEP_4)
	v_add_co_u32 v12, vcc_lo, v6, v47
	v_add_co_ci_u32_e32 v13, vcc_lo, 0, v7, vcc_lo
	s_clause 0x3
	global_load_b128 v[0:3], v[0:1], off
	global_load_b128 v[4:7], v[4:5], off
	;; [unrolled: 1-line block ×4, first 2 shown]
	s_waitcnt vmcnt(3)
	ds_store_b128 v49, v[0:3]
	s_waitcnt vmcnt(2)
	ds_store_b128 v51, v[4:7]
	;; [unrolled: 2-line block ×4, first 2 shown]
	s_waitcnt lgkmcnt(0)
	s_barrier
	buffer_gl0_inv
	ds_load_b128 v[1:4], v54
	ds_load_b128 v[5:8], v55
	ds_load_b128 v[9:12], v55 offset:512
	v_dual_mov_b32 v0, 0 :: v_dual_add_nc_u32 v13, s3, v18
	s_waitcnt lgkmcnt(1)
	;;#ASMSTART
	v_dot2_f32_f16 v0, v1, v5, v0
	;;#ASMEND
	;;#ASMSTART
	v_dot2_f32_f16 v0, v2, v6, v0
	;;#ASMEND
	;; [unrolled: 3-line block ×4, first 2 shown]
	s_waitcnt lgkmcnt(0)
	;;#ASMSTART
	v_dot2_f32_f16 v35, v1, v9, v35
	;;#ASMEND
	;;#ASMSTART
	v_dot2_f32_f16 v35, v2, v10, v35
	;;#ASMEND
	;;#ASMSTART
	v_dot2_f32_f16 v35, v3, v11, v35
	;;#ASMEND
	;;#ASMSTART
	v_dot2_f32_f16 v35, v4, v12, v35
	;;#ASMEND
	ds_load_b128 v[1:4], v54 offset:16
	ds_load_b128 v[5:8], v55 offset:16
	;; [unrolled: 1-line block ×3, first 2 shown]
	v_ashrrev_i32_e32 v14, 31, v13
	s_waitcnt lgkmcnt(1)
	;;#ASMSTART
	v_dot2_f32_f16 v0, v1, v5, v0
	;;#ASMEND
	;;#ASMSTART
	v_dot2_f32_f16 v0, v2, v6, v0
	;;#ASMEND
	;; [unrolled: 3-line block ×4, first 2 shown]
	s_waitcnt lgkmcnt(0)
	;;#ASMSTART
	v_dot2_f32_f16 v35, v1, v9, v35
	;;#ASMEND
	;;#ASMSTART
	v_dot2_f32_f16 v35, v2, v10, v35
	;;#ASMEND
	;; [unrolled: 3-line block ×4, first 2 shown]
	ds_load_b128 v[1:4], v54 offset:32
	ds_load_b128 v[5:8], v55 offset:32
	;; [unrolled: 1-line block ×3, first 2 shown]
	v_lshlrev_b64 v[13:14], 1, v[13:14]
	s_waitcnt lgkmcnt(1)
	;;#ASMSTART
	v_dot2_f32_f16 v0, v1, v5, v0
	;;#ASMEND
	;;#ASMSTART
	v_dot2_f32_f16 v0, v2, v6, v0
	;;#ASMEND
	;;#ASMSTART
	v_dot2_f32_f16 v0, v3, v7, v0
	;;#ASMEND
	;;#ASMSTART
	v_dot2_f32_f16 v0, v4, v8, v0
	;;#ASMEND
	s_waitcnt lgkmcnt(0)
	;;#ASMSTART
	v_dot2_f32_f16 v35, v1, v9, v35
	;;#ASMEND
	;;#ASMSTART
	v_dot2_f32_f16 v35, v2, v10, v35
	;;#ASMEND
	;;#ASMSTART
	v_dot2_f32_f16 v35, v3, v11, v35
	;;#ASMEND
	;;#ASMSTART
	v_dot2_f32_f16 v35, v4, v12, v35
	;;#ASMEND
	ds_load_b128 v[1:4], v54 offset:48
	ds_load_b128 v[5:8], v55 offset:48
	ds_load_b128 v[9:12], v55 offset:560
	s_waitcnt lgkmcnt(1)
	;;#ASMSTART
	v_dot2_f32_f16 v0, v1, v5, v0
	;;#ASMEND
	;;#ASMSTART
	v_dot2_f32_f16 v0, v2, v6, v0
	;;#ASMEND
	;;#ASMSTART
	v_dot2_f32_f16 v0, v3, v7, v0
	;;#ASMEND
	;;#ASMSTART
	v_dot2_f32_f16 v0, v4, v8, v0
	;;#ASMEND
	s_waitcnt lgkmcnt(0)
	;;#ASMSTART
	v_dot2_f32_f16 v35, v1, v9, v35
	;;#ASMEND
	;;#ASMSTART
	v_dot2_f32_f16 v35, v2, v10, v35
	;;#ASMEND
	;;#ASMSTART
	v_dot2_f32_f16 v35, v3, v11, v35
	;;#ASMEND
	;;#ASMSTART
	v_dot2_f32_f16 v35, v4, v12, v35
	;;#ASMEND
	ds_load_b128 v[1:4], v54 offset:64
	ds_load_b128 v[5:8], v55 offset:64
	ds_load_b128 v[9:12], v55 offset:576
	;; [unrolled: 29-line block ×28, first 2 shown]
	s_waitcnt lgkmcnt(1)
	;;#ASMSTART
	v_dot2_f32_f16 v0, v1, v5, v0
	;;#ASMEND
	;;#ASMSTART
	v_dot2_f32_f16 v0, v2, v6, v0
	;;#ASMEND
	;; [unrolled: 3-line block ×4, first 2 shown]
	s_waitcnt lgkmcnt(0)
	;;#ASMSTART
	v_dot2_f32_f16 v35, v1, v9, v35
	;;#ASMEND
	;;#ASMSTART
	v_dot2_f32_f16 v35, v2, v10, v35
	;;#ASMEND
	;; [unrolled: 3-line block ×4, first 2 shown]
	ds_load_b128 v[1:4], v54 offset:496
	ds_load_b128 v[5:8], v55 offset:496
	v_add_co_u32 v13, vcc_lo, s36, v13
	ds_load_b128 v[9:12], v55 offset:1008
	s_waitcnt lgkmcnt(1)
	;;#ASMSTART
	v_dot2_f32_f16 v0, v1, v5, v0
	;;#ASMEND
	v_add_co_ci_u32_e32 v14, vcc_lo, s37, v14, vcc_lo
	;;#ASMSTART
	v_dot2_f32_f16 v0, v2, v6, v0
	;;#ASMEND
	;;#ASMSTART
	v_dot2_f32_f16 v0, v3, v7, v0
	;;#ASMEND
	;; [unrolled: 3-line block ×3, first 2 shown]
	s_waitcnt lgkmcnt(0)
	;;#ASMSTART
	v_dot2_f32_f16 v35, v1, v9, v35
	;;#ASMEND
	;;#ASMSTART
	v_dot2_f32_f16 v35, v2, v10, v35
	;;#ASMEND
	;; [unrolled: 3-line block ×4, first 2 shown]
	flat_load_u16 v71, v[13:14]
	v_cmp_ngt_f32_e64 s18, 0x3f200000, |v0|
                                        ; implicit-def: $vgpr1
	s_delay_alu instid0(VALU_DEP_1) | instskip(NEXT) | instid1(SALU_CYCLE_1)
	s_and_saveexec_b32 s19, s18
	s_xor_b32 s18, exec_lo, s19
	s_cbranch_execz .LBB66_11
; %bb.10:                               ;   in Loop: Header=BB66_9 Depth=1
	v_add_f32_e64 v1, |v0|, |v0|
	s_delay_alu instid0(VALU_DEP_1) | instskip(SKIP_1) | instid1(VALU_DEP_2)
	v_mul_f32_e32 v2, 0x3fb8aa3b, v1
	v_cmp_ngt_f32_e32 vcc_lo, 0xc2ce8ed0, v1
	v_rndne_f32_e32 v3, v2
	v_fma_f32 v4, 0x3fb8aa3b, v1, -v2
	s_delay_alu instid0(VALU_DEP_2) | instskip(NEXT) | instid1(VALU_DEP_2)
	v_sub_f32_e32 v2, v2, v3
	v_fmac_f32_e32 v4, 0x32a5705f, v1
	v_cvt_i32_f32_e32 v3, v3
	s_delay_alu instid0(VALU_DEP_2) | instskip(NEXT) | instid1(VALU_DEP_1)
	v_add_f32_e32 v2, v2, v4
	v_exp_f32_e32 v2, v2
	s_waitcnt_depctr 0xfff
	v_ldexp_f32 v2, v2, v3
	s_delay_alu instid0(VALU_DEP_1) | instskip(SKIP_1) | instid1(VALU_DEP_2)
	v_cndmask_b32_e32 v2, 0, v2, vcc_lo
	v_cmp_nlt_f32_e32 vcc_lo, 0x42b17218, v1
	v_cndmask_b32_e32 v1, 0x7f800000, v2, vcc_lo
	s_delay_alu instid0(VALU_DEP_1) | instskip(NEXT) | instid1(VALU_DEP_1)
	v_add_f32_e32 v1, 1.0, v1
	v_rcp_f32_e32 v1, v1
	s_waitcnt_depctr 0xfff
	v_fma_f32 v1, v1, -2.0, 1.0
.LBB66_11:                              ;   in Loop: Header=BB66_9 Depth=1
	s_and_not1_saveexec_b32 s18, s18
; %bb.12:                               ;   in Loop: Header=BB66_9 Depth=1
	v_mul_f32_e32 v1, v0, v0
	s_delay_alu instid0(VALU_DEP_1) | instskip(NEXT) | instid1(VALU_DEP_1)
	v_fmaak_f32 v2, s17, v1, 0x3ca908c9
	v_fmaak_f32 v2, v1, v2, 0xbd5c1c4e
	s_delay_alu instid0(VALU_DEP_1) | instskip(NEXT) | instid1(VALU_DEP_1)
	v_fmaak_f32 v2, v1, v2, 0x3e088382
	v_fmaak_f32 v2, v1, v2, 0xbeaaaa99
	s_delay_alu instid0(VALU_DEP_1) | instskip(NEXT) | instid1(VALU_DEP_1)
	v_mul_f32_e64 v2, |v0|, v2
	v_fma_f32 v1, v1, v2, |v0|
; %bb.13:                               ;   in Loop: Header=BB66_9 Depth=1
	s_or_b32 exec_lo, exec_lo, s18
	s_delay_alu instid0(VALU_DEP_1)
	v_bfi_b32 v0, 0x7fffffff, v1, v0
	v_xor_b32_e32 v70, 16, v38
	v_xor_b32_e32 v66, 8, v38
	v_max_f32_e32 v2, v65, v65
	v_xor_b32_e32 v67, 4, v38
	s_waitcnt vmcnt(0) lgkmcnt(0)
	v_fma_mix_f32 v36, v0, s16, v71 op_sel_hi:[0,0,1]
	v_cmp_gt_i32_e32 vcc_lo, 32, v70
	v_xor_b32_e32 v68, 2, v38
	v_xor_b32_e32 v69, 1, v38
	v_cmp_ngt_f32_e64 s18, 0x3f200000, |v35|
	v_dual_add_f32 v1, 0x40051340, v36 :: v_dual_cndmask_b32 v0, v38, v70
	v_cmp_gt_i32_e32 vcc_lo, 32, v66
                                        ; implicit-def: $vgpr79
	s_delay_alu instid0(VALU_DEP_2) | instskip(NEXT) | instid1(VALU_DEP_3)
	v_lshlrev_b32_e32 v72, 2, v0
	v_max_f32_e32 v0, v2, v1
	v_cndmask_b32_e32 v2, v38, v66, vcc_lo
	v_cmp_gt_i32_e32 vcc_lo, 32, v67
	s_delay_alu instid0(VALU_DEP_2) | instskip(SKIP_3) | instid1(VALU_DEP_2)
	v_lshlrev_b32_e32 v73, 2, v2
	ds_bpermute_b32 v1, v72, v0
	v_cndmask_b32_e32 v2, v38, v67, vcc_lo
	v_cmp_gt_i32_e32 vcc_lo, 32, v68
	v_lshlrev_b32_e32 v74, 2, v2
	v_cndmask_b32_e32 v2, v38, v68, vcc_lo
	v_cmp_gt_i32_e32 vcc_lo, 32, v69
	s_delay_alu instid0(VALU_DEP_2) | instskip(NEXT) | instid1(VALU_DEP_1)
	v_dual_cndmask_b32 v2, v38, v69 :: v_dual_lshlrev_b32 v75, 2, v2
	v_lshlrev_b32_e32 v77, 2, v2
	s_waitcnt lgkmcnt(0)
	v_max_f32_e32 v1, v1, v1
	s_delay_alu instid0(VALU_DEP_1) | instskip(SKIP_3) | instid1(VALU_DEP_1)
	v_max_f32_e32 v0, v0, v1
	ds_bpermute_b32 v1, v73, v0
	s_waitcnt lgkmcnt(0)
	v_max_f32_e32 v1, v1, v1
	v_max_f32_e32 v0, v0, v1
	ds_bpermute_b32 v1, v74, v0
	s_waitcnt lgkmcnt(0)
	v_max_f32_e32 v1, v1, v1
	s_delay_alu instid0(VALU_DEP_1) | instskip(SKIP_3) | instid1(VALU_DEP_1)
	v_max_f32_e32 v0, v0, v1
	ds_bpermute_b32 v1, v75, v0
	s_waitcnt lgkmcnt(0)
	v_max_f32_e32 v1, v1, v1
	v_max_f32_e32 v76, v0, v1
	ds_bpermute_b32 v78, v77, v76
	s_and_saveexec_b32 s19, s18
	s_delay_alu instid0(SALU_CYCLE_1)
	s_xor_b32 s18, exec_lo, s19
	s_cbranch_execz .LBB66_15
; %bb.14:                               ;   in Loop: Header=BB66_9 Depth=1
	v_add_f32_e64 v0, |v35|, |v35|
	s_delay_alu instid0(VALU_DEP_1) | instskip(SKIP_1) | instid1(VALU_DEP_2)
	v_mul_f32_e32 v1, 0x3fb8aa3b, v0
	v_cmp_ngt_f32_e32 vcc_lo, 0xc2ce8ed0, v0
	v_rndne_f32_e32 v2, v1
	v_fma_f32 v3, 0x3fb8aa3b, v0, -v1
	s_delay_alu instid0(VALU_DEP_2) | instskip(NEXT) | instid1(VALU_DEP_2)
	v_sub_f32_e32 v1, v1, v2
	v_fmac_f32_e32 v3, 0x32a5705f, v0
	v_cvt_i32_f32_e32 v2, v2
	s_delay_alu instid0(VALU_DEP_2) | instskip(NEXT) | instid1(VALU_DEP_1)
	v_add_f32_e32 v1, v1, v3
	v_exp_f32_e32 v1, v1
	s_waitcnt_depctr 0xfff
	v_ldexp_f32 v1, v1, v2
	s_delay_alu instid0(VALU_DEP_1) | instskip(SKIP_1) | instid1(VALU_DEP_2)
	v_cndmask_b32_e32 v1, 0, v1, vcc_lo
	v_cmp_nlt_f32_e32 vcc_lo, 0x42b17218, v0
	v_cndmask_b32_e32 v0, 0x7f800000, v1, vcc_lo
	s_delay_alu instid0(VALU_DEP_1) | instskip(NEXT) | instid1(VALU_DEP_1)
	v_add_f32_e32 v0, 1.0, v0
	v_rcp_f32_e32 v0, v0
	s_waitcnt_depctr 0xfff
	v_fma_f32 v79, v0, -2.0, 1.0
.LBB66_15:                              ;   in Loop: Header=BB66_9 Depth=1
	s_and_not1_saveexec_b32 s18, s18
; %bb.16:                               ;   in Loop: Header=BB66_9 Depth=1
	v_mul_f32_e32 v0, v35, v35
	s_delay_alu instid0(VALU_DEP_1) | instskip(NEXT) | instid1(VALU_DEP_1)
	v_fmaak_f32 v1, s17, v0, 0x3ca908c9
	v_fmaak_f32 v1, v0, v1, 0xbd5c1c4e
	s_delay_alu instid0(VALU_DEP_1) | instskip(NEXT) | instid1(VALU_DEP_1)
	v_fmaak_f32 v1, v0, v1, 0x3e088382
	v_fmaak_f32 v1, v0, v1, 0xbeaaaa99
	s_delay_alu instid0(VALU_DEP_1) | instskip(NEXT) | instid1(VALU_DEP_1)
	v_mul_f32_e64 v1, |v35|, v1
	v_fma_f32 v79, v0, v1, |v35|
; %bb.17:                               ;   in Loop: Header=BB66_9 Depth=1
	s_or_b32 exec_lo, exec_lo, s18
	s_mul_hi_i32 s19, s3, s10
	s_mul_i32 s18, s3, s10
	s_waitcnt lgkmcnt(0)
	s_lshl_b64 s[18:19], s[18:19], 2
	s_barrier
	s_add_u32 s18, s11, s18
	s_addc_u32 s19, s15, s19
	v_add_co_u32 v0, vcc_lo, s18, v27
	v_add_co_ci_u32_e32 v1, vcc_lo, s19, v28, vcc_lo
	v_add_co_u32 v2, vcc_lo, s18, v29
	v_add_co_ci_u32_e32 v3, vcc_lo, s19, v30, vcc_lo
	s_delay_alu instid0(VALU_DEP_4) | instskip(NEXT) | instid1(VALU_DEP_4)
	v_add_co_u32 v0, vcc_lo, v0, v47
	v_add_co_ci_u32_e32 v1, vcc_lo, 0, v1, vcc_lo
	s_delay_alu instid0(VALU_DEP_4) | instskip(NEXT) | instid1(VALU_DEP_4)
	v_add_co_u32 v4, vcc_lo, v2, v47
	v_add_co_ci_u32_e32 v5, vcc_lo, 0, v3, vcc_lo
	v_add_co_u32 v2, vcc_lo, s18, v31
	v_add_co_ci_u32_e32 v3, vcc_lo, s19, v32, vcc_lo
	;; [unrolled: 2-line block ×3, first 2 shown]
	s_delay_alu instid0(VALU_DEP_4) | instskip(NEXT) | instid1(VALU_DEP_4)
	v_add_co_u32 v8, vcc_lo, v2, v47
	v_add_co_ci_u32_e32 v9, vcc_lo, 0, v3, vcc_lo
	s_delay_alu instid0(VALU_DEP_4) | instskip(NEXT) | instid1(VALU_DEP_4)
	v_add_co_u32 v12, vcc_lo, v6, v47
	v_add_co_ci_u32_e32 v13, vcc_lo, 0, v7, vcc_lo
	buffer_gl0_inv
	s_clause 0x3
	global_load_b128 v[0:3], v[0:1], off
	global_load_b128 v[4:7], v[4:5], off
	;; [unrolled: 1-line block ×4, first 2 shown]
	v_cvt_f32_f16_e32 v80, v71
	v_bfi_b32 v35, 0x7fffffff, v79, v35
	v_add_nc_u32_e32 v187, 0x3000, v62
	v_add_nc_u32_e32 v188, 0x3800, v62
	s_delay_alu instid0(VALU_DEP_3) | instskip(NEXT) | instid1(VALU_DEP_1)
	v_dual_fmac_f32 v80, s16, v35 :: v_dual_max_f32 v35, v64, v64
	v_add_f32_e32 v71, 0x40051340, v80
	s_delay_alu instid0(VALU_DEP_1) | instskip(SKIP_3) | instid1(VALU_DEP_1)
	v_max_f32_e32 v35, v35, v71
	ds_bpermute_b32 v71, v72, v35
	s_waitcnt lgkmcnt(0)
	v_max_f32_e32 v71, v71, v71
	v_max_f32_e32 v35, v35, v71
	ds_bpermute_b32 v71, v73, v35
	s_waitcnt lgkmcnt(0)
	v_max_f32_e32 v71, v71, v71
	s_delay_alu instid0(VALU_DEP_1) | instskip(SKIP_3) | instid1(VALU_DEP_1)
	v_max_f32_e32 v35, v35, v71
	ds_bpermute_b32 v71, v74, v35
	s_waitcnt lgkmcnt(0)
	v_dual_max_f32 v71, v71, v71 :: v_dual_add_nc_u32 v74, 0x2000, v62
	v_max_f32_e32 v35, v35, v71
	ds_bpermute_b32 v71, v75, v35
	s_waitcnt lgkmcnt(0)
	v_max_f32_e32 v71, v71, v71
	s_delay_alu instid0(VALU_DEP_1) | instskip(SKIP_3) | instid1(VALU_DEP_1)
	v_dual_max_f32 v72, v35, v71 :: v_dual_max_f32 v35, v78, v78
	v_max_f32_e32 v71, v76, v76
	ds_bpermute_b32 v73, v77, v72
	v_max_f32_e32 v35, v71, v35
	v_sub_f32_e32 v76, v36, v35
	s_delay_alu instid0(VALU_DEP_1) | instskip(NEXT) | instid1(VALU_DEP_1)
	v_mul_f32_e32 v78, 0x3fb8aa3b, v76
	v_fma_f32 v81, 0x3fb8aa3b, v76, -v78
	v_rndne_f32_e32 v82, v78
	s_waitcnt lgkmcnt(0)
	s_delay_alu instid0(VALU_DEP_2) | instskip(NEXT) | instid1(VALU_DEP_2)
	v_dual_max_f32 v36, v73, v73 :: v_dual_fmac_f32 v81, 0x32a5705f, v76
	v_sub_f32_e32 v78, v78, v82
	s_delay_alu instid0(VALU_DEP_2) | instskip(SKIP_1) | instid1(VALU_DEP_3)
	v_dual_max_f32 v36, v72, v36 :: v_dual_add_nc_u32 v71, 0x800, v62
	v_cvt_i32_f32_e32 v82, v82
	v_add_f32_e32 v78, v78, v81
	s_delay_alu instid0(VALU_DEP_3) | instskip(SKIP_1) | instid1(VALU_DEP_3)
	v_sub_f32_e32 v64, v64, v36
	v_sub_f32_e32 v80, v80, v36
	v_exp_f32_e32 v78, v78
	s_delay_alu instid0(VALU_DEP_2) | instskip(NEXT) | instid1(VALU_DEP_2)
	v_mul_f32_e32 v84, 0x3fb8aa3b, v64
	v_mul_f32_e32 v83, 0x3fb8aa3b, v80
	s_delay_alu instid0(VALU_DEP_2) | instskip(SKIP_1) | instid1(VALU_DEP_3)
	v_fma_f32 v86, 0x3fb8aa3b, v64, -v84
	v_sub_f32_e32 v75, v65, v35
	v_rndne_f32_e32 v85, v83
	s_waitcnt_depctr 0xfff
	v_ldexp_f32 v78, v78, v82
	v_rndne_f32_e32 v87, v84
	v_fmac_f32_e32 v86, 0x32a5705f, v64
	v_mul_f32_e32 v77, 0x3fb8aa3b, v75
	v_cmp_ngt_f32_e32 vcc_lo, 0xc2ce8ed0, v75
	s_delay_alu instid0(VALU_DEP_4) | instskip(NEXT) | instid1(VALU_DEP_3)
	v_cvt_i32_f32_e32 v82, v87
	v_fma_f32 v72, 0x3fb8aa3b, v75, -v77
	v_rndne_f32_e32 v79, v77
	s_delay_alu instid0(VALU_DEP_2) | instskip(NEXT) | instid1(VALU_DEP_2)
	v_fmac_f32_e32 v72, 0x32a5705f, v75
	v_sub_f32_e32 v77, v77, v79
	v_cvt_i32_f32_e32 v79, v79
	s_delay_alu instid0(VALU_DEP_2) | instskip(SKIP_1) | instid1(VALU_DEP_2)
	v_add_f32_e32 v72, v77, v72
	v_fma_f32 v77, 0x3fb8aa3b, v80, -v83
	v_exp_f32_e32 v72, v72
	s_delay_alu instid0(VALU_DEP_1) | instskip(SKIP_4) | instid1(VALU_DEP_3)
	v_fmac_f32_e32 v77, 0x32a5705f, v80
	s_waitcnt_depctr 0xfff
	v_ldexp_f32 v72, v72, v79
	v_add_nc_u32_e32 v65, 0x1000, v62
	v_cvt_i32_f32_e32 v79, v85
	v_cndmask_b32_e32 v72, 0, v72, vcc_lo
	v_cmp_ngt_f32_e32 vcc_lo, 0xc2ce8ed0, v76
	v_dual_cndmask_b32 v78, 0, v78 :: v_dual_sub_f32 v81, v83, v85
	v_cmp_nlt_f32_e32 vcc_lo, 0x42b17218, v75
	s_delay_alu instid0(VALU_DEP_2) | instskip(SKIP_2) | instid1(VALU_DEP_3)
	v_add_f32_e32 v77, v81, v77
	v_cndmask_b32_e32 v75, 0x7f800000, v72, vcc_lo
	v_cmp_ngt_f32_e32 vcc_lo, 0xc2ce8ed0, v80
	v_exp_f32_e32 v77, v77
	s_delay_alu instid0(VALU_DEP_2) | instskip(NEXT) | instid1(VALU_DEP_1)
	v_cvt_f16_f32_e64 v189, v75
	v_pk_mul_f16 v48, v189, v48 op_sel_hi:[0,1]
	v_pk_mul_f16 v50, v189, v50 op_sel_hi:[0,1]
	s_waitcnt_depctr 0xfff
	v_ldexp_f32 v77, v77, v79
	s_delay_alu instid0(VALU_DEP_1) | instskip(SKIP_2) | instid1(VALU_DEP_2)
	v_dual_cndmask_b32 v72, 0, v77 :: v_dual_add_nc_u32 v73, 0x1800, v62
	v_sub_f32_e32 v83, v84, v87
	v_cmp_ngt_f32_e32 vcc_lo, 0xc2ce8ed0, v64
	v_add_f32_e32 v81, v83, v86
	s_delay_alu instid0(VALU_DEP_1) | instskip(SKIP_2) | instid1(VALU_DEP_1)
	v_exp_f32_e32 v81, v81
	s_waitcnt_depctr 0xfff
	v_ldexp_f32 v79, v81, v82
	v_cndmask_b32_e32 v77, 0, v79, vcc_lo
	v_cmp_nlt_f32_e32 vcc_lo, 0x42b17218, v76
	v_cndmask_b32_e32 v76, 0x7f800000, v78, vcc_lo
	v_cmp_nlt_f32_e32 vcc_lo, 0x42b17218, v80
	s_delay_alu instid0(VALU_DEP_2) | instskip(SKIP_2) | instid1(VALU_DEP_2)
	v_fma_f32 v46, v46, v75, v76
	v_cndmask_b32_e32 v72, 0x7f800000, v72, vcc_lo
	v_cmp_nlt_f32_e32 vcc_lo, 0x42b17218, v64
	v_cvt_f16_f32_e32 v78, v72
	v_cndmask_b32_e32 v64, 0x7f800000, v77, vcc_lo
	v_cvt_f16_f32_e32 v77, v76
	s_delay_alu instid0(VALU_DEP_2) | instskip(SKIP_1) | instid1(VALU_DEP_3)
	v_dual_fmac_f32 v72, v63, v64 :: v_dual_add_nc_u32 v175, 0x2800, v62
	v_cvt_f16_f32_e64 v190, v64
	v_pack_b32_f16 v75, v77, v78
	ds_store_b32 v58, v75
	s_waitcnt vmcnt(3)
	ds_store_b128 v57, v[0:3]
	s_waitcnt vmcnt(2)
	ds_store_b128 v59, v[4:7]
	;; [unrolled: 2-line block ×4, first 2 shown]
	v_pk_mul_f16 v42, v190, v42 op_sel_hi:[0,1]
	v_pk_mul_f16 v41, v190, v41 op_sel_hi:[0,1]
	;; [unrolled: 1-line block ×3, first 2 shown]
	s_waitcnt lgkmcnt(0)
	s_barrier
	buffer_gl0_inv
	ds_load_2addr_b64 v[0:3], v62 offset1:32
	ds_load_b128 v[4:7], v56
	ds_load_b128 v[8:11], v56 offset:16
	ds_load_b128 v[12:15], v56 offset:32
	ds_load_b128 v[75:78], v56 offset:48
	ds_load_2addr_b64 v[79:82], v62 offset0:64 offset1:96
	ds_load_2addr_b64 v[83:86], v62 offset0:128 offset1:160
	ds_load_2addr_b64 v[87:90], v62 offset0:192 offset1:224
	ds_load_2addr_b64 v[91:94], v71 offset1:32
	ds_load_2addr_b64 v[95:98], v71 offset0:64 offset1:96
	ds_load_2addr_b64 v[99:102], v71 offset0:128 offset1:160
	ds_load_2addr_b64 v[103:106], v71 offset0:192 offset1:224
	ds_load_2addr_b64 v[107:110], v65 offset1:32
	ds_load_2addr_b64 v[111:114], v65 offset0:64 offset1:96
	ds_load_2addr_b64 v[115:118], v65 offset0:128 offset1:160
	ds_load_2addr_b64 v[119:122], v65 offset0:192 offset1:224
	ds_load_2addr_b64 v[123:126], v73 offset1:32
	ds_load_2addr_b64 v[127:130], v73 offset0:64 offset1:96
	ds_load_2addr_b64 v[131:134], v73 offset0:128 offset1:160
	ds_load_2addr_b64 v[135:138], v73 offset0:192 offset1:224
	ds_load_2addr_b64 v[139:142], v74 offset1:32
	ds_load_2addr_b64 v[143:146], v74 offset0:64 offset1:96
	ds_load_2addr_b64 v[147:150], v74 offset0:128 offset1:160
	ds_load_2addr_b64 v[151:154], v74 offset0:192 offset1:224
	ds_load_2addr_b64 v[155:158], v175 offset1:32
	ds_load_b128 v[159:162], v56 offset:64
	ds_load_b128 v[163:166], v56 offset:80
	ds_load_2addr_b64 v[167:170], v175 offset0:64 offset1:96
	ds_load_2addr_b64 v[171:174], v175 offset0:128 offset1:160
	;; [unrolled: 1-line block ×3, first 2 shown]
	ds_load_2addr_b64 v[179:182], v187 offset1:32
	ds_load_2addr_b64 v[183:186], v187 offset0:64 offset1:96
	s_waitcnt lgkmcnt(30)
	v_pk_mul_f16 v63, v0, v4 op_sel_hi:[1,0]
	v_pk_mul_f16 v64, v0, v4 op_sel:[0,1]
	v_pk_mul_f16 v65, v1, v4 op_sel_hi:[1,0]
	v_pk_fma_f16 v71, v1, v4, v42 op_sel:[0,1,0]
	v_pk_fma_f16 v48, v2, v4, v48 op_sel_hi:[1,0,1]
	v_pk_fma_f16 v73, v2, v4, v41 op_sel:[0,1,0]
	v_pk_fma_f16 v50, v3, v4, v50 op_sel_hi:[1,0,1]
	;; [unrolled: 2-line block ×3, first 2 shown]
	v_pk_fma_f16 v44, v189, v44, v63 op_sel_hi:[0,1,1]
	v_pk_fma_f16 v45, v189, v45, v65 op_sel_hi:[0,1,1]
	s_waitcnt lgkmcnt(26)
	v_pk_fma_f16 v63, v80, v5, v71 op_sel:[0,1,0]
	v_pk_fma_f16 v48, v81, v5, v48 op_sel_hi:[1,0,1]
	v_pk_fma_f16 v65, v81, v5, v73 op_sel:[0,1,0]
	v_pk_fma_f16 v50, v82, v5, v50 op_sel_hi:[1,0,1]
	v_pk_fma_f16 v4, v82, v5, v4 op_sel:[0,1,0]
	v_pk_fma_f16 v44, v79, v5, v44 op_sel_hi:[1,0,1]
	v_pk_fma_f16 v64, v79, v5, v64 op_sel:[0,1,0]
	v_pk_fma_f16 v5, v80, v5, v45 op_sel_hi:[1,0,1]
	s_waitcnt lgkmcnt(25)
	v_pk_fma_f16 v45, v84, v6, v63 op_sel:[0,1,0]
	v_pk_fma_f16 v48, v85, v6, v48 op_sel_hi:[1,0,1]
	v_pk_fma_f16 v63, v85, v6, v65 op_sel:[0,1,0]
	v_pk_fma_f16 v50, v86, v6, v50 op_sel_hi:[1,0,1]
	v_pk_fma_f16 v4, v86, v6, v4 op_sel:[0,1,0]
	v_pk_fma_f16 v44, v83, v6, v44 op_sel_hi:[1,0,1]
	v_pk_fma_f16 v64, v83, v6, v64 op_sel:[0,1,0]
	;; [unrolled: 9-line block ×16, first 2 shown]
	v_pk_fma_f16 v8, v140, v159, v8 op_sel_hi:[1,0,1]
	v_pk_fma_f16 v9, v144, v160, v9 op_sel:[0,1,0]
	v_pk_fma_f16 v10, v145, v160, v10 op_sel_hi:[1,0,1]
	v_pk_fma_f16 v11, v145, v160, v11 op_sel:[0,1,0]
	;; [unrolled: 2-line block ×12, first 2 shown]
	v_pk_fma_f16 v8, v152, v162, v8 op_sel_hi:[1,0,1]
	s_waitcnt lgkmcnt(5)
	v_pk_fma_f16 v9, v156, v163, v9 op_sel:[0,1,0]
	v_pk_fma_f16 v10, v157, v163, v10 op_sel_hi:[1,0,1]
	v_pk_fma_f16 v11, v157, v163, v11 op_sel:[0,1,0]
	v_pk_fma_f16 v12, v158, v163, v12 op_sel_hi:[1,0,1]
	;; [unrolled: 2-line block ×4, first 2 shown]
	ds_load_2addr_b64 v[0:3], v187 offset0:128 offset1:160
	ds_load_2addr_b64 v[39:42], v187 offset0:192 offset1:224
	ds_load_2addr_b64 v[79:82], v188 offset1:32
	ds_load_b128 v[4:7], v56 offset:96
	ds_load_b128 v[83:86], v56 offset:112
	ds_load_2addr_b64 v[87:90], v188 offset0:64 offset1:96
	s_waitcnt lgkmcnt(10)
	v_pk_fma_f16 v9, v168, v164, v9 op_sel:[0,1,0]
	v_pk_fma_f16 v10, v169, v164, v10 op_sel_hi:[1,0,1]
	v_pk_fma_f16 v11, v169, v164, v11 op_sel:[0,1,0]
	v_pk_fma_f16 v12, v170, v164, v12 op_sel_hi:[1,0,1]
	v_pk_fma_f16 v13, v170, v164, v13 op_sel:[0,1,0]
	v_pk_fma_f16 v14, v167, v164, v14 op_sel_hi:[1,0,1]
	v_pk_fma_f16 v15, v167, v164, v15 op_sel:[0,1,0]
	v_pk_fma_f16 v8, v168, v164, v8 op_sel_hi:[1,0,1]
	s_waitcnt lgkmcnt(9)
	v_pk_fma_f16 v9, v172, v165, v9 op_sel:[0,1,0]
	v_pk_fma_f16 v10, v173, v165, v10 op_sel_hi:[1,0,1]
	v_pk_fma_f16 v11, v173, v165, v11 op_sel:[0,1,0]
	v_pk_fma_f16 v12, v174, v165, v12 op_sel_hi:[1,0,1]
	v_pk_fma_f16 v13, v174, v165, v13 op_sel:[0,1,0]
	v_pk_fma_f16 v14, v171, v165, v14 op_sel_hi:[1,0,1]
	v_pk_fma_f16 v15, v171, v165, v15 op_sel:[0,1,0]
	v_pk_fma_f16 v8, v172, v165, v8 op_sel_hi:[1,0,1]
	;; [unrolled: 9-line block ×4, first 2 shown]
	v_pk_fma_f16 v8, v184, v5, v9 op_sel:[0,1,0]
	v_pk_fma_f16 v9, v185, v5, v10 op_sel_hi:[1,0,1]
	v_pk_fma_f16 v10, v185, v5, v11 op_sel:[0,1,0]
	v_pk_fma_f16 v11, v186, v5, v12 op_sel_hi:[1,0,1]
	;; [unrolled: 2-line block ×8, first 2 shown]
	ds_load_2addr_b64 v[91:94], v188 offset0:128 offset1:160
	ds_load_2addr_b64 v[187:190], v188 offset0:192 offset1:224
	s_waitcnt lgkmcnt(0)
	s_barrier
	buffer_gl0_inv
	s_load_b32 s18, s[4:5], 0x4
	v_pk_fma_f16 v4, v40, v7, v5 op_sel:[0,1,0]
	v_pk_fma_f16 v5, v41, v7, v8 op_sel_hi:[1,0,1]
	v_pk_fma_f16 v2, v41, v7, v2 op_sel:[0,1,0]
	v_pk_fma_f16 v6, v42, v7, v9 op_sel_hi:[1,0,1]
	;; [unrolled: 2-line block ×16, first 2 shown]
	s_waitcnt lgkmcnt(0)
	s_lshl_b32 s18, s18, 5
	v_pk_fma_f16 v42, v188, v86, v4 op_sel:[0,1,0]
	v_pk_fma_f16 v48, v189, v86, v5 op_sel_hi:[1,0,1]
	v_pk_fma_f16 v41, v189, v86, v2 op_sel:[0,1,0]
	v_pk_fma_f16 v50, v190, v86, v6 op_sel_hi:[1,0,1]
	;; [unrolled: 2-line block ×4, first 2 shown]
	s_add_i32 s3, s18, s3
	s_delay_alu instid0(SALU_CYCLE_1)
	s_cmp_ge_i32 s3, s34
	s_cbranch_scc1 .LBB66_19
; %bb.18:                               ;   in Loop: Header=BB66_9 Depth=1
	v_dual_mov_b32 v65, v35 :: v_dual_mov_b32 v64, v36
	v_mov_b32_e32 v63, v72
	s_branch .LBB66_9
.LBB66_19:
	v_mov_b32_e32 v3, v38
.LBB66_20:
	v_cmp_lt_i32_e32 vcc_lo, v70, v43
	s_cmp_lg_u64 s[24:25], 0
	s_cselect_b32 s3, -1, 0
	s_cmp_eq_u32 s14, 0
	v_cndmask_b32_e32 v0, v3, v70, vcc_lo
	v_cmp_lt_i32_e32 vcc_lo, v66, v43
	s_cselect_b32 s4, -1, 0
	s_delay_alu instid0(SALU_CYCLE_1)
	s_and_b32 s3, s4, s3
	v_cndmask_b32_e32 v2, v3, v66, vcc_lo
	v_cmp_lt_i32_e32 vcc_lo, v67, v43
	v_dual_cndmask_b32 v5, v3, v67 :: v_dual_lshlrev_b32 v0, 2, v0
	ds_bpermute_b32 v1, v0, v46
	ds_bpermute_b32 v0, v0, v72
	v_cmp_lt_i32_e32 vcc_lo, v68, v43
	v_lshlrev_b32_e32 v5, 2, v5
	s_waitcnt lgkmcnt(1)
	v_dual_add_f32 v1, v46, v1 :: v_dual_lshlrev_b32 v2, 2, v2
	s_waitcnt lgkmcnt(0)
	v_add_f32_e32 v0, v72, v0
	ds_bpermute_b32 v4, v2, v1
	s_waitcnt lgkmcnt(0)
	v_add_f32_e32 v1, v1, v4
	ds_bpermute_b32 v2, v2, v0
	;; [unrolled: 3-line block ×3, first 2 shown]
	ds_bpermute_b32 v4, v5, v0
	v_cndmask_b32_e32 v5, v3, v68, vcc_lo
	v_cmp_lt_i32_e32 vcc_lo, v69, v43
	s_delay_alu instid0(VALU_DEP_2)
	v_lshlrev_b32_e32 v5, 2, v5
	s_waitcnt lgkmcnt(0)
	v_dual_add_f32 v1, v1, v2 :: v_dual_add_f32 v0, v0, v4
	ds_bpermute_b32 v2, v5, v1
	ds_bpermute_b32 v4, v5, v0
	v_cndmask_b32_e32 v3, v3, v69, vcc_lo
	s_and_b32 vcc_lo, exec_lo, s3
	s_waitcnt lgkmcnt(0)
	v_dual_add_f32 v1, v1, v2 :: v_dual_add_f32 v2, v0, v4
	s_delay_alu instid0(VALU_DEP_2)
	v_lshlrev_b32_e32 v3, 2, v3
	ds_bpermute_b32 v0, v3, v1
	s_waitcnt lgkmcnt(0)
	v_add_f32_e32 v0, v1, v0
	ds_bpermute_b32 v3, v3, v2
	s_waitcnt lgkmcnt(0)
	v_add_f32_e32 v1, v2, v3
	s_cbranch_vccz .LBB66_23
; %bb.21:
	s_ashr_i32 s3, s2, 31
	v_mov_b32_e32 v2, 0
	s_lshl_b64 s[4:5], s[2:3], 2
	s_delay_alu instid0(SALU_CYCLE_1)
	s_add_u32 s4, s24, s4
	s_addc_u32 s5, s25, s5
	global_load_b64 v[2:3], v2, s[4:5]
	v_max_f32_e32 v4, v35, v35
	s_waitcnt vmcnt(0)
	v_dual_max_f32 v6, v36, v36 :: v_dual_max_f32 v5, v2, v2
	s_delay_alu instid0(VALU_DEP_1) | instskip(NEXT) | instid1(VALU_DEP_1)
	v_dual_max_f32 v7, v3, v3 :: v_dual_max_f32 v4, v4, v5
	v_dual_max_f32 v5, v6, v7 :: v_dual_sub_f32 v6, v35, v4
	s_delay_alu instid0(VALU_DEP_1) | instskip(SKIP_2) | instid1(VALU_DEP_4)
	v_sub_f32_e32 v7, v36, v5
	v_dual_sub_f32 v3, v3, v5 :: v_dual_sub_f32 v2, v2, v4
	v_mov_b32_e32 v36, v5
	v_cmp_ngt_f32_e32 vcc_lo, 0xc2ce8ed0, v6
	s_delay_alu instid0(VALU_DEP_4) | instskip(NEXT) | instid1(VALU_DEP_4)
	v_mul_f32_e32 v10, 0x3fb8aa3b, v7
	v_mul_f32_e32 v11, 0x3fb8aa3b, v3
	;; [unrolled: 1-line block ×3, first 2 shown]
	v_mov_b32_e32 v35, v4
	s_delay_alu instid0(VALU_DEP_4) | instskip(NEXT) | instid1(VALU_DEP_4)
	v_fma_f32 v18, 0x3fb8aa3b, v7, -v10
	v_fma_f32 v20, 0x3fb8aa3b, v3, -v11
	s_delay_alu instid0(VALU_DEP_4)
	v_rndne_f32_e32 v15, v9
	v_mul_f32_e32 v8, 0x3fb8aa3b, v6
	v_fma_f32 v14, 0x3fb8aa3b, v2, -v9
	v_rndne_f32_e32 v21, v11
	v_fmac_f32_e32 v20, 0x32a5705f, v3
	v_sub_f32_e32 v9, v9, v15
	v_fma_f32 v12, 0x3fb8aa3b, v6, -v8
	v_rndne_f32_e32 v13, v8
	v_dual_sub_f32 v11, v11, v21 :: v_dual_fmac_f32 v14, 0x32a5705f, v2
	v_rndne_f32_e32 v19, v10
	s_delay_alu instid0(VALU_DEP_2) | instskip(NEXT) | instid1(VALU_DEP_3)
	v_dual_fmac_f32 v12, 0x32a5705f, v6 :: v_dual_add_f32 v11, v11, v20
	v_dual_sub_f32 v8, v8, v13 :: v_dual_add_f32 v9, v9, v14
	s_delay_alu instid0(VALU_DEP_3) | instskip(SKIP_1) | instid1(VALU_DEP_4)
	v_sub_f32_e32 v10, v10, v19
	v_cvt_i32_f32_e32 v14, v19
	v_exp_f32_e32 v11, v11
	s_delay_alu instid0(VALU_DEP_3)
	v_add_f32_e32 v8, v8, v12
	v_exp_f32_e32 v9, v9
	v_cvt_i32_f32_e32 v12, v13
	v_cvt_i32_f32_e32 v13, v15
	;; [unrolled: 1-line block ×3, first 2 shown]
	v_exp_f32_e32 v8, v8
	s_delay_alu instid0(TRANS32_DEP_3) | instid1(VALU_DEP_1)
	v_ldexp_f32 v11, v11, v15
	s_waitcnt_depctr 0xfff
	v_ldexp_f32 v9, v9, v13
	v_ldexp_f32 v8, v8, v12
	s_delay_alu instid0(VALU_DEP_1) | instskip(SKIP_1) | instid1(VALU_DEP_4)
	v_cndmask_b32_e32 v8, 0, v8, vcc_lo
	v_cmp_ngt_f32_e32 vcc_lo, 0xc2ce8ed0, v2
	v_dual_fmac_f32 v18, 0x32a5705f, v7 :: v_dual_cndmask_b32 v9, 0, v9
	s_delay_alu instid0(VALU_DEP_1) | instskip(SKIP_1) | instid1(VALU_DEP_2)
	v_add_f32_e32 v10, v10, v18
	v_cmp_ngt_f32_e32 vcc_lo, 0xc2ce8ed0, v7
	v_exp_f32_e32 v10, v10
	s_waitcnt_depctr 0xfff
	v_ldexp_f32 v10, v10, v14
	s_delay_alu instid0(VALU_DEP_1)
	v_cndmask_b32_e32 v10, 0, v10, vcc_lo
	v_cmp_ngt_f32_e32 vcc_lo, 0xc2ce8ed0, v3
	v_cndmask_b32_e32 v11, 0, v11, vcc_lo
	v_cmp_nlt_f32_e32 vcc_lo, 0x42b17218, v6
	v_cndmask_b32_e32 v6, 0x7f800000, v8, vcc_lo
	v_cmp_nlt_f32_e32 vcc_lo, 0x42b17218, v2
	s_delay_alu instid0(VALU_DEP_2) | instskip(SKIP_2) | instid1(VALU_DEP_3)
	v_cvt_f16_f32_e32 v8, v6
	v_cndmask_b32_e32 v2, 0x7f800000, v9, vcc_lo
	v_cmp_nlt_f32_e32 vcc_lo, 0x42b17218, v7
	v_pk_mul_f16 v44, v8, v44 op_sel_hi:[0,1]
	s_delay_alu instid0(VALU_DEP_3)
	v_fmac_f32_e32 v2, v0, v6
	v_cndmask_b32_e32 v7, 0x7f800000, v10, vcc_lo
	v_cmp_nlt_f32_e32 vcc_lo, 0x42b17218, v3
	v_pk_mul_f16 v45, v8, v45 op_sel_hi:[0,1]
	v_pk_mul_f16 v48, v8, v48 op_sel_hi:[0,1]
	;; [unrolled: 1-line block ×3, first 2 shown]
	v_cvt_f16_f32_e32 v0, v7
	v_cndmask_b32_e32 v3, 0x7f800000, v11, vcc_lo
	s_delay_alu instid0(VALU_DEP_2) | instskip(SKIP_4) | instid1(VALU_DEP_1)
	v_pk_mul_f16 v39, v0, v39 op_sel_hi:[0,1]
	v_pk_mul_f16 v42, v0, v42 op_sel_hi:[0,1]
	;; [unrolled: 1-line block ×4, first 2 shown]
	v_dual_mov_b32 v0, v2 :: v_dual_fmac_f32 v3, v1, v7
	v_mov_b32_e32 v1, v3
	s_mov_b32 s3, exec_lo
	v_cmpx_gt_i32_e64 s6, v16
	s_cbranch_execnz .LBB66_24
.LBB66_22:
	s_nop 0
	s_sendmsg sendmsg(MSG_DEALLOC_VGPRS)
	s_endpgm
.LBB66_23:
	s_delay_alu instid0(VALU_DEP_1)
	v_dual_mov_b32 v3, v1 :: v_dual_mov_b32 v2, v0
	s_mov_b32 s3, exec_lo
	v_cmpx_gt_i32_e64 s6, v16
	s_cbranch_execz .LBB66_22
.LBB66_24:
	s_load_b32 s1, s[0:1], 0xd4
	v_mov_b32_e32 v6, 1.0
	s_waitcnt lgkmcnt(0)
	s_cmp_lg_u32 s1, 1
	s_cselect_b32 s4, -1, 0
	s_cmp_eq_u32 s1, 1
	s_cselect_b32 s3, -1, 0
	s_and_b32 vcc_lo, exec_lo, s4
	s_cbranch_vccnz .LBB66_26
; %bb.25:
	v_div_scale_f32 v4, null, v0, v0, 1.0
	s_delay_alu instid0(VALU_DEP_1) | instskip(SKIP_2) | instid1(VALU_DEP_1)
	v_rcp_f32_e32 v5, v4
	s_waitcnt_depctr 0xfff
	v_fma_f32 v6, -v4, v5, 1.0
	v_fmac_f32_e32 v5, v6, v5
	v_div_scale_f32 v6, vcc_lo, 1.0, v0, 1.0
	s_delay_alu instid0(VALU_DEP_1) | instskip(NEXT) | instid1(VALU_DEP_1)
	v_mul_f32_e32 v7, v6, v5
	v_fma_f32 v8, -v4, v7, v6
	s_delay_alu instid0(VALU_DEP_1) | instskip(NEXT) | instid1(VALU_DEP_1)
	v_fmac_f32_e32 v7, v8, v5
	v_fma_f32 v4, -v4, v7, v6
	s_delay_alu instid0(VALU_DEP_1) | instskip(NEXT) | instid1(VALU_DEP_1)
	v_div_fmas_f32 v4, v4, v5, v7
	v_div_fixup_f32 v6, v4, v0, 1.0
.LBB66_26:
	v_mad_u64_u32 v[4:5], null, s12, s6, v[16:17]
	v_cmp_eq_u32_e32 vcc_lo, 0, v17
	v_lshrrev_b32_e32 v0, 16, v45
	v_lshrrev_b32_e32 v10, 16, v44
	v_cvt_f32_f16_e32 v11, v44
	v_lshrrev_b32_e32 v12, 16, v50
	v_lshrrev_b32_e32 v14, 16, v48
	v_mad_u64_u32 v[7:8], null, v4, s7, s[2:3]
	v_cvt_f32_f16_e32 v8, v45
	v_mov_b32_e32 v16, 0
	v_cvt_f32_f16_e32 v17, v48
	v_cvt_f32_f16_e32 v0, v0
	;; [unrolled: 1-line block ×3, first 2 shown]
	v_mul_f32_e32 v9, v6, v8
	v_mad_u64_u32 v[4:5], null, s1, v7, s[14:15]
	v_cvt_f32_f16_e32 v5, v50
	v_cvt_f32_f16_e32 v8, v10
	v_mul_f32_e32 v7, v6, v11
	v_mul_f32_e32 v11, v6, v17
	;; [unrolled: 1-line block ×4, first 2 shown]
	v_lshl_add_u32 v15, v4, 8, v37
	v_cvt_f32_f16_e32 v5, v14
	v_mul_f32_e32 v8, v6, v8
	v_mul_f32_e32 v14, v6, v12
	s_delay_alu instid0(VALU_DEP_4) | instskip(NEXT) | instid1(VALU_DEP_4)
	v_lshlrev_b64 v[17:18], 2, v[15:16]
	v_dual_mul_f32 v12, v6, v5 :: v_dual_add_nc_u32 v15, 0x80, v15
	s_delay_alu instid0(VALU_DEP_1) | instskip(NEXT) | instid1(VALU_DEP_3)
	v_lshlrev_b64 v[5:6], 2, v[15:16]
	v_add_co_u32 v15, s0, s28, v17
	s_delay_alu instid0(VALU_DEP_1) | instskip(NEXT) | instid1(VALU_DEP_3)
	v_add_co_ci_u32_e64 v16, s0, s29, v18, s0
	v_add_co_u32 v5, s0, s28, v5
	s_delay_alu instid0(VALU_DEP_1)
	v_add_co_ci_u32_e64 v6, s0, s29, v6, s0
	s_and_b32 s0, vcc_lo, s4
	s_clause 0x1
	global_store_b128 v[15:16], v[7:10], off
	global_store_b128 v[5:6], v[11:14], off
	s_and_saveexec_b32 s2, s0
	s_cbranch_execz .LBB66_28
; %bb.27:
	v_ashrrev_i32_e32 v5, 31, v4
	v_dual_mov_b32 v7, v35 :: v_dual_mov_b32 v8, v2
	s_delay_alu instid0(VALU_DEP_2) | instskip(NEXT) | instid1(VALU_DEP_1)
	v_lshlrev_b64 v[5:6], 3, v[4:5]
	v_add_co_u32 v5, vcc_lo, s30, v5
	s_delay_alu instid0(VALU_DEP_2)
	v_add_co_ci_u32_e32 v6, vcc_lo, s31, v6, vcc_lo
	global_store_b64 v[5:6], v[7:8], off
.LBB66_28:
	s_or_b32 exec_lo, exec_lo, s2
	v_mov_b32_e32 v2, 1.0
	s_and_not1_b32 vcc_lo, exec_lo, s3
	s_cbranch_vccnz .LBB66_30
; %bb.29:
	v_div_scale_f32 v0, null, v1, v1, 1.0
	s_delay_alu instid0(VALU_DEP_1) | instskip(SKIP_2) | instid1(VALU_DEP_1)
	v_rcp_f32_e32 v2, v0
	s_waitcnt_depctr 0xfff
	v_fma_f32 v5, -v0, v2, 1.0
	v_fmac_f32_e32 v2, v5, v2
	v_div_scale_f32 v5, vcc_lo, 1.0, v1, 1.0
	s_delay_alu instid0(VALU_DEP_1) | instskip(NEXT) | instid1(VALU_DEP_1)
	v_mul_f32_e32 v6, v5, v2
	v_fma_f32 v7, -v0, v6, v5
	s_delay_alu instid0(VALU_DEP_1) | instskip(NEXT) | instid1(VALU_DEP_1)
	v_fmac_f32_e32 v6, v7, v2
	v_fma_f32 v0, -v0, v6, v5
	s_delay_alu instid0(VALU_DEP_1) | instskip(NEXT) | instid1(VALU_DEP_1)
	v_div_fmas_f32 v0, v0, v2, v6
	v_div_fixup_f32 v2, v0, v1, 1.0
.LBB66_30:
	v_lshrrev_b32_e32 v1, 16, v42
	v_dual_mov_b32 v9, 0 :: v_dual_add_nc_u32 v0, s1, v4
	v_lshrrev_b32_e32 v4, 16, v39
	v_lshrrev_b32_e32 v14, 16, v41
	s_delay_alu instid0(VALU_DEP_4) | instskip(NEXT) | instid1(VALU_DEP_4)
	v_cvt_f32_f16_e32 v1, v1
	v_lshl_add_u32 v8, v0, 8, v37
	v_cvt_f32_f16_e32 v5, v42
	v_cvt_f32_f16_e32 v4, v4
	v_cvt_f32_f16_e32 v12, v39
	v_mul_f32_e32 v7, v2, v1
	v_lshlrev_b64 v[10:11], 2, v[8:9]
	v_add_nc_u32_e32 v8, 0x80, v8
	v_lshrrev_b32_e32 v1, 16, v40
	v_cvt_f32_f16_e32 v16, v14
	v_mul_f32_e32 v6, v2, v5
	v_mul_f32_e32 v5, v2, v4
	v_lshlrev_b64 v[14:15], 2, v[8:9]
	v_cvt_f32_f16_e32 v1, v1
	v_mul_f32_e32 v4, v2, v12
	v_add_co_u32 v12, vcc_lo, s28, v10
	v_cvt_f32_f16_e32 v10, v40
	v_cvt_f32_f16_e32 v17, v41
	v_add_co_ci_u32_e32 v13, vcc_lo, s29, v11, vcc_lo
	v_mul_f32_e32 v11, v2, v1
	v_add_co_u32 v1, vcc_lo, s28, v14
	v_mul_f32_e32 v10, v2, v10
	v_mul_f32_e32 v9, v2, v16
	;; [unrolled: 1-line block ×3, first 2 shown]
	v_add_co_ci_u32_e32 v2, vcc_lo, s29, v15, vcc_lo
	s_clause 0x1
	global_store_b128 v[12:13], v[4:7], off
	global_store_b128 v[1:2], v[8:11], off
	s_and_b32 exec_lo, exec_lo, s0
	s_cbranch_execz .LBB66_22
; %bb.31:
	v_ashrrev_i32_e32 v1, 31, v0
	v_mov_b32_e32 v2, v36
	s_delay_alu instid0(VALU_DEP_2) | instskip(NEXT) | instid1(VALU_DEP_1)
	v_lshlrev_b64 v[0:1], 3, v[0:1]
	v_add_co_u32 v0, vcc_lo, s30, v0
	s_delay_alu instid0(VALU_DEP_2)
	v_add_co_ci_u32_e32 v1, vcc_lo, s31, v1, vcc_lo
	global_store_b64 v[0:1], v[2:3], off
	s_nop 0
	s_sendmsg sendmsg(MSG_DEALLOC_VGPRS)
	s_endpgm
	.section	.rodata,"a",@progbits
	.p2align	6, 0x0
	.amdhsa_kernel _ZL15flash_attn_tileILi256ELi256ELi8ELi2ELb1EEvPKcS1_S1_S1_S1_PKiPfP15HIP_vector_typeIfLj2EEffffjfiS5_IjLj3EEiiiiiiiiiiiliiliiiiil
		.amdhsa_group_segment_fixed_size 26112
		.amdhsa_private_segment_fixed_size 0
		.amdhsa_kernarg_size 464
		.amdhsa_user_sgpr_count 13
		.amdhsa_user_sgpr_dispatch_ptr 0
		.amdhsa_user_sgpr_queue_ptr 0
		.amdhsa_user_sgpr_kernarg_segment_ptr 1
		.amdhsa_user_sgpr_dispatch_id 0
		.amdhsa_user_sgpr_private_segment_size 0
		.amdhsa_wavefront_size32 1
		.amdhsa_uses_dynamic_stack 0
		.amdhsa_enable_private_segment 0
		.amdhsa_system_sgpr_workgroup_id_x 1
		.amdhsa_system_sgpr_workgroup_id_y 1
		.amdhsa_system_sgpr_workgroup_id_z 1
		.amdhsa_system_sgpr_workgroup_info 0
		.amdhsa_system_vgpr_workitem_id 1
		.amdhsa_next_free_vgpr 191
		.amdhsa_next_free_sgpr 40
		.amdhsa_reserve_vcc 1
		.amdhsa_float_round_mode_32 0
		.amdhsa_float_round_mode_16_64 0
		.amdhsa_float_denorm_mode_32 3
		.amdhsa_float_denorm_mode_16_64 3
		.amdhsa_dx10_clamp 1
		.amdhsa_ieee_mode 1
		.amdhsa_fp16_overflow 0
		.amdhsa_workgroup_processor_mode 1
		.amdhsa_memory_ordered 1
		.amdhsa_forward_progress 0
		.amdhsa_shared_vgpr_count 0
		.amdhsa_exception_fp_ieee_invalid_op 0
		.amdhsa_exception_fp_denorm_src 0
		.amdhsa_exception_fp_ieee_div_zero 0
		.amdhsa_exception_fp_ieee_overflow 0
		.amdhsa_exception_fp_ieee_underflow 0
		.amdhsa_exception_fp_ieee_inexact 0
		.amdhsa_exception_int_div_zero 0
	.end_amdhsa_kernel
	.section	.text._ZL15flash_attn_tileILi256ELi256ELi8ELi2ELb1EEvPKcS1_S1_S1_S1_PKiPfP15HIP_vector_typeIfLj2EEffffjfiS5_IjLj3EEiiiiiiiiiiiliiliiiiil,"axG",@progbits,_ZL15flash_attn_tileILi256ELi256ELi8ELi2ELb1EEvPKcS1_S1_S1_S1_PKiPfP15HIP_vector_typeIfLj2EEffffjfiS5_IjLj3EEiiiiiiiiiiiliiliiiiil,comdat
.Lfunc_end66:
	.size	_ZL15flash_attn_tileILi256ELi256ELi8ELi2ELb1EEvPKcS1_S1_S1_S1_PKiPfP15HIP_vector_typeIfLj2EEffffjfiS5_IjLj3EEiiiiiiiiiiiliiliiiiil, .Lfunc_end66-_ZL15flash_attn_tileILi256ELi256ELi8ELi2ELb1EEvPKcS1_S1_S1_S1_PKiPfP15HIP_vector_typeIfLj2EEffffjfiS5_IjLj3EEiiiiiiiiiiiliiliiiiil
                                        ; -- End function
	.section	.AMDGPU.csdata,"",@progbits
; Kernel info:
; codeLenInByte = 14100
; NumSgprs: 42
; NumVgprs: 191
; ScratchSize: 0
; MemoryBound: 0
; FloatMode: 240
; IeeeMode: 1
; LDSByteSize: 26112 bytes/workgroup (compile time only)
; SGPRBlocks: 5
; VGPRBlocks: 23
; NumSGPRsForWavesPerEU: 42
; NumVGPRsForWavesPerEU: 191
; Occupancy: 8
; WaveLimiterHint : 1
; COMPUTE_PGM_RSRC2:SCRATCH_EN: 0
; COMPUTE_PGM_RSRC2:USER_SGPR: 13
; COMPUTE_PGM_RSRC2:TRAP_HANDLER: 0
; COMPUTE_PGM_RSRC2:TGID_X_EN: 1
; COMPUTE_PGM_RSRC2:TGID_Y_EN: 1
; COMPUTE_PGM_RSRC2:TGID_Z_EN: 1
; COMPUTE_PGM_RSRC2:TIDIG_COMP_CNT: 1
	.section	.text._ZL15flash_attn_tileILi256ELi256ELi4ELi2ELb1EEvPKcS1_S1_S1_S1_PKiPfP15HIP_vector_typeIfLj2EEffffjfiS5_IjLj3EEiiiiiiiiiiiliiliiiiil,"axG",@progbits,_ZL15flash_attn_tileILi256ELi256ELi4ELi2ELb1EEvPKcS1_S1_S1_S1_PKiPfP15HIP_vector_typeIfLj2EEffffjfiS5_IjLj3EEiiiiiiiiiiiliiliiiiil,comdat
	.globl	_ZL15flash_attn_tileILi256ELi256ELi4ELi2ELb1EEvPKcS1_S1_S1_S1_PKiPfP15HIP_vector_typeIfLj2EEffffjfiS5_IjLj3EEiiiiiiiiiiiliiliiiiil ; -- Begin function _ZL15flash_attn_tileILi256ELi256ELi4ELi2ELb1EEvPKcS1_S1_S1_S1_PKiPfP15HIP_vector_typeIfLj2EEffffjfiS5_IjLj3EEiiiiiiiiiiiliiliiiiil
	.p2align	8
	.type	_ZL15flash_attn_tileILi256ELi256ELi4ELi2ELb1EEvPKcS1_S1_S1_S1_PKiPfP15HIP_vector_typeIfLj2EEffffjfiS5_IjLj3EEiiiiiiiiiiiliiliiiiil,@function
_ZL15flash_attn_tileILi256ELi256ELi4ELi2ELb1EEvPKcS1_S1_S1_S1_PKiPfP15HIP_vector_typeIfLj2EEffffjfiS5_IjLj3EEiiiiiiiiiiiliiliiiiil: ; @_ZL15flash_attn_tileILi256ELi256ELi4ELi2ELb1EEvPKcS1_S1_S1_S1_PKiPfP15HIP_vector_typeIfLj2EEffffjfiS5_IjLj3EEiiiiiiiiiiiliiliiiiil
; %bb.0:
	s_clause 0x1
	s_load_b128 s[4:7], s[0:1], 0x5c
	s_load_b64 s[34:35], s[0:1], 0x80
	s_mov_b64 s[36:37], 0
	s_waitcnt lgkmcnt(0)
	s_lshr_b32 s2, s7, 31
	s_delay_alu instid0(SALU_CYCLE_1) | instskip(NEXT) | instid1(SALU_CYCLE_1)
	s_add_i32 s2, s7, s2
	s_ashr_i32 s2, s2, 1
	s_delay_alu instid0(SALU_CYCLE_1) | instskip(SKIP_1) | instid1(VALU_DEP_1)
	v_cvt_f32_u32_e32 v1, s2
	s_sub_i32 s8, 0, s2
	v_rcp_iflag_f32_e32 v1, v1
	s_waitcnt_depctr 0xfff
	v_mul_f32_e32 v1, 0x4f7ffffe, v1
	s_delay_alu instid0(VALU_DEP_1) | instskip(NEXT) | instid1(VALU_DEP_1)
	v_cvt_u32_f32_e32 v1, v1
	v_readfirstlane_b32 s3, v1
	s_delay_alu instid0(VALU_DEP_1) | instskip(NEXT) | instid1(SALU_CYCLE_1)
	s_mul_i32 s8, s8, s3
	s_mul_hi_u32 s8, s3, s8
	s_delay_alu instid0(SALU_CYCLE_1) | instskip(NEXT) | instid1(SALU_CYCLE_1)
	s_add_i32 s3, s3, s8
	s_mul_hi_u32 s3, s15, s3
	s_delay_alu instid0(SALU_CYCLE_1) | instskip(SKIP_2) | instid1(SALU_CYCLE_1)
	s_mul_i32 s8, s3, s2
	s_add_i32 s9, s3, 1
	s_sub_i32 s8, s15, s8
	s_sub_i32 s10, s8, s2
	s_cmp_ge_u32 s8, s2
	s_cselect_b32 s3, s9, s3
	s_cselect_b32 s8, s10, s8
	s_add_i32 s9, s3, 1
	s_cmp_ge_u32 s8, s2
	s_cselect_b32 s33, s9, s3
	s_abs_i32 s2, s35
	s_abs_i32 s11, s7
	v_cvt_f32_u32_e32 v1, s2
	s_sub_i32 s8, 0, s2
	s_lshl_b32 s9, s15, 1
	s_mul_i32 s10, s33, s7
	s_delay_alu instid0(VALU_DEP_1) | instskip(SKIP_3) | instid1(VALU_DEP_1)
	v_rcp_iflag_f32_e32 v1, v1
	s_sub_i32 s12, s9, s10
	s_waitcnt_depctr 0xfff
	v_mul_f32_e32 v1, 0x4f7ffffe, v1
	v_cvt_u32_f32_e32 v1, v1
	s_delay_alu instid0(VALU_DEP_1) | instskip(NEXT) | instid1(VALU_DEP_1)
	v_readfirstlane_b32 s3, v1
	s_mul_i32 s8, s8, s3
	s_delay_alu instid0(SALU_CYCLE_1) | instskip(NEXT) | instid1(SALU_CYCLE_1)
	s_mul_hi_u32 s8, s3, s8
	s_add_i32 s3, s3, s8
	s_xor_b32 s8, s7, s35
	s_mul_hi_u32 s3, s11, s3
	s_ashr_i32 s8, s8, 31
	s_mul_i32 s9, s3, s2
	s_add_i32 s10, s3, 1
	s_sub_i32 s9, s11, s9
	s_delay_alu instid0(SALU_CYCLE_1)
	s_sub_i32 s11, s9, s2
	s_cmp_ge_u32 s9, s2
	s_cselect_b32 s3, s10, s3
	s_cselect_b32 s9, s11, s9
	s_add_i32 s10, s3, 1
	s_cmp_ge_u32 s9, s2
	s_cselect_b32 s2, s10, s3
	s_delay_alu instid0(SALU_CYCLE_1) | instskip(NEXT) | instid1(SALU_CYCLE_1)
	s_xor_b32 s2, s2, s8
	s_sub_i32 s15, s2, s8
	s_clause 0x1
	s_load_b512 s[16:31], s[0:1], 0x0
	s_load_b64 s[2:3], s[0:1], 0xb8
	s_abs_i32 s35, s15
	s_delay_alu instid0(SALU_CYCLE_1) | instskip(NEXT) | instid1(VALU_DEP_1)
	v_cvt_f32_u32_e32 v1, s35
	v_rcp_iflag_f32_e32 v1, v1
	s_waitcnt_depctr 0xfff
	v_mul_f32_e32 v1, 0x4f7ffffe, v1
	s_waitcnt lgkmcnt(0)
	s_cmp_eq_u64 s[22:23], 0
	s_delay_alu instid0(VALU_DEP_1) | instskip(NEXT) | instid1(VALU_DEP_1)
	v_cvt_u32_f32_e32 v1, v1
	v_readfirstlane_b32 s38, v1
	s_cbranch_scc1 .LBB67_2
; %bb.1:
	s_abs_i32 s2, s2
	s_abs_i32 s10, s33
	v_cvt_f32_u32_e32 v1, s2
	s_sub_i32 s9, 0, s2
	s_delay_alu instid0(VALU_DEP_1) | instskip(SKIP_2) | instid1(VALU_DEP_1)
	v_rcp_iflag_f32_e32 v1, v1
	s_waitcnt_depctr 0xfff
	v_mul_f32_e32 v1, 0x4f7ffffe, v1
	v_cvt_u32_f32_e32 v1, v1
	s_delay_alu instid0(VALU_DEP_1) | instskip(NEXT) | instid1(VALU_DEP_1)
	v_readfirstlane_b32 s8, v1
	s_mul_i32 s9, s9, s8
	s_delay_alu instid0(SALU_CYCLE_1) | instskip(NEXT) | instid1(SALU_CYCLE_1)
	s_mul_hi_u32 s9, s8, s9
	s_add_i32 s11, s8, s9
	s_load_b64 s[8:9], s[0:1], 0xc8
	s_mul_hi_u32 s11, s10, s11
	s_delay_alu instid0(SALU_CYCLE_1) | instskip(NEXT) | instid1(SALU_CYCLE_1)
	s_mul_i32 s11, s11, s2
	s_sub_i32 s10, s10, s11
	s_ashr_i32 s11, s33, 31
	s_sub_i32 s36, s10, s2
	s_cmp_ge_u32 s10, s2
	s_cselect_b32 s10, s36, s10
	s_delay_alu instid0(SALU_CYCLE_1) | instskip(SKIP_2) | instid1(SALU_CYCLE_1)
	s_sub_i32 s36, s10, s2
	s_cmp_ge_u32 s10, s2
	s_cselect_b32 s2, s36, s10
	s_xor_b32 s2, s2, s11
	s_delay_alu instid0(SALU_CYCLE_1)
	s_sub_i32 s2, s2, s11
	s_waitcnt lgkmcnt(0)
	s_mul_i32 s9, s2, s9
	s_mul_hi_u32 s10, s2, s8
	s_ashr_i32 s11, s2, 31
	s_add_i32 s9, s10, s9
	s_mul_i32 s11, s11, s8
	s_mul_i32 s2, s2, s8
	s_add_i32 s9, s9, s11
	s_add_u32 s36, s22, s2
	s_addc_u32 s37, s23, s9
.LBB67_2:
	v_bfe_u32 v2, v0, 10, 10
	s_load_b128 s[8:11], s[0:1], 0x70
	v_and_b32_e32 v0, 0x3ff, v0
	s_delay_alu instid0(VALU_DEP_2) | instskip(NEXT) | instid1(VALU_DEP_1)
	v_lshl_add_u32 v1, s13, 2, v2
	v_mul_hi_u32 v3, s4, v1
	s_delay_alu instid0(VALU_DEP_1) | instskip(SKIP_3) | instid1(VALU_DEP_1)
	v_add_nc_u32_e32 v3, v1, v3
	s_waitcnt lgkmcnt(0)
	s_mul_i32 s2, s33, s10
	s_mul_i32 s4, s12, s9
	v_lshrrev_b32_e32 v3, s5, v3
	s_ashr_i32 s5, s2, 31
	s_add_u32 s2, s16, s2
	s_addc_u32 s5, s17, s5
	s_ashr_i32 s10, s4, 31
	v_mul_lo_u32 v3, v3, s6
	s_add_u32 s2, s2, s4
	s_addc_u32 s4, s5, s10
	s_ashr_i32 s5, s8, 31
	s_delay_alu instid0(SALU_CYCLE_1) | instskip(SKIP_1) | instid1(VALU_DEP_2)
	v_alignbit_b32 v7, s5, s8, 2
	s_lshr_b32 s5, s5, 2
	v_sub_nc_u32_e32 v4, v1, v3
	s_delay_alu instid0(VALU_DEP_1) | instskip(NEXT) | instid1(VALU_DEP_1)
	v_mad_u64_u32 v[5:6], null, v7, v4, 0
	v_mov_b32_e32 v3, v6
	s_delay_alu instid0(VALU_DEP_1) | instskip(SKIP_2) | instid1(VALU_DEP_2)
	v_mad_u64_u32 v[6:7], null, s5, v4, v[3:4]
	v_lshlrev_b32_e32 v3, 4, v0
	s_mov_b32 s5, 0
	v_lshlrev_b64 v[5:6], 2, v[5:6]
	s_delay_alu instid0(VALU_DEP_1) | instskip(NEXT) | instid1(VALU_DEP_2)
	v_add_co_u32 v5, vcc_lo, s2, v5
	v_add_co_ci_u32_e32 v6, vcc_lo, s4, v6, vcc_lo
	s_and_b32 s4, s9, -4
	s_delay_alu instid0(VALU_DEP_2) | instskip(NEXT) | instid1(VALU_DEP_2)
	v_add_co_u32 v13, vcc_lo, v5, v3
	v_add_co_ci_u32_e32 v14, vcc_lo, 0, v6, vcc_lo
	s_ashr_i32 s2, s9, 31
	s_delay_alu instid0(VALU_DEP_2) | instskip(NEXT) | instid1(VALU_DEP_2)
	v_add_co_u32 v17, vcc_lo, v13, s4
	v_add_co_ci_u32_e32 v18, vcc_lo, s2, v14, vcc_lo
	s_clause 0x1
	global_load_b128 v[5:8], v[13:14], off
	global_load_b128 v[9:12], v[13:14], off offset:512
	s_load_b32 s2, s[0:1], 0x40
	v_lshlrev_b32_e32 v3, 3, v0
	s_clause 0x1
	global_load_b128 v[13:16], v[17:18], off
	global_load_b128 v[17:20], v[17:18], off offset:512
	s_cmp_eq_u64 s[26:27], 0
	v_lshl_or_b32 v3, v2, 10, v3
	s_delay_alu instid0(VALU_DEP_1)
	v_add_nc_u32_e32 v3, 0x4000, v3
	s_waitcnt vmcnt(3) lgkmcnt(0)
	v_fma_mixlo_f16 v22, v7, s2, 0
	v_fma_mixlo_f16 v21, v5, s2, 0
	s_waitcnt vmcnt(2)
	v_fma_mixlo_f16 v24, v11, s2, 0
	v_fma_mixlo_f16 v23, v9, s2, 0
	s_waitcnt vmcnt(1)
	v_fma_mixlo_f16 v5, v13, s2, 0
	v_fma_mixhi_f16 v22, v8, s2, 0
	v_fma_mixhi_f16 v21, v6, s2, 0
	v_fma_mixlo_f16 v6, v15, s2, 0
	s_waitcnt vmcnt(0)
	v_fma_mixlo_f16 v8, v19, s2, 0
	v_fma_mixlo_f16 v7, v17, s2, 0
	v_fma_mixhi_f16 v24, v12, s2, 0
	v_fma_mixhi_f16 v23, v10, s2, 0
	;; [unrolled: 1-line block ×6, first 2 shown]
	ds_store_2addr_b64 v3, v[21:22], v[23:24] offset0:64 offset1:96
	ds_store_2addr_b64 v3, v[5:6], v[7:8] offset0:128 offset1:160
	s_waitcnt lgkmcnt(0)
	s_barrier
	buffer_gl0_inv
	s_cbranch_scc1 .LBB67_4
; %bb.3:
	s_load_b32 s2, s[0:1], 0xd0
	s_waitcnt lgkmcnt(0)
	s_mul_i32 s2, s2, s33
	s_delay_alu instid0(SALU_CYCLE_1) | instskip(NEXT) | instid1(SALU_CYCLE_1)
	s_add_i32 s4, s2, s13
	s_lshl_b64 s[4:5], s[4:5], 2
	s_delay_alu instid0(SALU_CYCLE_1)
	s_add_u32 s4, s26, s4
	s_addc_u32 s5, s27, s5
	s_load_b32 s34, s[4:5], 0x0
.LBB67_4:
	v_lshlrev_b32_e32 v37, 2, v0
	v_mbcnt_lo_u32_b32 v38, -1, 0
	s_lshl_b32 s5, s14, 5
	s_waitcnt lgkmcnt(0)
	s_cmp_lt_i32 s5, s34
	s_cbranch_scc1 .LBB67_6
; %bb.5:
	v_mbcnt_lo_u32_b32 v3, -1, 0
	v_mov_b32_e32 v39, 32
	s_mov_b32 s2, 0
	s_mov_b32 s4, 0xfeffffff
	s_delay_alu instid0(VALU_DEP_2)
	v_xor_b32_e32 v78, 16, v3
	v_xor_b32_e32 v73, 8, v3
	;; [unrolled: 1-line block ×5, first 2 shown]
	s_branch .LBB67_7
.LBB67_6:
	s_mov_b32 s2, -1
                                        ; implicit-def: $sgpr4
                                        ; implicit-def: $vgpr3
                                        ; implicit-def: $vgpr39
                                        ; implicit-def: $vgpr78
                                        ; implicit-def: $vgpr73
                                        ; implicit-def: $vgpr75
                                        ; implicit-def: $vgpr76
                                        ; implicit-def: $vgpr77
.LBB67_7:
	s_delay_alu instid0(SALU_CYCLE_1) | instskip(SKIP_2) | instid1(VALU_DEP_3)
	v_cndmask_b32_e64 v5, 0, 1, s2
	v_dual_mov_b32 v36, s4 :: v_dual_mov_b32 v79, s2
	v_dual_mov_b32 v68, s2 :: v_dual_mov_b32 v35, s4
	v_cmp_ne_u32_e32 vcc_lo, 1, v5
	v_dual_mov_b32 v42, s2 :: v_dual_mov_b32 v69, s2
	v_dual_mov_b32 v70, s2 :: v_dual_mov_b32 v71, s2
	;; [unrolled: 1-line block ×4, first 2 shown]
	s_cbranch_vccnz .LBB67_20
; %bb.8:
	s_clause 0x1
	s_load_b128 s[8:11], s[0:1], 0x98
	s_load_b64 s[22:23], s[0:1], 0x8c
	s_sub_i32 s2, 0, s35
	s_abs_i32 s4, s12
	s_mul_i32 s2, s2, s38
	s_ashr_i32 s16, s12, 31
	s_mul_hi_u32 s2, s38, s2
	s_ashr_i32 s17, s15, 31
	s_add_i32 s38, s38, s2
	s_ashr_i32 s26, s3, 1
	s_mul_hi_u32 s27, s4, s38
	s_ashr_i32 s38, s33, 31
	s_load_b64 s[2:3], s[0:1], 0xa8
	s_mul_i32 s39, s27, s35
	v_lshlrev_b32_e32 v40, 2, v37
	v_dual_mov_b32 v72, 0xfeffffff :: v_dual_lshlrev_b32 v39, 1, v0
	v_lshl_add_u32 v45, v2, 7, 0x5200
	v_lshl_add_u32 v43, v2, 10, 0x4200
	v_mul_u32_u24_e32 v41, 0x210, v0
	s_waitcnt lgkmcnt(0)
	s_mul_i32 s9, s33, s9
	s_mul_hi_u32 s40, s33, s8
	s_mul_i32 s41, s38, s8
	s_add_i32 s9, s40, s9
	s_mul_i32 s8, s33, s8
	s_ashr_i32 s13, s10, 2
	s_ashr_i32 s15, s22, 2
	s_add_i32 s9, s9, s41
	s_add_u32 s8, s18, s8
	s_addc_u32 s9, s19, s9
	s_sub_i32 s4, s4, s39
	s_xor_b32 s16, s16, s17
	s_add_i32 s17, s27, 1
	s_sub_i32 s18, s4, s35
	s_cmp_ge_u32 s4, s35
	s_load_b32 s19, s[0:1], 0x54
	s_cselect_b32 s17, s17, s27
	s_cselect_b32 s4, s18, s4
	s_add_i32 s18, s17, 1
	s_cmp_ge_u32 s4, s35
	s_mul_i32 s3, s33, s3
	s_cselect_b32 s4, s18, s17
	s_mul_hi_u32 s18, s33, s2
	s_xor_b32 s4, s4, s16
	s_mul_i32 s38, s38, s2
	s_sub_i32 s4, s4, s16
	v_mul_lo_u32 v5, s15, v2
	s_mul_i32 s16, s4, s23
	v_mul_lo_u32 v19, s13, v2
	s_ashr_i32 s17, s16, 31
	s_add_u32 s16, s8, s16
	s_addc_u32 s17, s9, s17
	s_add_i32 s3, s18, s3
	s_mul_i32 s2, s33, s2
	s_mul_i32 s4, s4, s11
	s_add_i32 s3, s3, s38
	s_add_u32 s2, s20, s2
	s_addc_u32 s3, s21, s3
	s_ashr_i32 s8, s4, 31
	s_add_u32 s11, s2, s4
	s_addc_u32 s18, s3, s8
	s_and_b32 s2, s22, -4
	s_and_b32 s3, s10, -4
	v_dual_mov_b32 v64, 0 :: v_dual_add_nc_u32 v7, s2, v5
	v_dual_mov_b32 v74, 0xfeffffff :: v_dual_add_nc_u32 v21, s3, v19
	s_delay_alu instid0(VALU_DEP_2) | instskip(NEXT) | instid1(VALU_DEP_2)
	v_dual_mov_b32 v42, 0 :: v_dual_add_nc_u32 v9, s2, v7
	v_dual_mov_b32 v66, 0 :: v_dual_add_nc_u32 v23, s3, v21
	v_mov_b32_e32 v68, 0
	v_ashrrev_i32_e32 v6, 31, v5
	s_delay_alu instid0(VALU_DEP_4)
	v_add_nc_u32_e32 v11, s2, v9
	v_ashrrev_i32_e32 v8, 31, v7
	v_add_nc_u32_e32 v25, s3, v23
	v_ashrrev_i32_e32 v10, 31, v9
	v_ashrrev_i32_e32 v20, 31, v19
	v_add_nc_u32_e32 v13, s2, v11
	v_ashrrev_i32_e32 v12, 31, v11
	v_add_nc_u32_e32 v29, s3, v25
	v_ashrrev_i32_e32 v22, 31, v21
	v_ashrrev_i32_e32 v24, 31, v23
	v_add_nc_u32_e32 v15, s2, v13
	v_ashrrev_i32_e32 v14, 31, v13
	v_add_nc_u32_e32 v31, s3, v29
	v_ashrrev_i32_e32 v26, 31, v25
	v_ashrrev_i32_e32 v30, 31, v29
	v_add_nc_u32_e32 v17, s2, v15
	v_ashrrev_i32_e32 v16, 31, v15
	v_add_nc_u32_e32 v33, s3, v31
	v_ashrrev_i32_e32 v32, 31, v31
	v_lshl_add_u32 v54, v39, 1, v45
	v_add_nc_u32_e32 v27, s2, v17
	v_ashrrev_i32_e32 v18, 31, v17
	v_add_nc_u32_e32 v35, s3, v33
	v_ashrrev_i32_e32 v34, 31, v33
	v_lshlrev_b32_e32 v62, 2, v39
	v_ashrrev_i32_e32 v28, 31, v27
	v_mov_b32_e32 v39, 32
	v_ashrrev_i32_e32 v36, 31, v35
	v_mad_u32_u24 v44, 0x210, v2, v40
	v_lshl_add_u32 v46, v2, 9, v40
	v_mad_u64_u32 v[2:3], null, v4, s26, v[0:1]
	v_lshlrev_b64 v[3:4], 2, v[5:6]
	v_lshlrev_b64 v[5:6], 2, v[7:8]
	;; [unrolled: 1-line block ×16, first 2 shown]
	v_dual_mov_b32 v70, 0 :: v_dual_add_nc_u32 v47, 0x840, v44
	v_dual_mov_b32 v65, 0 :: v_dual_add_nc_u32 v48, 0x1080, v44
	v_add_nc_u32_e32 v49, 0x18c0, v44
	v_dual_mov_b32 v67, 0 :: v_dual_add_nc_u32 v50, 0x2100, v44
	v_add_nc_u32_e32 v51, 0x2940, v44
	;; [unrolled: 2-line block ×3, first 2 shown]
	v_add_nc_u32_e32 v55, 0x800, v46
	v_dual_mov_b32 v69, 0 :: v_dual_add_nc_u32 v56, 0x1000, v46
	v_add_nc_u32_e32 v57, 0x1800, v46
	v_dual_mov_b32 v63, 0 :: v_dual_add_nc_u32 v58, 0x2000, v46
	v_add_nc_u32_e32 v59, 0x2800, v46
	v_add_nc_u32_e32 v60, 0x3000, v46
	;; [unrolled: 1-line block ×3, first 2 shown]
	s_add_u32 s8, s0, 0xd0
	s_addc_u32 s9, s1, 0
	s_mov_b32 s10, 0xbbbac73d
.LBB67_9:                               ; =>This Inner Loop Header: Depth=1
	s_mul_hi_i32 s3, s5, s15
	s_mul_i32 s2, s5, s15
	s_delay_alu instid0(SALU_CYCLE_1) | instskip(NEXT) | instid1(SALU_CYCLE_1)
	s_lshl_b64 s[2:3], s[2:3], 2
	s_add_u32 s2, s16, s2
	s_addc_u32 s3, s17, s3
	v_add_co_u32 v35, vcc_lo, s2, v3
	v_add_co_ci_u32_e32 v36, vcc_lo, s3, v4, vcc_lo
	v_add_co_u32 v73, vcc_lo, s2, v5
	v_add_co_ci_u32_e32 v75, vcc_lo, s3, v6, vcc_lo
	s_delay_alu instid0(VALU_DEP_4) | instskip(NEXT) | instid1(VALU_DEP_4)
	v_add_co_u32 v35, vcc_lo, v35, v40
	v_add_co_ci_u32_e32 v36, vcc_lo, 0, v36, vcc_lo
	s_delay_alu instid0(VALU_DEP_4) | instskip(NEXT) | instid1(VALU_DEP_4)
	v_add_co_u32 v79, vcc_lo, v73, v40
	v_add_co_ci_u32_e32 v80, vcc_lo, 0, v75, vcc_lo
	s_clause 0x1
	global_load_b128 v[75:78], v[35:36], off
	global_load_b128 v[79:82], v[79:80], off
	v_add_co_u32 v35, vcc_lo, s2, v7
	v_add_co_ci_u32_e32 v36, vcc_lo, s3, v8, vcc_lo
	v_add_co_u32 v73, vcc_lo, s2, v9
	v_add_co_ci_u32_e32 v83, vcc_lo, s3, v10, vcc_lo
	s_delay_alu instid0(VALU_DEP_4) | instskip(NEXT) | instid1(VALU_DEP_4)
	v_add_co_u32 v35, vcc_lo, v35, v40
	v_add_co_ci_u32_e32 v36, vcc_lo, 0, v36, vcc_lo
	s_delay_alu instid0(VALU_DEP_4) | instskip(NEXT) | instid1(VALU_DEP_4)
	v_add_co_u32 v87, vcc_lo, v73, v40
	v_add_co_ci_u32_e32 v88, vcc_lo, 0, v83, vcc_lo
	v_add_co_u32 v73, vcc_lo, s2, v11
	v_add_co_ci_u32_e32 v83, vcc_lo, s3, v12, vcc_lo
	v_add_co_u32 v84, vcc_lo, s2, v13
	v_add_co_ci_u32_e32 v85, vcc_lo, s3, v14, vcc_lo
	s_delay_alu instid0(VALU_DEP_4) | instskip(NEXT) | instid1(VALU_DEP_4)
	v_add_co_u32 v91, vcc_lo, v73, v40
	v_add_co_ci_u32_e32 v92, vcc_lo, 0, v83, vcc_lo
	s_delay_alu instid0(VALU_DEP_4) | instskip(NEXT) | instid1(VALU_DEP_4)
	v_add_co_u32 v95, vcc_lo, v84, v40
	v_add_co_ci_u32_e32 v96, vcc_lo, 0, v85, vcc_lo
	;; [unrolled: 10-line block ×3, first 2 shown]
	s_clause 0x5
	global_load_b128 v[83:86], v[35:36], off
	global_load_b128 v[87:90], v[87:88], off
	;; [unrolled: 1-line block ×6, first 2 shown]
	v_dual_mov_b32 v36, 0 :: v_dual_mov_b32 v35, 0
                                        ; implicit-def: $vgpr73
	s_waitcnt vmcnt(7)
	ds_store_b128 v44, v[75:78]
	s_waitcnt vmcnt(6)
	ds_store_b128 v47, v[79:82]
	;; [unrolled: 2-line block ×8, first 2 shown]
	s_waitcnt lgkmcnt(0)
	s_barrier
	buffer_gl0_inv
	ds_load_b128 v[75:78], v41
	ds_load_b128 v[79:82], v43
	ds_load_b128 v[83:86], v43 offset:512
	s_waitcnt lgkmcnt(1)
	;;#ASMSTART
	v_dot2_f32_f16 v36, v75, v79, v36
	;;#ASMEND
	;;#ASMSTART
	v_dot2_f32_f16 v36, v76, v80, v36
	;;#ASMEND
	;;#ASMSTART
	v_dot2_f32_f16 v36, v77, v81, v36
	;;#ASMEND
	;;#ASMSTART
	v_dot2_f32_f16 v36, v78, v82, v36
	;;#ASMEND
	s_waitcnt lgkmcnt(0)
	;;#ASMSTART
	v_dot2_f32_f16 v35, v75, v83, v35
	;;#ASMEND
	;;#ASMSTART
	v_dot2_f32_f16 v35, v76, v84, v35
	;;#ASMEND
	;;#ASMSTART
	v_dot2_f32_f16 v35, v77, v85, v35
	;;#ASMEND
	;;#ASMSTART
	v_dot2_f32_f16 v35, v78, v86, v35
	;;#ASMEND
	ds_load_b128 v[75:78], v41 offset:16
	ds_load_b128 v[79:82], v43 offset:16
	ds_load_b128 v[83:86], v43 offset:528
	s_waitcnt lgkmcnt(1)
	;;#ASMSTART
	v_dot2_f32_f16 v36, v75, v79, v36
	;;#ASMEND
	;;#ASMSTART
	v_dot2_f32_f16 v36, v76, v80, v36
	;;#ASMEND
	;;#ASMSTART
	v_dot2_f32_f16 v36, v77, v81, v36
	;;#ASMEND
	;;#ASMSTART
	v_dot2_f32_f16 v36, v78, v82, v36
	;;#ASMEND
	s_waitcnt lgkmcnt(0)
	;;#ASMSTART
	v_dot2_f32_f16 v35, v75, v83, v35
	;;#ASMEND
	;;#ASMSTART
	v_dot2_f32_f16 v35, v76, v84, v35
	;;#ASMEND
	;;#ASMSTART
	v_dot2_f32_f16 v35, v77, v85, v35
	;;#ASMEND
	;;#ASMSTART
	v_dot2_f32_f16 v35, v78, v86, v35
	;;#ASMEND
	ds_load_b128 v[75:78], v41 offset:32
	ds_load_b128 v[79:82], v43 offset:32
	;; [unrolled: 29-line block ×31, first 2 shown]
	v_add_nc_u32_e32 v87, s5, v2
	ds_load_b128 v[83:86], v43 offset:1008
	s_waitcnt lgkmcnt(1)
	;;#ASMSTART
	v_dot2_f32_f16 v36, v75, v79, v36
	;;#ASMEND
	v_ashrrev_i32_e32 v88, 31, v87
	;;#ASMSTART
	v_dot2_f32_f16 v36, v76, v80, v36
	;;#ASMEND
	;;#ASMSTART
	v_dot2_f32_f16 v36, v77, v81, v36
	;;#ASMEND
	;; [unrolled: 3-line block ×3, first 2 shown]
	s_waitcnt lgkmcnt(0)
	;;#ASMSTART
	v_dot2_f32_f16 v35, v75, v83, v35
	;;#ASMEND
	v_lshlrev_b64 v[87:88], 1, v[87:88]
	;;#ASMSTART
	v_dot2_f32_f16 v35, v76, v84, v35
	;;#ASMEND
	;;#ASMSTART
	v_dot2_f32_f16 v35, v77, v85, v35
	;;#ASMEND
	;; [unrolled: 3-line block ×3, first 2 shown]
	v_cmp_ngt_f32_e64 s2, 0x3f200000, |v36|
	s_delay_alu instid0(VALU_DEP_2) | instskip(SKIP_3) | instid1(SALU_CYCLE_1)
	v_add_co_u32 v87, vcc_lo, s36, v87
	v_add_co_ci_u32_e32 v88, vcc_lo, s37, v88, vcc_lo
	flat_load_u16 v79, v[87:88]
	s_and_saveexec_b32 s3, s2
	s_xor_b32 s2, exec_lo, s3
	s_cbranch_execz .LBB67_11
; %bb.10:                               ;   in Loop: Header=BB67_9 Depth=1
	v_add_f32_e64 v73, |v36|, |v36|
	s_delay_alu instid0(VALU_DEP_1) | instskip(SKIP_1) | instid1(VALU_DEP_2)
	v_mul_f32_e32 v75, 0x3fb8aa3b, v73
	v_cmp_ngt_f32_e32 vcc_lo, 0xc2ce8ed0, v73
	v_rndne_f32_e32 v76, v75
	v_fma_f32 v77, 0x3fb8aa3b, v73, -v75
	s_delay_alu instid0(VALU_DEP_2) | instskip(NEXT) | instid1(VALU_DEP_2)
	v_sub_f32_e32 v75, v75, v76
	v_fmac_f32_e32 v77, 0x32a5705f, v73
	v_cvt_i32_f32_e32 v76, v76
	s_delay_alu instid0(VALU_DEP_2) | instskip(NEXT) | instid1(VALU_DEP_1)
	v_add_f32_e32 v75, v75, v77
	v_exp_f32_e32 v75, v75
	s_waitcnt_depctr 0xfff
	v_ldexp_f32 v75, v75, v76
	s_delay_alu instid0(VALU_DEP_1) | instskip(SKIP_1) | instid1(VALU_DEP_2)
	v_cndmask_b32_e32 v75, 0, v75, vcc_lo
	v_cmp_nlt_f32_e32 vcc_lo, 0x42b17218, v73
	v_cndmask_b32_e32 v73, 0x7f800000, v75, vcc_lo
	s_delay_alu instid0(VALU_DEP_1) | instskip(NEXT) | instid1(VALU_DEP_1)
	v_add_f32_e32 v73, 1.0, v73
	v_rcp_f32_e32 v73, v73
	s_waitcnt_depctr 0xfff
	v_fma_f32 v73, v73, -2.0, 1.0
.LBB67_11:                              ;   in Loop: Header=BB67_9 Depth=1
	s_and_not1_saveexec_b32 s2, s2
; %bb.12:                               ;   in Loop: Header=BB67_9 Depth=1
	v_mul_f32_e32 v73, v36, v36
	s_delay_alu instid0(VALU_DEP_1) | instskip(NEXT) | instid1(VALU_DEP_1)
	v_fmaak_f32 v75, s10, v73, 0x3ca908c9
	v_fmaak_f32 v75, v73, v75, 0xbd5c1c4e
	s_delay_alu instid0(VALU_DEP_1) | instskip(NEXT) | instid1(VALU_DEP_1)
	v_fmaak_f32 v75, v73, v75, 0x3e088382
	v_fmaak_f32 v75, v73, v75, 0xbeaaaa99
	s_delay_alu instid0(VALU_DEP_1) | instskip(NEXT) | instid1(VALU_DEP_1)
	v_mul_f32_e64 v75, |v36|, v75
	v_fma_f32 v73, v73, v75, |v36|
; %bb.13:                               ;   in Loop: Header=BB67_9 Depth=1
	s_or_b32 exec_lo, exec_lo, s2
	s_delay_alu instid0(VALU_DEP_1)
	v_bfi_b32 v36, 0x7fffffff, v73, v36
	v_xor_b32_e32 v78, 16, v38
	v_max_f32_e32 v75, v72, v72
	v_cmp_ngt_f32_e64 s2, 0x3f200000, |v35|
                                        ; implicit-def: $vgpr87
	s_waitcnt vmcnt(0) lgkmcnt(0)
	v_fma_mix_f32 v80, v36, s19, v79 op_sel_hi:[0,0,1]
	v_cmp_gt_i32_e32 vcc_lo, 32, v78
	s_delay_alu instid0(VALU_DEP_2) | instskip(NEXT) | instid1(VALU_DEP_1)
	v_dual_add_f32 v73, 0x40051340, v80 :: v_dual_cndmask_b32 v36, v38, v78
	v_dual_max_f32 v75, v75, v73 :: v_dual_lshlrev_b32 v36, 2, v36
	v_xor_b32_e32 v73, 8, v38
	ds_bpermute_b32 v76, v36, v75
	v_cmp_gt_i32_e32 vcc_lo, 32, v73
	s_waitcnt lgkmcnt(0)
	v_dual_cndmask_b32 v77, v38, v73 :: v_dual_max_f32 v76, v76, v76
	s_delay_alu instid0(VALU_DEP_1)
	v_dual_max_f32 v76, v75, v76 :: v_dual_lshlrev_b32 v81, 2, v77
	v_xor_b32_e32 v75, 4, v38
	ds_bpermute_b32 v77, v81, v76
	v_cmp_gt_i32_e32 vcc_lo, 32, v75
	s_waitcnt lgkmcnt(0)
	v_dual_cndmask_b32 v82, v38, v75 :: v_dual_max_f32 v77, v77, v77
	s_delay_alu instid0(VALU_DEP_1) | instskip(SKIP_1) | instid1(VALU_DEP_1)
	v_dual_max_f32 v77, v76, v77 :: v_dual_lshlrev_b32 v82, 2, v82
	v_xor_b32_e32 v76, 2, v38
	v_cmp_gt_i32_e32 vcc_lo, 32, v76
	v_cndmask_b32_e32 v84, v38, v76, vcc_lo
	ds_bpermute_b32 v83, v82, v77
	s_waitcnt lgkmcnt(0)
	v_dual_max_f32 v83, v83, v83 :: v_dual_lshlrev_b32 v84, 2, v84
	s_delay_alu instid0(VALU_DEP_1) | instskip(SKIP_1) | instid1(VALU_DEP_1)
	v_max_f32_e32 v83, v77, v83
	v_xor_b32_e32 v77, 1, v38
	v_cmp_gt_i32_e32 vcc_lo, 32, v77
	v_cndmask_b32_e32 v86, v38, v77, vcc_lo
	ds_bpermute_b32 v85, v84, v83
	s_waitcnt lgkmcnt(0)
	v_dual_max_f32 v85, v85, v85 :: v_dual_lshlrev_b32 v86, 2, v86
	s_delay_alu instid0(VALU_DEP_1) | instskip(SKIP_2) | instid1(SALU_CYCLE_1)
	v_max_f32_e32 v83, v83, v85
	ds_bpermute_b32 v85, v86, v83
	s_and_saveexec_b32 s3, s2
	s_xor_b32 s2, exec_lo, s3
	s_cbranch_execz .LBB67_15
; %bb.14:                               ;   in Loop: Header=BB67_9 Depth=1
	v_add_f32_e64 v87, |v35|, |v35|
	s_delay_alu instid0(VALU_DEP_1) | instskip(SKIP_1) | instid1(VALU_DEP_2)
	v_mul_f32_e32 v88, 0x3fb8aa3b, v87
	v_cmp_ngt_f32_e32 vcc_lo, 0xc2ce8ed0, v87
	v_rndne_f32_e32 v89, v88
	v_fma_f32 v90, 0x3fb8aa3b, v87, -v88
	s_delay_alu instid0(VALU_DEP_2) | instskip(NEXT) | instid1(VALU_DEP_2)
	v_sub_f32_e32 v88, v88, v89
	v_fmac_f32_e32 v90, 0x32a5705f, v87
	v_cvt_i32_f32_e32 v89, v89
	s_delay_alu instid0(VALU_DEP_2) | instskip(NEXT) | instid1(VALU_DEP_1)
	v_add_f32_e32 v88, v88, v90
	v_exp_f32_e32 v88, v88
	s_waitcnt_depctr 0xfff
	v_ldexp_f32 v88, v88, v89
	s_delay_alu instid0(VALU_DEP_1) | instskip(SKIP_1) | instid1(VALU_DEP_2)
	v_cndmask_b32_e32 v88, 0, v88, vcc_lo
	v_cmp_nlt_f32_e32 vcc_lo, 0x42b17218, v87
	v_cndmask_b32_e32 v87, 0x7f800000, v88, vcc_lo
	s_delay_alu instid0(VALU_DEP_1) | instskip(NEXT) | instid1(VALU_DEP_1)
	v_add_f32_e32 v87, 1.0, v87
	v_rcp_f32_e32 v87, v87
	s_waitcnt_depctr 0xfff
	v_fma_f32 v87, v87, -2.0, 1.0
.LBB67_15:                              ;   in Loop: Header=BB67_9 Depth=1
	s_and_not1_saveexec_b32 s2, s2
; %bb.16:                               ;   in Loop: Header=BB67_9 Depth=1
	v_mul_f32_e32 v87, v35, v35
	s_delay_alu instid0(VALU_DEP_1) | instskip(NEXT) | instid1(VALU_DEP_1)
	v_fmaak_f32 v88, s10, v87, 0x3ca908c9
	v_fmaak_f32 v88, v87, v88, 0xbd5c1c4e
	s_delay_alu instid0(VALU_DEP_1) | instskip(NEXT) | instid1(VALU_DEP_1)
	v_fmaak_f32 v88, v87, v88, 0x3e088382
	v_fmaak_f32 v88, v87, v88, 0xbeaaaa99
	s_delay_alu instid0(VALU_DEP_1) | instskip(NEXT) | instid1(VALU_DEP_1)
	v_mul_f32_e64 v88, |v35|, v88
	v_fma_f32 v87, v87, v88, |v35|
; %bb.17:                               ;   in Loop: Header=BB67_9 Depth=1
	s_or_b32 exec_lo, exec_lo, s2
	s_delay_alu instid0(VALU_DEP_1)
	v_bfi_b32 v35, 0x7fffffff, v87, v35
	v_cvt_f32_f16_e32 v79, v79
	s_waitcnt lgkmcnt(0)
	s_barrier
	buffer_gl0_inv
	v_fmac_f32_e32 v79, s19, v35
	v_max_f32_e32 v35, v74, v74
	s_delay_alu instid0(VALU_DEP_2) | instskip(NEXT) | instid1(VALU_DEP_1)
	v_add_f32_e32 v87, 0x40051340, v79
	v_max_f32_e32 v35, v35, v87
	ds_bpermute_b32 v36, v36, v35
	s_waitcnt lgkmcnt(0)
	v_max_f32_e32 v36, v36, v36
	s_delay_alu instid0(VALU_DEP_1) | instskip(SKIP_3) | instid1(VALU_DEP_1)
	v_max_f32_e32 v35, v35, v36
	ds_bpermute_b32 v36, v81, v35
	s_waitcnt lgkmcnt(0)
	v_dual_max_f32 v81, v85, v85 :: v_dual_max_f32 v36, v36, v36
	v_max_f32_e32 v35, v35, v36
	ds_bpermute_b32 v36, v82, v35
	v_max_f32_e32 v82, v83, v83
	s_waitcnt lgkmcnt(0)
	v_max_f32_e32 v36, v36, v36
	s_delay_alu instid0(VALU_DEP_1) | instskip(SKIP_3) | instid1(VALU_DEP_1)
	v_max_f32_e32 v35, v35, v36
	ds_bpermute_b32 v36, v84, v35
	s_waitcnt lgkmcnt(0)
	v_max_f32_e32 v36, v36, v36
	v_max_f32_e32 v36, v35, v36
	ds_bpermute_b32 v35, v86, v36
	s_waitcnt lgkmcnt(0)
	v_max_f32_e32 v83, v35, v35
	v_max_f32_e32 v35, v82, v81
	s_delay_alu instid0(VALU_DEP_1) | instskip(NEXT) | instid1(VALU_DEP_1)
	v_sub_f32_e32 v80, v80, v35
	v_dual_sub_f32 v72, v72, v35 :: v_dual_mul_f32 v81, 0x3fb8aa3b, v80
	v_cmp_ngt_f32_e32 vcc_lo, 0xc2ce8ed0, v80
	v_cmp_nlt_f32_e64 s2, 0x42b17218, v80
	s_delay_alu instid0(VALU_DEP_3) | instskip(NEXT) | instid1(VALU_DEP_1)
	v_fma_f32 v82, 0x3fb8aa3b, v80, -v81
	v_fmac_f32_e32 v82, 0x32a5705f, v80
	v_max_f32_e32 v36, v36, v83
	v_rndne_f32_e32 v80, v81
	s_delay_alu instid0(VALU_DEP_2) | instskip(NEXT) | instid1(VALU_DEP_2)
	v_sub_f32_e32 v74, v74, v36
	v_sub_f32_e32 v81, v81, v80
	;; [unrolled: 1-line block ×3, first 2 shown]
	v_cvt_i32_f32_e32 v80, v80
	s_delay_alu instid0(VALU_DEP_2) | instskip(SKIP_2) | instid1(VALU_DEP_3)
	v_dual_add_f32 v81, v81, v82 :: v_dual_mul_f32 v82, 0x3fb8aa3b, v79
	v_cmp_ngt_f32_e64 s3, 0xc2ce8ed0, v79
	v_cmp_nlt_f32_e64 s4, 0x42b17218, v79
	v_exp_f32_e32 v81, v81
	s_delay_alu instid0(VALU_DEP_3) | instskip(SKIP_1) | instid1(VALU_DEP_1)
	v_fma_f32 v83, 0x3fb8aa3b, v79, -v82
	v_rndne_f32_e32 v84, v82
	v_dual_fmac_f32 v83, 0x32a5705f, v79 :: v_dual_sub_f32 v82, v82, v84
	s_waitcnt_depctr 0xfff
	v_ldexp_f32 v80, v81, v80
	s_delay_alu instid0(VALU_DEP_1) | instskip(NEXT) | instid1(VALU_DEP_1)
	v_dual_add_f32 v82, v82, v83 :: v_dual_cndmask_b32 v79, 0, v80
	v_exp_f32_e32 v81, v82
	v_cvt_i32_f32_e32 v82, v84
	s_delay_alu instid0(VALU_DEP_2) | instskip(SKIP_3) | instid1(VALU_DEP_1)
	v_cndmask_b32_e64 v80, 0x7f800000, v79, s2
	s_mul_i32 s2, s5, s13
	s_waitcnt_depctr 0xfff
	v_ldexp_f32 v81, v81, v82
	v_cndmask_b32_e64 v81, 0, v81, s3
	s_mul_hi_i32 s3, s5, s13
	s_delay_alu instid0(SALU_CYCLE_1) | instskip(NEXT) | instid1(VALU_DEP_1)
	s_lshl_b64 s[2:3], s[2:3], 2
	v_cndmask_b32_e64 v79, 0x7f800000, v81, s4
	v_cvt_f16_f32_e32 v81, v80
	s_add_u32 s2, s11, s2
	s_addc_u32 s3, s18, s3
	v_cmp_nlt_f32_e64 s4, 0x42b17218, v74
	v_cvt_f16_f32_e32 v82, v79
	s_delay_alu instid0(VALU_DEP_1)
	v_pack_b32_f16 v83, v81, v82
	v_add_co_u32 v81, vcc_lo, s2, v19
	v_add_co_ci_u32_e32 v82, vcc_lo, s3, v20, vcc_lo
	ds_store_b32 v54, v83
	v_add_co_u32 v81, vcc_lo, v81, v40
	v_add_co_ci_u32_e32 v82, vcc_lo, 0, v82, vcc_lo
	global_load_b128 v[81:84], v[81:82], off
	s_waitcnt vmcnt(0)
	ds_store_b128 v46, v[81:84]
	v_add_co_u32 v81, vcc_lo, s2, v21
	v_add_co_ci_u32_e32 v82, vcc_lo, s3, v22, vcc_lo
	s_delay_alu instid0(VALU_DEP_2) | instskip(NEXT) | instid1(VALU_DEP_2)
	v_add_co_u32 v81, vcc_lo, v81, v40
	v_add_co_ci_u32_e32 v82, vcc_lo, 0, v82, vcc_lo
	global_load_b128 v[81:84], v[81:82], off
	s_waitcnt vmcnt(0)
	ds_store_b128 v55, v[81:84]
	v_add_co_u32 v81, vcc_lo, s2, v23
	v_add_co_ci_u32_e32 v82, vcc_lo, s3, v24, vcc_lo
	s_delay_alu instid0(VALU_DEP_2) | instskip(NEXT) | instid1(VALU_DEP_2)
	;; [unrolled: 8-line block ×6, first 2 shown]
	v_add_co_u32 v81, vcc_lo, v81, v40
	v_add_co_ci_u32_e32 v82, vcc_lo, 0, v82, vcc_lo
	global_load_b128 v[81:84], v[81:82], off
	s_waitcnt vmcnt(0)
	ds_store_b128 v60, v[81:84]
	v_add_co_u32 v81, vcc_lo, s2, v33
	v_add_co_ci_u32_e32 v82, vcc_lo, s3, v34, vcc_lo
	v_cmp_nlt_f32_e64 s2, 0x42b17218, v72
	s_delay_alu instid0(VALU_DEP_3) | instskip(NEXT) | instid1(VALU_DEP_3)
	v_add_co_u32 v81, vcc_lo, v81, v40
	v_add_co_ci_u32_e32 v82, vcc_lo, 0, v82, vcc_lo
	v_cmp_ngt_f32_e32 vcc_lo, 0xc2ce8ed0, v72
	v_cmp_ngt_f32_e64 s3, 0xc2ce8ed0, v74
	global_load_b128 v[81:84], v[81:82], off
	s_waitcnt vmcnt(0)
	ds_store_b128 v61, v[81:84]
	v_mul_f32_e32 v81, 0x3fb8aa3b, v72
	s_waitcnt lgkmcnt(0)
	s_barrier
	buffer_gl0_inv
	v_fma_f32 v82, 0x3fb8aa3b, v72, -v81
	s_delay_alu instid0(VALU_DEP_1) | instskip(SKIP_1) | instid1(VALU_DEP_1)
	v_fmac_f32_e32 v82, 0x32a5705f, v72
	v_rndne_f32_e32 v72, v81
	v_sub_f32_e32 v81, v81, v72
	v_cvt_i32_f32_e32 v72, v72
	s_delay_alu instid0(VALU_DEP_2) | instskip(SKIP_1) | instid1(VALU_DEP_1)
	v_add_f32_e32 v81, v81, v82
	v_mul_f32_e32 v82, 0x3fb8aa3b, v74
	v_rndne_f32_e32 v84, v82
	v_fma_f32 v83, 0x3fb8aa3b, v74, -v82
	s_delay_alu instid0(VALU_DEP_2)
	v_sub_f32_e32 v82, v82, v84
	v_exp_f32_e32 v81, v81
	s_waitcnt_depctr 0xfff
	v_ldexp_f32 v72, v81, v72
	v_fmac_f32_e32 v83, 0x32a5705f, v74
	v_cvt_i32_f32_e32 v81, v84
	s_delay_alu instid0(VALU_DEP_3) | instskip(NEXT) | instid1(VALU_DEP_3)
	v_cndmask_b32_e32 v72, 0, v72, vcc_lo
	v_add_f32_e32 v82, v82, v83
	s_delay_alu instid0(VALU_DEP_2) | instskip(NEXT) | instid1(VALU_DEP_2)
	v_cndmask_b32_e64 v72, 0x7f800000, v72, s2
	v_exp_f32_e32 v74, v82
	s_delay_alu instid0(VALU_DEP_1) | instskip(SKIP_1) | instid1(VALU_DEP_2)
	v_cvt_f16_f32_e32 v89, v72
	v_fma_f32 v42, v42, v72, v80
	v_pk_mul_f16 v69, v89, v69 op_sel_hi:[0,1]
	s_waitcnt_depctr 0xfff
	v_ldexp_f32 v74, v74, v81
	ds_load_2addr_b64 v[81:84], v62 offset1:32
	ds_load_b128 v[85:88], v45
	v_pk_mul_f16 v71, v89, v71 op_sel_hi:[0,1]
	v_cndmask_b32_e64 v74, 0, v74, s3
	s_delay_alu instid0(VALU_DEP_1) | instskip(NEXT) | instid1(VALU_DEP_1)
	v_cndmask_b32_e64 v74, 0x7f800000, v74, s4
	v_cvt_f16_f32_e32 v90, v74
	v_fmac_f32_e32 v79, v63, v74
	s_delay_alu instid0(VALU_DEP_2)
	v_pk_mul_f16 v67, v90, v67 op_sel_hi:[0,1]
	v_pk_mul_f16 v65, v90, v65 op_sel_hi:[0,1]
	;; [unrolled: 1-line block ×3, first 2 shown]
	s_waitcnt lgkmcnt(0)
	v_pk_fma_f16 v69, v83, v85, v69 op_sel_hi:[1,0,1]
	v_pk_fma_f16 v71, v84, v85, v71 op_sel_hi:[1,0,1]
	v_pk_fma_f16 v91, v82, v85, v67 op_sel:[0,1,0]
	v_pk_fma_f16 v83, v83, v85, v65 op_sel:[0,1,0]
	;; [unrolled: 1-line block ×3, first 2 shown]
	v_pk_mul_f16 v64, v81, v85 op_sel:[0,1]
	v_pk_mul_f16 v65, v81, v85 op_sel_hi:[1,0]
	v_pk_mul_f16 v67, v82, v85 op_sel_hi:[1,0]
	s_delay_alu instid0(VALU_DEP_3) | instskip(NEXT) | instid1(VALU_DEP_3)
	v_pk_fma_f16 v81, v90, v66, v64 op_sel_hi:[0,1,1]
	v_pk_fma_f16 v68, v89, v68, v65 op_sel_hi:[0,1,1]
	s_delay_alu instid0(VALU_DEP_3)
	v_pk_fma_f16 v70, v89, v70, v67 op_sel_hi:[0,1,1]
	ds_load_2addr_b64 v[64:67], v62 offset0:64 offset1:96
	v_add_nc_u32_e32 v89, 0x800, v62
	s_waitcnt lgkmcnt(0)
	v_pk_fma_f16 v82, v65, v86, v91 op_sel:[0,1,0]
	v_pk_fma_f16 v69, v66, v86, v69 op_sel_hi:[1,0,1]
	v_pk_fma_f16 v83, v66, v86, v83 op_sel:[0,1,0]
	v_pk_fma_f16 v71, v67, v86, v71 op_sel_hi:[1,0,1]
	;; [unrolled: 2-line block ×4, first 2 shown]
	ds_load_2addr_b64 v[64:67], v62 offset0:128 offset1:160
	s_waitcnt lgkmcnt(0)
	v_pk_fma_f16 v82, v65, v87, v82 op_sel:[0,1,0]
	v_pk_fma_f16 v69, v66, v87, v69 op_sel_hi:[1,0,1]
	v_pk_fma_f16 v83, v66, v87, v83 op_sel:[0,1,0]
	v_pk_fma_f16 v71, v67, v87, v71 op_sel_hi:[1,0,1]
	;; [unrolled: 2-line block ×4, first 2 shown]
	ds_load_2addr_b64 v[64:67], v62 offset0:192 offset1:224
	s_waitcnt lgkmcnt(0)
	v_pk_fma_f16 v82, v65, v88, v82 op_sel:[0,1,0]
	v_pk_fma_f16 v85, v66, v88, v69 op_sel_hi:[1,0,1]
	v_pk_fma_f16 v83, v66, v88, v83 op_sel:[0,1,0]
	v_pk_fma_f16 v86, v67, v88, v71 op_sel_hi:[1,0,1]
	v_pk_fma_f16 v84, v67, v88, v84 op_sel:[0,1,0]
	v_pk_fma_f16 v87, v64, v88, v68 op_sel_hi:[1,0,1]
	v_pk_fma_f16 v81, v64, v88, v81 op_sel:[0,1,0]
	v_pk_fma_f16 v88, v65, v88, v70 op_sel_hi:[1,0,1]
	ds_load_b128 v[64:67], v45 offset:16
	ds_load_2addr_b64 v[68:71], v89 offset1:32
	s_waitcnt lgkmcnt(0)
	v_pk_fma_f16 v82, v69, v64, v82 op_sel:[0,1,0]
	v_pk_fma_f16 v85, v70, v64, v85 op_sel_hi:[1,0,1]
	v_pk_fma_f16 v83, v70, v64, v83 op_sel:[0,1,0]
	v_pk_fma_f16 v86, v71, v64, v86 op_sel_hi:[1,0,1]
	v_pk_fma_f16 v84, v71, v64, v84 op_sel:[0,1,0]
	v_pk_fma_f16 v87, v68, v64, v87 op_sel_hi:[1,0,1]
	v_pk_fma_f16 v81, v68, v64, v81 op_sel:[0,1,0]
	v_pk_fma_f16 v64, v69, v64, v88 op_sel_hi:[1,0,1]
	ds_load_2addr_b64 v[68:71], v89 offset0:64 offset1:96
	s_waitcnt lgkmcnt(0)
	v_pk_fma_f16 v82, v69, v65, v82 op_sel:[0,1,0]
	v_pk_fma_f16 v85, v70, v65, v85 op_sel_hi:[1,0,1]
	v_pk_fma_f16 v83, v70, v65, v83 op_sel:[0,1,0]
	v_pk_fma_f16 v86, v71, v65, v86 op_sel_hi:[1,0,1]
	v_pk_fma_f16 v84, v71, v65, v84 op_sel:[0,1,0]
	v_pk_fma_f16 v87, v68, v65, v87 op_sel_hi:[1,0,1]
	v_pk_fma_f16 v81, v68, v65, v81 op_sel:[0,1,0]
	v_pk_fma_f16 v64, v69, v65, v64 op_sel_hi:[1,0,1]
	ds_load_2addr_b64 v[68:71], v89 offset0:128 offset1:160
	s_waitcnt lgkmcnt(0)
	v_pk_fma_f16 v65, v69, v66, v82 op_sel:[0,1,0]
	v_pk_fma_f16 v82, v70, v66, v85 op_sel_hi:[1,0,1]
	v_pk_fma_f16 v83, v70, v66, v83 op_sel:[0,1,0]
	v_pk_fma_f16 v85, v71, v66, v86 op_sel_hi:[1,0,1]
	v_pk_fma_f16 v84, v71, v66, v84 op_sel:[0,1,0]
	v_pk_fma_f16 v86, v68, v66, v87 op_sel_hi:[1,0,1]
	v_pk_fma_f16 v81, v68, v66, v81 op_sel:[0,1,0]
	v_pk_fma_f16 v64, v69, v66, v64 op_sel_hi:[1,0,1]
	ds_load_2addr_b64 v[68:71], v89 offset0:192 offset1:224
	v_add_nc_u32_e32 v89, 0x1000, v62
	s_waitcnt lgkmcnt(0)
	v_pk_fma_f16 v87, v69, v67, v65 op_sel:[0,1,0]
	v_pk_fma_f16 v82, v70, v67, v82 op_sel_hi:[1,0,1]
	v_pk_fma_f16 v83, v70, v67, v83 op_sel:[0,1,0]
	v_pk_fma_f16 v85, v71, v67, v85 op_sel_hi:[1,0,1]
	v_pk_fma_f16 v84, v71, v67, v84 op_sel:[0,1,0]
	v_pk_fma_f16 v86, v68, v67, v86 op_sel_hi:[1,0,1]
	v_pk_fma_f16 v81, v68, v67, v81 op_sel:[0,1,0]
	v_pk_fma_f16 v88, v69, v67, v64 op_sel_hi:[1,0,1]
	ds_load_b128 v[64:67], v45 offset:32
	ds_load_2addr_b64 v[68:71], v89 offset1:32
	s_waitcnt lgkmcnt(0)
	v_pk_fma_f16 v87, v69, v64, v87 op_sel:[0,1,0]
	v_pk_fma_f16 v82, v70, v64, v82 op_sel_hi:[1,0,1]
	v_pk_fma_f16 v83, v70, v64, v83 op_sel:[0,1,0]
	v_pk_fma_f16 v85, v71, v64, v85 op_sel_hi:[1,0,1]
	v_pk_fma_f16 v84, v71, v64, v84 op_sel:[0,1,0]
	v_pk_fma_f16 v86, v68, v64, v86 op_sel_hi:[1,0,1]
	v_pk_fma_f16 v81, v68, v64, v81 op_sel:[0,1,0]
	v_pk_fma_f16 v64, v69, v64, v88 op_sel_hi:[1,0,1]
	ds_load_2addr_b64 v[68:71], v89 offset0:64 offset1:96
	s_waitcnt lgkmcnt(0)
	v_pk_fma_f16 v87, v69, v65, v87 op_sel:[0,1,0]
	v_pk_fma_f16 v82, v70, v65, v82 op_sel_hi:[1,0,1]
	v_pk_fma_f16 v83, v70, v65, v83 op_sel:[0,1,0]
	v_pk_fma_f16 v85, v71, v65, v85 op_sel_hi:[1,0,1]
	v_pk_fma_f16 v84, v71, v65, v84 op_sel:[0,1,0]
	v_pk_fma_f16 v86, v68, v65, v86 op_sel_hi:[1,0,1]
	v_pk_fma_f16 v81, v68, v65, v81 op_sel:[0,1,0]
	v_pk_fma_f16 v64, v69, v65, v64 op_sel_hi:[1,0,1]
	ds_load_2addr_b64 v[68:71], v89 offset0:128 offset1:160
	s_waitcnt lgkmcnt(0)
	v_pk_fma_f16 v65, v69, v66, v87 op_sel:[0,1,0]
	v_pk_fma_f16 v82, v70, v66, v82 op_sel_hi:[1,0,1]
	v_pk_fma_f16 v83, v70, v66, v83 op_sel:[0,1,0]
	v_pk_fma_f16 v85, v71, v66, v85 op_sel_hi:[1,0,1]
	v_pk_fma_f16 v84, v71, v66, v84 op_sel:[0,1,0]
	v_pk_fma_f16 v86, v68, v66, v86 op_sel_hi:[1,0,1]
	v_pk_fma_f16 v81, v68, v66, v81 op_sel:[0,1,0]
	v_pk_fma_f16 v64, v69, v66, v64 op_sel_hi:[1,0,1]
	ds_load_2addr_b64 v[68:71], v89 offset0:192 offset1:224
	v_add_nc_u32_e32 v89, 0x1800, v62
	;; [unrolled: 42-line block ×3, first 2 shown]
	s_waitcnt lgkmcnt(0)
	v_pk_fma_f16 v87, v69, v67, v65 op_sel:[0,1,0]
	v_pk_fma_f16 v82, v70, v67, v82 op_sel_hi:[1,0,1]
	v_pk_fma_f16 v83, v70, v67, v83 op_sel:[0,1,0]
	v_pk_fma_f16 v85, v71, v67, v85 op_sel_hi:[1,0,1]
	;; [unrolled: 2-line block ×4, first 2 shown]
	ds_load_2addr_b64 v[64:67], v89 offset1:32
	ds_load_b128 v[68:71], v45 offset:64
	s_waitcnt lgkmcnt(0)
	v_pk_fma_f16 v87, v65, v68, v87 op_sel:[0,1,0]
	v_pk_fma_f16 v82, v66, v68, v82 op_sel_hi:[1,0,1]
	v_pk_fma_f16 v83, v66, v68, v83 op_sel:[0,1,0]
	v_pk_fma_f16 v85, v67, v68, v85 op_sel_hi:[1,0,1]
	v_pk_fma_f16 v84, v67, v68, v84 op_sel:[0,1,0]
	v_pk_fma_f16 v86, v64, v68, v86 op_sel_hi:[1,0,1]
	v_pk_fma_f16 v81, v64, v68, v81 op_sel:[0,1,0]
	v_pk_fma_f16 v68, v65, v68, v88 op_sel_hi:[1,0,1]
	ds_load_2addr_b64 v[64:67], v89 offset0:64 offset1:96
	s_waitcnt lgkmcnt(0)
	v_pk_fma_f16 v87, v65, v69, v87 op_sel:[0,1,0]
	v_pk_fma_f16 v82, v66, v69, v82 op_sel_hi:[1,0,1]
	v_pk_fma_f16 v83, v66, v69, v83 op_sel:[0,1,0]
	v_pk_fma_f16 v85, v67, v69, v85 op_sel_hi:[1,0,1]
	v_pk_fma_f16 v84, v67, v69, v84 op_sel:[0,1,0]
	v_pk_fma_f16 v86, v64, v69, v86 op_sel_hi:[1,0,1]
	v_pk_fma_f16 v81, v64, v69, v81 op_sel:[0,1,0]
	v_pk_fma_f16 v68, v65, v69, v68 op_sel_hi:[1,0,1]
	ds_load_2addr_b64 v[64:67], v89 offset0:128 offset1:160
	;; [unrolled: 10-line block ×3, first 2 shown]
	v_add_nc_u32_e32 v89, 0x2800, v62
	s_waitcnt lgkmcnt(0)
	v_pk_fma_f16 v87, v65, v71, v69 op_sel:[0,1,0]
	v_pk_fma_f16 v82, v66, v71, v82 op_sel_hi:[1,0,1]
	v_pk_fma_f16 v83, v66, v71, v83 op_sel:[0,1,0]
	v_pk_fma_f16 v85, v67, v71, v85 op_sel_hi:[1,0,1]
	;; [unrolled: 2-line block ×4, first 2 shown]
	ds_load_2addr_b64 v[64:67], v89 offset1:32
	ds_load_b128 v[68:71], v45 offset:80
	s_waitcnt lgkmcnt(0)
	v_pk_fma_f16 v87, v65, v68, v87 op_sel:[0,1,0]
	v_pk_fma_f16 v82, v66, v68, v82 op_sel_hi:[1,0,1]
	v_pk_fma_f16 v83, v66, v68, v83 op_sel:[0,1,0]
	v_pk_fma_f16 v85, v67, v68, v85 op_sel_hi:[1,0,1]
	v_pk_fma_f16 v84, v67, v68, v84 op_sel:[0,1,0]
	v_pk_fma_f16 v86, v64, v68, v86 op_sel_hi:[1,0,1]
	v_pk_fma_f16 v81, v64, v68, v81 op_sel:[0,1,0]
	v_pk_fma_f16 v68, v65, v68, v88 op_sel_hi:[1,0,1]
	ds_load_2addr_b64 v[64:67], v89 offset0:64 offset1:96
	s_waitcnt lgkmcnt(0)
	v_pk_fma_f16 v87, v65, v69, v87 op_sel:[0,1,0]
	v_pk_fma_f16 v82, v66, v69, v82 op_sel_hi:[1,0,1]
	v_pk_fma_f16 v83, v66, v69, v83 op_sel:[0,1,0]
	v_pk_fma_f16 v85, v67, v69, v85 op_sel_hi:[1,0,1]
	v_pk_fma_f16 v84, v67, v69, v84 op_sel:[0,1,0]
	v_pk_fma_f16 v86, v64, v69, v86 op_sel_hi:[1,0,1]
	v_pk_fma_f16 v81, v64, v69, v81 op_sel:[0,1,0]
	v_pk_fma_f16 v68, v65, v69, v68 op_sel_hi:[1,0,1]
	ds_load_2addr_b64 v[64:67], v89 offset0:128 offset1:160
	;; [unrolled: 10-line block ×3, first 2 shown]
	v_add_nc_u32_e32 v89, 0x3000, v62
	s_waitcnt lgkmcnt(0)
	v_pk_fma_f16 v87, v65, v71, v69 op_sel:[0,1,0]
	v_pk_fma_f16 v82, v66, v71, v82 op_sel_hi:[1,0,1]
	v_pk_fma_f16 v83, v66, v71, v83 op_sel:[0,1,0]
	v_pk_fma_f16 v85, v67, v71, v85 op_sel_hi:[1,0,1]
	;; [unrolled: 2-line block ×4, first 2 shown]
	ds_load_2addr_b64 v[64:67], v89 offset1:32
	ds_load_b128 v[68:71], v45 offset:96
	s_waitcnt lgkmcnt(0)
	v_pk_fma_f16 v87, v65, v68, v87 op_sel:[0,1,0]
	v_pk_fma_f16 v82, v66, v68, v82 op_sel_hi:[1,0,1]
	v_pk_fma_f16 v83, v66, v68, v83 op_sel:[0,1,0]
	v_pk_fma_f16 v85, v67, v68, v85 op_sel_hi:[1,0,1]
	v_pk_fma_f16 v84, v67, v68, v84 op_sel:[0,1,0]
	v_pk_fma_f16 v86, v64, v68, v86 op_sel_hi:[1,0,1]
	v_pk_fma_f16 v81, v64, v68, v81 op_sel:[0,1,0]
	v_pk_fma_f16 v68, v65, v68, v88 op_sel_hi:[1,0,1]
	ds_load_2addr_b64 v[64:67], v89 offset0:64 offset1:96
	s_waitcnt lgkmcnt(0)
	v_pk_fma_f16 v87, v65, v69, v87 op_sel:[0,1,0]
	v_pk_fma_f16 v82, v66, v69, v82 op_sel_hi:[1,0,1]
	v_pk_fma_f16 v83, v66, v69, v83 op_sel:[0,1,0]
	v_pk_fma_f16 v85, v67, v69, v85 op_sel_hi:[1,0,1]
	v_pk_fma_f16 v84, v67, v69, v84 op_sel:[0,1,0]
	v_pk_fma_f16 v86, v64, v69, v86 op_sel_hi:[1,0,1]
	v_pk_fma_f16 v81, v64, v69, v81 op_sel:[0,1,0]
	v_pk_fma_f16 v68, v65, v69, v68 op_sel_hi:[1,0,1]
	ds_load_2addr_b64 v[64:67], v89 offset0:128 offset1:160
	;; [unrolled: 10-line block ×3, first 2 shown]
	s_waitcnt lgkmcnt(0)
	v_pk_fma_f16 v69, v65, v71, v69 op_sel:[0,1,0]
	v_pk_fma_f16 v70, v66, v71, v82 op_sel_hi:[1,0,1]
	v_pk_fma_f16 v87, v66, v71, v83 op_sel:[0,1,0]
	v_pk_fma_f16 v85, v67, v71, v85 op_sel_hi:[1,0,1]
	v_pk_fma_f16 v88, v67, v71, v84 op_sel:[0,1,0]
	v_pk_fma_f16 v86, v64, v71, v86 op_sel_hi:[1,0,1]
	v_pk_fma_f16 v89, v64, v71, v81 op_sel:[0,1,0]
	v_pk_fma_f16 v68, v65, v71, v68 op_sel_hi:[1,0,1]
	v_add_nc_u32_e32 v71, 0x3800, v62
	ds_load_2addr_b64 v[64:67], v71 offset1:32
	ds_load_b128 v[81:84], v45 offset:112
	s_waitcnt lgkmcnt(0)
	v_pk_fma_f16 v69, v65, v81, v69 op_sel:[0,1,0]
	v_pk_fma_f16 v70, v66, v81, v70 op_sel_hi:[1,0,1]
	v_pk_fma_f16 v87, v66, v81, v87 op_sel:[0,1,0]
	v_pk_fma_f16 v85, v67, v81, v85 op_sel_hi:[1,0,1]
	;; [unrolled: 2-line block ×4, first 2 shown]
	ds_load_2addr_b64 v[64:67], v71 offset0:64 offset1:96
	s_waitcnt lgkmcnt(0)
	v_pk_fma_f16 v69, v65, v82, v69 op_sel:[0,1,0]
	v_pk_fma_f16 v70, v66, v82, v70 op_sel_hi:[1,0,1]
	v_pk_fma_f16 v81, v66, v82, v87 op_sel:[0,1,0]
	v_pk_fma_f16 v85, v67, v82, v85 op_sel_hi:[1,0,1]
	;; [unrolled: 2-line block ×4, first 2 shown]
	ds_load_2addr_b64 v[64:67], v71 offset0:128 offset1:160
	s_waitcnt lgkmcnt(0)
	v_pk_fma_f16 v70, v66, v83, v70 op_sel_hi:[1,0,1]
	v_pk_fma_f16 v66, v66, v83, v81 op_sel:[0,1,0]
	v_pk_fma_f16 v81, v67, v83, v85 op_sel_hi:[1,0,1]
	v_pk_fma_f16 v82, v67, v83, v87 op_sel:[0,1,0]
	v_pk_fma_f16 v89, v64, v83, v86 op_sel_hi:[1,0,1]
	v_pk_fma_f16 v90, v64, v83, v88 op_sel:[0,1,0]
	ds_load_2addr_b64 v[85:88], v71 offset0:192 offset1:224
	s_waitcnt lgkmcnt(0)
	s_barrier
	buffer_gl0_inv
	s_load_b32 s2, s[8:9], 0x4
	v_pk_fma_f16 v69, v65, v83, v69 op_sel:[0,1,0]
	v_pk_fma_f16 v83, v65, v83, v68 op_sel_hi:[1,0,1]
	s_delay_alu instid0(VALU_DEP_2)
	v_pk_fma_f16 v67, v86, v84, v69 op_sel:[0,1,0]
	v_pk_fma_f16 v69, v87, v84, v70 op_sel_hi:[1,0,1]
	v_pk_fma_f16 v65, v87, v84, v66 op_sel:[0,1,0]
	v_pk_fma_f16 v71, v88, v84, v81 op_sel_hi:[1,0,1]
	s_waitcnt lgkmcnt(0)
	s_lshl_b32 s2, s2, 5
	v_pk_fma_f16 v64, v88, v84, v82 op_sel:[0,1,0]
	v_pk_fma_f16 v68, v85, v84, v89 op_sel_hi:[1,0,1]
	v_pk_fma_f16 v66, v85, v84, v90 op_sel:[0,1,0]
	v_pk_fma_f16 v70, v86, v84, v83 op_sel_hi:[1,0,1]
	s_add_i32 s5, s2, s5
	s_delay_alu instid0(SALU_CYCLE_1)
	s_cmp_ge_i32 s5, s34
	s_cbranch_scc1 .LBB67_19
; %bb.18:                               ;   in Loop: Header=BB67_9 Depth=1
	v_mov_b32_e32 v72, v35
	v_dual_mov_b32 v74, v36 :: v_dual_mov_b32 v63, v79
	s_branch .LBB67_9
.LBB67_19:
	v_mov_b32_e32 v3, v38
.LBB67_20:
	v_cmp_lt_i32_e32 vcc_lo, v78, v39
	s_cmp_lg_u64 s[24:25], 0
	s_cselect_b32 s2, -1, 0
	s_cmp_eq_u32 s14, 0
	v_cndmask_b32_e32 v2, v3, v78, vcc_lo
	v_cmp_lt_i32_e32 vcc_lo, v73, v39
	s_cselect_b32 s3, -1, 0
	s_delay_alu instid0(SALU_CYCLE_1) | instskip(SKIP_2) | instid1(VALU_DEP_2)
	s_and_b32 s2, s3, s2
	v_cndmask_b32_e32 v5, v3, v73, vcc_lo
	v_cmp_lt_i32_e32 vcc_lo, v75, v39
	v_lshlrev_b32_e32 v5, 2, v5
	v_dual_cndmask_b32 v7, v3, v75 :: v_dual_lshlrev_b32 v2, 2, v2
	v_cmp_lt_i32_e32 vcc_lo, v76, v39
	ds_bpermute_b32 v4, v2, v42
	ds_bpermute_b32 v2, v2, v79
	s_waitcnt lgkmcnt(1)
	v_dual_add_f32 v4, v42, v4 :: v_dual_lshlrev_b32 v7, 2, v7
	s_waitcnt lgkmcnt(0)
	v_add_f32_e32 v2, v79, v2
	ds_bpermute_b32 v6, v5, v4
	ds_bpermute_b32 v5, v5, v2
	s_waitcnt lgkmcnt(1)
	v_add_f32_e32 v4, v4, v6
	s_waitcnt lgkmcnt(0)
	v_add_f32_e32 v2, v2, v5
	ds_bpermute_b32 v5, v7, v4
	ds_bpermute_b32 v6, v7, v2
	v_cndmask_b32_e32 v7, v3, v76, vcc_lo
	v_cmp_lt_i32_e32 vcc_lo, v77, v39
	s_delay_alu instid0(VALU_DEP_2) | instskip(SKIP_3) | instid1(VALU_DEP_1)
	v_lshlrev_b32_e32 v7, 2, v7
	v_cndmask_b32_e32 v3, v3, v77, vcc_lo
	s_and_b32 vcc_lo, exec_lo, s2
	s_waitcnt lgkmcnt(1)
	v_dual_add_f32 v4, v4, v5 :: v_dual_lshlrev_b32 v3, 2, v3
	s_waitcnt lgkmcnt(0)
	v_add_f32_e32 v2, v2, v6
	ds_bpermute_b32 v5, v7, v4
	ds_bpermute_b32 v6, v7, v2
	s_waitcnt lgkmcnt(0)
	v_dual_add_f32 v4, v4, v5 :: v_dual_add_f32 v5, v2, v6
	ds_bpermute_b32 v2, v3, v4
	ds_bpermute_b32 v3, v3, v5
	s_waitcnt lgkmcnt(0)
	v_dual_add_f32 v2, v4, v2 :: v_dual_add_f32 v3, v5, v3
	s_cbranch_vccz .LBB67_23
; %bb.21:
	s_ashr_i32 s13, s12, 31
	v_mov_b32_e32 v4, 0
	s_lshl_b64 s[2:3], s[12:13], 2
	s_delay_alu instid0(SALU_CYCLE_1)
	s_add_u32 s2, s24, s2
	s_addc_u32 s3, s25, s3
	global_load_b64 v[4:5], v4, s[2:3]
	v_max_f32_e32 v6, v35, v35
	v_max_f32_e32 v8, v36, v36
	s_waitcnt vmcnt(0)
	v_max_f32_e32 v7, v4, v4
	s_delay_alu instid0(VALU_DEP_1) | instskip(NEXT) | instid1(VALU_DEP_1)
	v_dual_max_f32 v9, v5, v5 :: v_dual_max_f32 v6, v6, v7
	v_dual_max_f32 v7, v8, v9 :: v_dual_sub_f32 v8, v35, v6
	s_delay_alu instid0(VALU_DEP_1) | instskip(SKIP_2) | instid1(VALU_DEP_4)
	v_sub_f32_e32 v9, v36, v7
	v_dual_sub_f32 v5, v5, v7 :: v_dual_sub_f32 v4, v4, v6
	v_mov_b32_e32 v36, v7
	v_cmp_ngt_f32_e32 vcc_lo, 0xc2ce8ed0, v8
	s_delay_alu instid0(VALU_DEP_4) | instskip(NEXT) | instid1(VALU_DEP_4)
	v_mul_f32_e32 v12, 0x3fb8aa3b, v9
	v_mul_f32_e32 v13, 0x3fb8aa3b, v5
	;; [unrolled: 1-line block ×3, first 2 shown]
	v_mov_b32_e32 v35, v6
	s_delay_alu instid0(VALU_DEP_4) | instskip(NEXT) | instid1(VALU_DEP_4)
	v_fma_f32 v18, 0x3fb8aa3b, v9, -v12
	v_fma_f32 v20, 0x3fb8aa3b, v5, -v13
	s_delay_alu instid0(VALU_DEP_4)
	v_rndne_f32_e32 v17, v11
	v_mul_f32_e32 v10, 0x3fb8aa3b, v8
	v_fma_f32 v16, 0x3fb8aa3b, v4, -v11
	v_rndne_f32_e32 v21, v13
	v_fmac_f32_e32 v20, 0x32a5705f, v5
	v_sub_f32_e32 v11, v11, v17
	v_fma_f32 v14, 0x3fb8aa3b, v8, -v10
	v_rndne_f32_e32 v15, v10
	v_sub_f32_e32 v13, v13, v21
	v_fmac_f32_e32 v18, 0x32a5705f, v9
	v_fmac_f32_e32 v16, 0x32a5705f, v4
	;; [unrolled: 1-line block ×3, first 2 shown]
	s_delay_alu instid0(VALU_DEP_4) | instskip(SKIP_1) | instid1(VALU_DEP_2)
	v_dual_sub_f32 v10, v10, v15 :: v_dual_add_f32 v13, v13, v20
	v_rndne_f32_e32 v19, v12
	v_dual_add_f32 v11, v11, v16 :: v_dual_add_f32 v10, v10, v14
	s_delay_alu instid0(VALU_DEP_3)
	v_exp_f32_e32 v13, v13
	v_cvt_i32_f32_e32 v14, v15
	v_cvt_i32_f32_e32 v15, v17
	;; [unrolled: 1-line block ×3, first 2 shown]
	v_exp_f32_e32 v10, v10
	v_exp_f32_e32 v11, v11
	v_cvt_i32_f32_e32 v16, v19
	s_delay_alu instid0(TRANS32_DEP_3) | instid1(VALU_DEP_2)
	v_ldexp_f32 v13, v13, v17
	v_sub_f32_e32 v12, v12, v19
	s_waitcnt_depctr 0xfff
	v_ldexp_f32 v10, v10, v14
	v_ldexp_f32 v11, v11, v15
	v_add_f32_e32 v12, v12, v18
	s_delay_alu instid0(VALU_DEP_3) | instskip(SKIP_1) | instid1(VALU_DEP_3)
	v_cndmask_b32_e32 v10, 0, v10, vcc_lo
	v_cmp_ngt_f32_e32 vcc_lo, 0xc2ce8ed0, v4
	v_exp_f32_e32 v12, v12
	v_cndmask_b32_e32 v11, 0, v11, vcc_lo
	v_cmp_ngt_f32_e32 vcc_lo, 0xc2ce8ed0, v9
	s_waitcnt_depctr 0xfff
	v_ldexp_f32 v12, v12, v16
	s_delay_alu instid0(VALU_DEP_1)
	v_cndmask_b32_e32 v12, 0, v12, vcc_lo
	v_cmp_ngt_f32_e32 vcc_lo, 0xc2ce8ed0, v5
	v_cndmask_b32_e32 v13, 0, v13, vcc_lo
	v_cmp_nlt_f32_e32 vcc_lo, 0x42b17218, v8
	v_cndmask_b32_e32 v8, 0x7f800000, v10, vcc_lo
	v_cmp_nlt_f32_e32 vcc_lo, 0x42b17218, v4
	s_delay_alu instid0(VALU_DEP_2) | instskip(SKIP_2) | instid1(VALU_DEP_3)
	v_cvt_f16_f32_e32 v10, v8
	v_cndmask_b32_e32 v4, 0x7f800000, v11, vcc_lo
	v_cmp_nlt_f32_e32 vcc_lo, 0x42b17218, v9
	v_pk_mul_f16 v68, v10, v68 op_sel_hi:[0,1]
	s_delay_alu instid0(VALU_DEP_3)
	v_fmac_f32_e32 v4, v2, v8
	v_cndmask_b32_e32 v9, 0x7f800000, v12, vcc_lo
	v_cmp_nlt_f32_e32 vcc_lo, 0x42b17218, v5
	v_pk_mul_f16 v70, v10, v70 op_sel_hi:[0,1]
	v_pk_mul_f16 v69, v10, v69 op_sel_hi:[0,1]
	;; [unrolled: 1-line block ×3, first 2 shown]
	v_cvt_f16_f32_e32 v2, v9
	v_cndmask_b32_e32 v5, 0x7f800000, v13, vcc_lo
	s_delay_alu instid0(VALU_DEP_2) | instskip(NEXT) | instid1(VALU_DEP_2)
	v_pk_mul_f16 v66, v2, v66 op_sel_hi:[0,1]
	v_fmac_f32_e32 v5, v3, v9
	v_pk_mul_f16 v67, v2, v67 op_sel_hi:[0,1]
	v_pk_mul_f16 v65, v2, v65 op_sel_hi:[0,1]
	;; [unrolled: 1-line block ×3, first 2 shown]
	s_delay_alu instid0(VALU_DEP_4)
	v_dual_mov_b32 v2, v4 :: v_dual_mov_b32 v3, v5
	s_mov_b32 s2, exec_lo
	v_cmpx_gt_i32_e64 s6, v1
	s_cbranch_execnz .LBB67_24
.LBB67_22:
	s_nop 0
	s_sendmsg sendmsg(MSG_DEALLOC_VGPRS)
	s_endpgm
.LBB67_23:
	s_delay_alu instid0(VALU_DEP_1)
	v_dual_mov_b32 v5, v3 :: v_dual_mov_b32 v4, v2
	s_mov_b32 s2, exec_lo
	v_cmpx_gt_i32_e64 s6, v1
	s_cbranch_execz .LBB67_22
.LBB67_24:
	s_load_b32 s1, s[0:1], 0xd4
	v_mov_b32_e32 v6, 1.0
	s_waitcnt lgkmcnt(0)
	s_cmp_lg_u32 s1, 1
	s_cselect_b32 s3, -1, 0
	s_cmp_eq_u32 s1, 1
	s_cselect_b32 s2, -1, 0
	s_and_b32 vcc_lo, exec_lo, s3
	s_cbranch_vccnz .LBB67_26
; %bb.25:
	v_div_scale_f32 v6, null, v2, v2, 1.0
	s_delay_alu instid0(VALU_DEP_1) | instskip(SKIP_2) | instid1(VALU_DEP_1)
	v_rcp_f32_e32 v7, v6
	s_waitcnt_depctr 0xfff
	v_fma_f32 v8, -v6, v7, 1.0
	v_fmac_f32_e32 v7, v8, v7
	v_div_scale_f32 v8, vcc_lo, 1.0, v2, 1.0
	s_delay_alu instid0(VALU_DEP_1) | instskip(NEXT) | instid1(VALU_DEP_1)
	v_mul_f32_e32 v9, v8, v7
	v_fma_f32 v10, -v6, v9, v8
	s_delay_alu instid0(VALU_DEP_1) | instskip(NEXT) | instid1(VALU_DEP_1)
	v_fmac_f32_e32 v9, v10, v7
	v_fma_f32 v6, -v6, v9, v8
	s_delay_alu instid0(VALU_DEP_1) | instskip(NEXT) | instid1(VALU_DEP_1)
	v_div_fmas_f32 v6, v6, v7, v9
	v_div_fixup_f32 v6, v6, v2, 1.0
.LBB67_26:
	v_mad_u64_u32 v[7:8], null, s33, s6, v[1:2]
	v_cmp_eq_u32_e32 vcc_lo, 0, v0
	v_lshrrev_b32_e32 v10, 16, v68
	v_cvt_f32_f16_e32 v11, v68
	v_cvt_f32_f16_e32 v15, v69
	v_lshrrev_b32_e32 v12, 16, v71
	v_lshrrev_b32_e32 v14, 16, v69
	v_mad_u64_u32 v[8:9], null, v7, s7, s[12:13]
	v_lshrrev_b32_e32 v7, 16, v70
	v_cvt_f32_f16_e32 v9, v70
	v_mov_b32_e32 v2, 0
	v_cvt_f32_f16_e32 v18, v10
	v_cvt_f32_f16_e32 v12, v12
	;; [unrolled: 1-line block ×3, first 2 shown]
	v_mul_f32_e32 v9, v6, v9
	v_mad_u64_u32 v[0:1], null, s1, v8, s[14:15]
	v_cvt_f32_f16_e32 v8, v71
	v_mul_f32_e32 v7, v6, v11
	v_mul_f32_e32 v11, v6, v15
	v_cvt_f32_f16_e32 v19, v14
	v_mul_f32_e32 v10, v6, v17
	v_mul_f32_e32 v13, v6, v8
	v_lshl_add_u32 v1, v0, 8, v37
	v_mul_f32_e32 v14, v6, v12
	v_mul_f32_e32 v12, v6, v19
	;; [unrolled: 1-line block ×3, first 2 shown]
	s_delay_alu instid0(VALU_DEP_4) | instskip(SKIP_1) | instid1(VALU_DEP_1)
	v_lshlrev_b64 v[15:16], 2, v[1:2]
	v_add_nc_u32_e32 v1, 0x80, v1
	v_lshlrev_b64 v[1:2], 2, v[1:2]
	s_delay_alu instid0(VALU_DEP_3) | instskip(NEXT) | instid1(VALU_DEP_1)
	v_add_co_u32 v15, s0, s28, v15
	v_add_co_ci_u32_e64 v16, s0, s29, v16, s0
	s_delay_alu instid0(VALU_DEP_3) | instskip(NEXT) | instid1(VALU_DEP_1)
	v_add_co_u32 v1, s0, s28, v1
	v_add_co_ci_u32_e64 v2, s0, s29, v2, s0
	s_and_b32 s0, vcc_lo, s3
	s_clause 0x1
	global_store_b128 v[15:16], v[7:10], off
	global_store_b128 v[1:2], v[11:14], off
	s_and_saveexec_b32 s3, s0
	s_cbranch_execz .LBB67_28
; %bb.27:
	v_ashrrev_i32_e32 v1, 31, v0
	v_dual_mov_b32 v6, v35 :: v_dual_mov_b32 v7, v4
	s_delay_alu instid0(VALU_DEP_2) | instskip(NEXT) | instid1(VALU_DEP_1)
	v_lshlrev_b64 v[1:2], 3, v[0:1]
	v_add_co_u32 v1, vcc_lo, s30, v1
	s_delay_alu instid0(VALU_DEP_2)
	v_add_co_ci_u32_e32 v2, vcc_lo, s31, v2, vcc_lo
	global_store_b64 v[1:2], v[6:7], off
.LBB67_28:
	s_or_b32 exec_lo, exec_lo, s3
	v_mov_b32_e32 v1, 1.0
	s_and_not1_b32 vcc_lo, exec_lo, s2
	s_cbranch_vccnz .LBB67_30
; %bb.29:
	v_div_scale_f32 v1, null, v3, v3, 1.0
	s_delay_alu instid0(VALU_DEP_1) | instskip(SKIP_2) | instid1(VALU_DEP_1)
	v_rcp_f32_e32 v2, v1
	s_waitcnt_depctr 0xfff
	v_fma_f32 v4, -v1, v2, 1.0
	v_fmac_f32_e32 v2, v4, v2
	v_div_scale_f32 v4, vcc_lo, 1.0, v3, 1.0
	s_delay_alu instid0(VALU_DEP_1) | instskip(NEXT) | instid1(VALU_DEP_1)
	v_mul_f32_e32 v6, v4, v2
	v_fma_f32 v7, -v1, v6, v4
	s_delay_alu instid0(VALU_DEP_1) | instskip(NEXT) | instid1(VALU_DEP_1)
	v_fmac_f32_e32 v6, v7, v2
	v_fma_f32 v1, -v1, v6, v4
	s_delay_alu instid0(VALU_DEP_1) | instskip(NEXT) | instid1(VALU_DEP_1)
	v_div_fmas_f32 v1, v1, v2, v6
	v_div_fixup_f32 v1, v1, v3, 1.0
.LBB67_30:
	v_lshrrev_b32_e32 v2, 16, v67
	v_dual_mov_b32 v3, 0 :: v_dual_add_nc_u32 v0, s1, v0
	v_lshrrev_b32_e32 v4, 16, v66
	v_cvt_f32_f16_e32 v6, v67
	s_delay_alu instid0(VALU_DEP_4) | instskip(NEXT) | instid1(VALU_DEP_4)
	v_cvt_f32_f16_e32 v7, v2
	v_lshl_add_u32 v2, v0, 8, v37
	v_cvt_f32_f16_e32 v12, v66
	v_cvt_f32_f16_e32 v4, v4
	v_mul_f32_e32 v8, v1, v6
	v_mul_f32_e32 v9, v1, v7
	v_lshlrev_b64 v[10:11], 2, v[2:3]
	v_add_nc_u32_e32 v2, 0x80, v2
	v_mul_f32_e32 v6, v1, v12
	v_lshrrev_b32_e32 v12, 16, v65
	v_mul_f32_e32 v7, v1, v4
	v_lshrrev_b32_e32 v4, 16, v64
	v_add_co_u32 v10, vcc_lo, s28, v10
	s_delay_alu instid0(VALU_DEP_4) | instskip(SKIP_1) | instid1(VALU_DEP_4)
	v_cvt_f32_f16_e32 v15, v12
	v_lshlrev_b64 v[12:13], 2, v[2:3]
	v_cvt_f32_f16_e32 v4, v4
	v_cvt_f32_f16_e32 v14, v64
	;; [unrolled: 1-line block ×3, first 2 shown]
	v_add_co_ci_u32_e32 v11, vcc_lo, s29, v11, vcc_lo
	v_add_co_u32 v12, vcc_lo, s28, v12
	v_mul_f32_e32 v4, v1, v4
	v_mul_f32_e32 v3, v1, v14
	;; [unrolled: 1-line block ×4, first 2 shown]
	v_add_co_ci_u32_e32 v13, vcc_lo, s29, v13, vcc_lo
	s_clause 0x1
	global_store_b128 v[10:11], v[6:9], off
	global_store_b128 v[12:13], v[1:4], off
	s_and_b32 exec_lo, exec_lo, s0
	s_cbranch_execz .LBB67_22
; %bb.31:
	v_ashrrev_i32_e32 v1, 31, v0
	v_mov_b32_e32 v4, v36
	s_delay_alu instid0(VALU_DEP_2) | instskip(NEXT) | instid1(VALU_DEP_1)
	v_lshlrev_b64 v[0:1], 3, v[0:1]
	v_add_co_u32 v0, vcc_lo, s30, v0
	s_delay_alu instid0(VALU_DEP_2)
	v_add_co_ci_u32_e32 v1, vcc_lo, s31, v1, vcc_lo
	global_store_b64 v[0:1], v[4:5], off
	s_nop 0
	s_sendmsg sendmsg(MSG_DEALLOC_VGPRS)
	s_endpgm
	.section	.rodata,"a",@progbits
	.p2align	6, 0x0
	.amdhsa_kernel _ZL15flash_attn_tileILi256ELi256ELi4ELi2ELb1EEvPKcS1_S1_S1_S1_PKiPfP15HIP_vector_typeIfLj2EEffffjfiS5_IjLj3EEiiiiiiiiiiiliiliiiiil
		.amdhsa_group_segment_fixed_size 21504
		.amdhsa_private_segment_fixed_size 0
		.amdhsa_kernarg_size 464
		.amdhsa_user_sgpr_count 13
		.amdhsa_user_sgpr_dispatch_ptr 0
		.amdhsa_user_sgpr_queue_ptr 0
		.amdhsa_user_sgpr_kernarg_segment_ptr 1
		.amdhsa_user_sgpr_dispatch_id 0
		.amdhsa_user_sgpr_private_segment_size 0
		.amdhsa_wavefront_size32 1
		.amdhsa_uses_dynamic_stack 0
		.amdhsa_enable_private_segment 0
		.amdhsa_system_sgpr_workgroup_id_x 1
		.amdhsa_system_sgpr_workgroup_id_y 1
		.amdhsa_system_sgpr_workgroup_id_z 1
		.amdhsa_system_sgpr_workgroup_info 0
		.amdhsa_system_vgpr_workitem_id 1
		.amdhsa_next_free_vgpr 107
		.amdhsa_next_free_sgpr 42
		.amdhsa_reserve_vcc 1
		.amdhsa_float_round_mode_32 0
		.amdhsa_float_round_mode_16_64 0
		.amdhsa_float_denorm_mode_32 3
		.amdhsa_float_denorm_mode_16_64 3
		.amdhsa_dx10_clamp 1
		.amdhsa_ieee_mode 1
		.amdhsa_fp16_overflow 0
		.amdhsa_workgroup_processor_mode 1
		.amdhsa_memory_ordered 1
		.amdhsa_forward_progress 0
		.amdhsa_shared_vgpr_count 0
		.amdhsa_exception_fp_ieee_invalid_op 0
		.amdhsa_exception_fp_denorm_src 0
		.amdhsa_exception_fp_ieee_div_zero 0
		.amdhsa_exception_fp_ieee_overflow 0
		.amdhsa_exception_fp_ieee_underflow 0
		.amdhsa_exception_fp_ieee_inexact 0
		.amdhsa_exception_int_div_zero 0
	.end_amdhsa_kernel
	.section	.text._ZL15flash_attn_tileILi256ELi256ELi4ELi2ELb1EEvPKcS1_S1_S1_S1_PKiPfP15HIP_vector_typeIfLj2EEffffjfiS5_IjLj3EEiiiiiiiiiiiliiliiiiil,"axG",@progbits,_ZL15flash_attn_tileILi256ELi256ELi4ELi2ELb1EEvPKcS1_S1_S1_S1_PKiPfP15HIP_vector_typeIfLj2EEffffjfiS5_IjLj3EEiiiiiiiiiiiliiliiiiil,comdat
.Lfunc_end67:
	.size	_ZL15flash_attn_tileILi256ELi256ELi4ELi2ELb1EEvPKcS1_S1_S1_S1_PKiPfP15HIP_vector_typeIfLj2EEffffjfiS5_IjLj3EEiiiiiiiiiiiliiliiiiil, .Lfunc_end67-_ZL15flash_attn_tileILi256ELi256ELi4ELi2ELb1EEvPKcS1_S1_S1_S1_PKiPfP15HIP_vector_typeIfLj2EEffffjfiS5_IjLj3EEiiiiiiiiiiiliiliiiiil
                                        ; -- End function
	.section	.AMDGPU.csdata,"",@progbits
; Kernel info:
; codeLenInByte = 14764
; NumSgprs: 44
; NumVgprs: 107
; ScratchSize: 0
; MemoryBound: 0
; FloatMode: 240
; IeeeMode: 1
; LDSByteSize: 21504 bytes/workgroup (compile time only)
; SGPRBlocks: 5
; VGPRBlocks: 13
; NumSGPRsForWavesPerEU: 44
; NumVGPRsForWavesPerEU: 107
; Occupancy: 6
; WaveLimiterHint : 1
; COMPUTE_PGM_RSRC2:SCRATCH_EN: 0
; COMPUTE_PGM_RSRC2:USER_SGPR: 13
; COMPUTE_PGM_RSRC2:TRAP_HANDLER: 0
; COMPUTE_PGM_RSRC2:TGID_X_EN: 1
; COMPUTE_PGM_RSRC2:TGID_Y_EN: 1
; COMPUTE_PGM_RSRC2:TGID_Z_EN: 1
; COMPUTE_PGM_RSRC2:TIDIG_COMP_CNT: 1
	.section	.text._ZL15flash_attn_tileILi256ELi256ELi2ELi2ELb1EEvPKcS1_S1_S1_S1_PKiPfP15HIP_vector_typeIfLj2EEffffjfiS5_IjLj3EEiiiiiiiiiiiliiliiiiil,"axG",@progbits,_ZL15flash_attn_tileILi256ELi256ELi2ELi2ELb1EEvPKcS1_S1_S1_S1_PKiPfP15HIP_vector_typeIfLj2EEffffjfiS5_IjLj3EEiiiiiiiiiiiliiliiiiil,comdat
	.globl	_ZL15flash_attn_tileILi256ELi256ELi2ELi2ELb1EEvPKcS1_S1_S1_S1_PKiPfP15HIP_vector_typeIfLj2EEffffjfiS5_IjLj3EEiiiiiiiiiiiliiliiiiil ; -- Begin function _ZL15flash_attn_tileILi256ELi256ELi2ELi2ELb1EEvPKcS1_S1_S1_S1_PKiPfP15HIP_vector_typeIfLj2EEffffjfiS5_IjLj3EEiiiiiiiiiiiliiliiiiil
	.p2align	8
	.type	_ZL15flash_attn_tileILi256ELi256ELi2ELi2ELb1EEvPKcS1_S1_S1_S1_PKiPfP15HIP_vector_typeIfLj2EEffffjfiS5_IjLj3EEiiiiiiiiiiiliiliiiiil,@function
_ZL15flash_attn_tileILi256ELi256ELi2ELi2ELb1EEvPKcS1_S1_S1_S1_PKiPfP15HIP_vector_typeIfLj2EEffffjfiS5_IjLj3EEiiiiiiiiiiiliiliiiiil: ; @_ZL15flash_attn_tileILi256ELi256ELi2ELi2ELb1EEvPKcS1_S1_S1_S1_PKiPfP15HIP_vector_typeIfLj2EEffffjfiS5_IjLj3EEiiiiiiiiiiiliiliiiiil
; %bb.0:
	s_clause 0x1
	s_load_b128 s[4:7], s[0:1], 0x5c
	s_load_b64 s[2:3], s[0:1], 0x80
	s_mov_b64 s[34:35], 0
	s_waitcnt lgkmcnt(0)
	s_lshr_b32 s8, s7, 31
	s_delay_alu instid0(SALU_CYCLE_1) | instskip(NEXT) | instid1(SALU_CYCLE_1)
	s_add_i32 s8, s7, s8
	s_ashr_i32 s8, s8, 1
	s_delay_alu instid0(SALU_CYCLE_1) | instskip(SKIP_1) | instid1(VALU_DEP_1)
	v_cvt_f32_u32_e32 v1, s8
	s_sub_i32 s10, 0, s8
	v_rcp_iflag_f32_e32 v1, v1
	s_waitcnt_depctr 0xfff
	v_mul_f32_e32 v1, 0x4f7ffffe, v1
	s_delay_alu instid0(VALU_DEP_1) | instskip(NEXT) | instid1(VALU_DEP_1)
	v_cvt_u32_f32_e32 v1, v1
	v_readfirstlane_b32 s9, v1
	s_delay_alu instid0(VALU_DEP_1) | instskip(NEXT) | instid1(SALU_CYCLE_1)
	s_mul_i32 s10, s10, s9
	s_mul_hi_u32 s10, s9, s10
	s_delay_alu instid0(SALU_CYCLE_1) | instskip(NEXT) | instid1(SALU_CYCLE_1)
	s_add_i32 s9, s9, s10
	s_mul_hi_u32 s9, s15, s9
	s_delay_alu instid0(SALU_CYCLE_1) | instskip(SKIP_2) | instid1(SALU_CYCLE_1)
	s_mul_i32 s10, s9, s8
	s_add_i32 s11, s9, 1
	s_sub_i32 s10, s15, s10
	s_sub_i32 s12, s10, s8
	s_cmp_ge_u32 s10, s8
	s_cselect_b32 s9, s11, s9
	s_cselect_b32 s10, s12, s10
	s_add_i32 s11, s9, 1
	s_cmp_ge_u32 s10, s8
	s_cselect_b32 s12, s11, s9
	s_abs_i32 s8, s3
	s_abs_i32 s16, s7
	v_cvt_f32_u32_e32 v1, s8
	s_sub_i32 s10, 0, s8
	s_lshl_b32 s11, s15, 1
	s_mul_i32 s15, s12, s7
	s_xor_b32 s3, s7, s3
	v_rcp_iflag_f32_e32 v1, v1
	s_sub_i32 s15, s11, s15
	s_ashr_i32 s3, s3, 31
	s_waitcnt_depctr 0xfff
	v_mul_f32_e32 v1, 0x4f7ffffe, v1
	s_delay_alu instid0(VALU_DEP_1) | instskip(NEXT) | instid1(VALU_DEP_1)
	v_cvt_u32_f32_e32 v1, v1
	v_readfirstlane_b32 s9, v1
	s_delay_alu instid0(VALU_DEP_1) | instskip(NEXT) | instid1(SALU_CYCLE_1)
	s_mul_i32 s10, s10, s9
	s_mul_hi_u32 s10, s9, s10
	s_delay_alu instid0(SALU_CYCLE_1) | instskip(NEXT) | instid1(SALU_CYCLE_1)
	s_add_i32 s9, s9, s10
	s_mul_hi_u32 s9, s16, s9
	s_delay_alu instid0(SALU_CYCLE_1) | instskip(SKIP_2) | instid1(SALU_CYCLE_1)
	s_mul_i32 s10, s9, s8
	s_add_i32 s11, s9, 1
	s_sub_i32 s10, s16, s10
	s_sub_i32 s16, s10, s8
	s_cmp_ge_u32 s10, s8
	s_cselect_b32 s9, s11, s9
	s_cselect_b32 s10, s16, s10
	s_add_i32 s11, s9, 1
	s_cmp_ge_u32 s10, s8
	s_clause 0x1
	s_load_b512 s[16:31], s[0:1], 0x0
	s_load_b64 s[36:37], s[0:1], 0xb8
	s_cselect_b32 s8, s11, s9
	s_delay_alu instid0(SALU_CYCLE_1) | instskip(NEXT) | instid1(SALU_CYCLE_1)
	s_xor_b32 s8, s8, s3
	s_sub_i32 s38, s8, s3
	s_delay_alu instid0(SALU_CYCLE_1) | instskip(NEXT) | instid1(SALU_CYCLE_1)
	s_abs_i32 s33, s38
	v_cvt_f32_u32_e32 v1, s33
	s_delay_alu instid0(VALU_DEP_1) | instskip(SKIP_4) | instid1(VALU_DEP_1)
	v_rcp_iflag_f32_e32 v1, v1
	s_waitcnt lgkmcnt(0)
	s_cmp_eq_u64 s[22:23], 0
	s_waitcnt_depctr 0xfff
	v_mul_f32_e32 v1, 0x4f7ffffe, v1
	v_cvt_u32_f32_e32 v1, v1
	s_delay_alu instid0(VALU_DEP_1)
	v_readfirstlane_b32 s39, v1
	s_cbranch_scc1 .LBB68_2
; %bb.1:
	s_abs_i32 s3, s36
	s_abs_i32 s10, s12
	v_cvt_f32_u32_e32 v1, s3
	s_sub_i32 s9, 0, s3
	s_delay_alu instid0(VALU_DEP_1) | instskip(SKIP_2) | instid1(VALU_DEP_1)
	v_rcp_iflag_f32_e32 v1, v1
	s_waitcnt_depctr 0xfff
	v_mul_f32_e32 v1, 0x4f7ffffe, v1
	v_cvt_u32_f32_e32 v1, v1
	s_delay_alu instid0(VALU_DEP_1) | instskip(NEXT) | instid1(VALU_DEP_1)
	v_readfirstlane_b32 s8, v1
	s_mul_i32 s9, s9, s8
	s_delay_alu instid0(SALU_CYCLE_1) | instskip(NEXT) | instid1(SALU_CYCLE_1)
	s_mul_hi_u32 s9, s8, s9
	s_add_i32 s11, s8, s9
	s_load_b64 s[8:9], s[0:1], 0xc8
	s_mul_hi_u32 s11, s10, s11
	s_delay_alu instid0(SALU_CYCLE_1) | instskip(NEXT) | instid1(SALU_CYCLE_1)
	s_mul_i32 s11, s11, s3
	s_sub_i32 s10, s10, s11
	s_ashr_i32 s11, s12, 31
	s_sub_i32 s34, s10, s3
	s_cmp_ge_u32 s10, s3
	s_cselect_b32 s10, s34, s10
	s_delay_alu instid0(SALU_CYCLE_1) | instskip(SKIP_2) | instid1(SALU_CYCLE_1)
	s_sub_i32 s34, s10, s3
	s_cmp_ge_u32 s10, s3
	s_cselect_b32 s3, s34, s10
	s_xor_b32 s3, s3, s11
	s_delay_alu instid0(SALU_CYCLE_1)
	s_sub_i32 s3, s3, s11
	s_waitcnt lgkmcnt(0)
	s_mul_i32 s9, s3, s9
	s_mul_hi_u32 s10, s3, s8
	s_ashr_i32 s11, s3, 31
	s_add_i32 s9, s10, s9
	s_mul_i32 s11, s11, s8
	s_mul_i32 s3, s3, s8
	s_add_i32 s9, s9, s11
	s_add_u32 s34, s22, s3
	s_addc_u32 s35, s23, s9
.LBB68_2:
	v_bfe_u32 v2, v0, 10, 10
	s_load_b128 s[8:11], s[0:1], 0x70
	v_and_b32_e32 v0, 0x3ff, v0
	s_delay_alu instid0(VALU_DEP_2) | instskip(SKIP_1) | instid1(VALU_DEP_3)
	v_lshrrev_b32_e32 v1, 1, v2
	v_and_b32_e32 v37, 1, v2
	v_lshlrev_b32_e32 v13, 1, v0
	s_delay_alu instid0(VALU_DEP_3) | instskip(NEXT) | instid1(VALU_DEP_1)
	v_lshl_add_u32 v1, s13, 1, v1
	v_mul_hi_u32 v3, s4, v1
	s_waitcnt lgkmcnt(0)
	s_mul_i32 s3, s12, s10
	s_mul_i32 s4, s15, s9
	s_delay_alu instid0(VALU_DEP_1) | instskip(NEXT) | instid1(VALU_DEP_1)
	v_add_nc_u32_e32 v3, v1, v3
	v_lshrrev_b32_e32 v3, s5, v3
	s_ashr_i32 s5, s3, 31
	s_add_u32 s3, s16, s3
	s_addc_u32 s5, s17, s5
	s_ashr_i32 s10, s4, 31
	v_mul_lo_u32 v3, v3, s6
	s_add_u32 s3, s3, s4
	s_addc_u32 s4, s5, s10
	s_ashr_i32 s5, s8, 31
	s_delay_alu instid0(SALU_CYCLE_1) | instskip(SKIP_2) | instid1(VALU_DEP_2)
	v_alignbit_b32 v7, s5, s8, 2
	s_ashr_i32 s8, s9, 31
	s_lshr_b32 s5, s5, 2
	v_sub_nc_u32_e32 v4, v1, v3
	v_alignbit_b32 v9, s8, s9, 2
	s_lshr_b32 s10, s8, 2
	s_cmp_eq_u64 s[26:27], 0
	v_mul_lo_u32 v8, s10, v37
	v_mad_u64_u32 v[5:6], null, v7, v4, 0
	s_delay_alu instid0(VALU_DEP_1) | instskip(NEXT) | instid1(VALU_DEP_1)
	v_mov_b32_e32 v3, v6
	v_mad_u64_u32 v[6:7], null, s5, v4, v[3:4]
	v_mul_lo_u32 v7, v9, v37
	s_delay_alu instid0(VALU_DEP_2) | instskip(NEXT) | instid1(VALU_DEP_2)
	v_lshlrev_b64 v[5:6], 2, v[5:6]
	v_lshlrev_b64 v[7:8], 2, v[7:8]
	s_delay_alu instid0(VALU_DEP_1) | instskip(NEXT) | instid1(VALU_DEP_2)
	v_add_co_u32 v3, vcc_lo, s3, v7
	v_add_co_ci_u32_e32 v7, vcc_lo, s4, v8, vcc_lo
	v_lshlrev_b32_e32 v8, 4, v0
	s_delay_alu instid0(VALU_DEP_3) | instskip(NEXT) | instid1(VALU_DEP_3)
	v_add_co_u32 v3, vcc_lo, v3, v5
	v_add_co_ci_u32_e32 v5, vcc_lo, v7, v6, vcc_lo
	s_load_b32 s3, s[0:1], 0x40
	s_delay_alu instid0(VALU_DEP_2) | instskip(NEXT) | instid1(VALU_DEP_2)
	v_add_co_u32 v9, vcc_lo, v3, v8
	v_add_co_ci_u32_e32 v10, vcc_lo, 0, v5, vcc_lo
	v_lshlrev_b32_e32 v3, 7, v2
	s_clause 0x1
	global_load_b128 v[5:8], v[9:10], off
	global_load_b128 v[9:12], v[9:10], off offset:512
	v_add_lshl_u32 v3, v13, v3, 2
	s_delay_alu instid0(VALU_DEP_1)
	v_add_nc_u32_e32 v3, 0x4000, v3
	s_waitcnt vmcnt(1) lgkmcnt(0)
	v_fma_mixlo_f16 v14, v7, s3, 0
	v_fma_mixlo_f16 v13, v5, s3, 0
	s_waitcnt vmcnt(0)
	v_fma_mixlo_f16 v16, v11, s3, 0
	v_fma_mixlo_f16 v15, v9, s3, 0
	v_fma_mixhi_f16 v14, v8, s3, 0
	v_fma_mixhi_f16 v13, v6, s3, 0
	s_delay_alu instid0(VALU_DEP_4) | instskip(NEXT) | instid1(VALU_DEP_4)
	v_fma_mixhi_f16 v16, v12, s3, 0
	v_fma_mixhi_f16 v15, v10, s3, 0
	s_mov_b32 s3, 0
	ds_store_2addr_b64 v3, v[13:14], v[15:16] offset0:64 offset1:96
	s_waitcnt lgkmcnt(0)
	s_barrier
	buffer_gl0_inv
	s_cbranch_scc1 .LBB68_4
; %bb.3:
	s_load_b32 s2, s[0:1], 0xd0
	s_waitcnt lgkmcnt(0)
	s_mul_i32 s2, s2, s12
	s_delay_alu instid0(SALU_CYCLE_1) | instskip(NEXT) | instid1(SALU_CYCLE_1)
	s_add_i32 s2, s2, s13
	s_lshl_b64 s[2:3], s[2:3], 2
	s_delay_alu instid0(SALU_CYCLE_1)
	s_add_u32 s2, s26, s2
	s_addc_u32 s3, s27, s3
	s_load_b32 s2, s[2:3], 0x0
.LBB68_4:
	v_lshlrev_b32_e32 v38, 2, v0
	v_mbcnt_lo_u32_b32 v36, -1, 0
	s_lshl_b32 s3, s14, 5
	s_waitcnt lgkmcnt(0)
	s_cmp_lt_i32 s3, s2
	s_cbranch_scc1 .LBB68_6
; %bb.5:
	v_mbcnt_lo_u32_b32 v3, -1, 0
	v_mov_b32_e32 v40, 32
	s_mov_b32 s4, 0
	s_mov_b32 s5, 0xfeffffff
	s_delay_alu instid0(VALU_DEP_2)
	v_xor_b32_e32 v68, 16, v3
	v_xor_b32_e32 v69, 8, v3
	;; [unrolled: 1-line block ×5, first 2 shown]
	s_branch .LBB68_7
.LBB68_6:
	s_mov_b32 s4, -1
                                        ; implicit-def: $sgpr5
                                        ; implicit-def: $vgpr3
                                        ; implicit-def: $vgpr40
                                        ; implicit-def: $vgpr68
                                        ; implicit-def: $vgpr69
                                        ; implicit-def: $vgpr70
                                        ; implicit-def: $vgpr71
                                        ; implicit-def: $vgpr72
.LBB68_7:
	s_delay_alu instid0(SALU_CYCLE_1) | instskip(SKIP_2) | instid1(VALU_DEP_3)
	v_cndmask_b32_e64 v5, 0, 1, s4
	v_dual_mov_b32 v58, s4 :: v_dual_mov_b32 v35, s5
	v_dual_mov_b32 v53, s4 :: v_dual_mov_b32 v54, s4
	v_cmp_ne_u32_e32 vcc_lo, 1, v5
	v_mov_b32_e32 v63, s4
	v_mov_b32_e32 v57, s4
	s_cbranch_vccnz .LBB68_16
; %bb.8:
	s_clause 0x1
	s_load_b128 s[8:11], s[0:1], 0x98
	s_load_b64 s[4:5], s[0:1], 0x8c
	s_sub_i32 s13, 0, s33
	s_abs_i32 s17, s15
	s_mul_i32 s13, s13, s39
	s_ashr_i32 s27, s38, 31
	s_mul_hi_u32 s13, s39, s13
	s_ashr_i32 s38, s12, 31
	s_add_i32 s39, s39, s13
	s_ashr_i32 s36, s37, 1
	s_mul_hi_u32 s37, s17, s39
	s_ashr_i32 s26, s15, 31
	s_load_b64 s[22:23], s[0:1], 0xa8
	s_mul_i32 s39, s37, s33
	v_dual_mov_b32 v40, 32 :: v_dual_lshlrev_b32 v39, 2, v38
	v_lshlrev_b32_e32 v3, 9, v2
	v_lshl_add_u32 v42, v2, 6, 0x4a00
	v_mul_u32_u24_e32 v41, 0x210, v0
	s_delay_alu instid0(VALU_DEP_4)
	v_mad_u32_u24 v43, 0x210, v2, v39
	s_waitcnt lgkmcnt(0)
	s_mul_i32 s9, s12, s9
	s_mul_hi_u32 s40, s12, s8
	s_mul_i32 s41, s38, s8
	s_add_i32 s9, s40, s9
	s_mul_i32 s8, s12, s8
	s_ashr_i32 s13, s10, 2
	s_ashr_i32 s16, s4, 2
	s_add_i32 s9, s9, s41
	s_add_u32 s8, s18, s8
	s_addc_u32 s9, s19, s9
	s_sub_i32 s17, s17, s39
	s_xor_b32 s18, s26, s27
	s_add_i32 s19, s37, 1
	s_sub_i32 s26, s17, s33
	s_cmp_ge_u32 s17, s33
	s_mul_i32 s38, s38, s22
	s_cselect_b32 s19, s19, s37
	s_cselect_b32 s17, s26, s17
	s_add_i32 s26, s19, 1
	s_cmp_ge_u32 s17, s33
	s_mul_i32 s17, s12, s23
	s_cselect_b32 s19, s26, s19
	s_mul_hi_u32 s23, s12, s22
	s_xor_b32 s19, s19, s18
	v_mul_lo_u32 v5, s16, v2
	s_sub_i32 s18, s19, s18
	s_mul_i32 s19, s12, s22
	s_mul_i32 s5, s18, s5
	v_mul_lo_u32 v19, s13, v2
	s_ashr_i32 s22, s5, 31
	s_add_u32 s8, s8, s5
	s_addc_u32 s9, s9, s22
	s_add_i32 s5, s23, s17
	s_mul_i32 s18, s18, s11
	s_add_i32 s5, s5, s38
	s_add_u32 s11, s20, s19
	s_addc_u32 s5, s21, s5
	s_ashr_i32 s17, s18, 31
	s_add_u32 s11, s11, s18
	s_addc_u32 s17, s5, s17
	s_and_b32 s4, s4, -4
	s_and_b32 s5, s10, -4
	v_dual_mov_b32 v54, 0 :: v_dual_add_nc_u32 v7, s4, v5
	v_add_nc_u32_e32 v21, s5, v19
	s_load_b32 s18, s[0:1], 0x54
	v_ashrrev_i32_e32 v6, 31, v5
	s_delay_alu instid0(VALU_DEP_3)
	v_add_nc_u32_e32 v9, s4, v7
	v_ashrrev_i32_e32 v8, 31, v7
	v_add_nc_u32_e32 v23, s5, v21
	v_ashrrev_i32_e32 v20, 31, v19
	v_ashrrev_i32_e32 v22, 31, v21
	v_add_nc_u32_e32 v11, s4, v9
	v_ashrrev_i32_e32 v10, 31, v9
	v_add_nc_u32_e32 v25, s5, v23
	v_ashrrev_i32_e32 v24, 31, v23
	v_add_nc_u32_e32 v45, v3, v39
	v_add_nc_u32_e32 v13, s4, v11
	v_ashrrev_i32_e32 v12, 31, v11
	v_add_nc_u32_e32 v29, s5, v25
	v_ashrrev_i32_e32 v26, 31, v25
	v_dual_mov_b32 v53, 0 :: v_dual_add_nc_u32 v44, 0x4200, v3
	v_add_nc_u32_e32 v15, s4, v13
	s_delay_alu instid0(VALU_DEP_4)
	v_add_nc_u32_e32 v31, s5, v29
	v_ashrrev_i32_e32 v14, 31, v13
	v_ashrrev_i32_e32 v30, 31, v29
	v_mad_u64_u32 v[2:3], null, v4, s36, v[0:1]
	v_add_nc_u32_e32 v17, s4, v15
	v_add_nc_u32_e32 v33, s5, v31
	v_ashrrev_i32_e32 v16, 31, v15
	v_ashrrev_i32_e32 v32, 31, v31
	v_lshlrev_b64 v[3:4], 2, v[5:6]
	v_add_nc_u32_e32 v27, s4, v17
	v_add_nc_u32_e32 v57, s5, v33
	v_ashrrev_i32_e32 v18, 31, v17
	v_ashrrev_i32_e32 v34, 31, v33
	v_lshlrev_b64 v[5:6], 2, v[7:8]
	v_ashrrev_i32_e32 v28, 31, v27
	v_ashrrev_i32_e32 v58, 31, v57
	v_lshlrev_b64 v[7:8], 2, v[9:10]
	v_lshlrev_b64 v[9:10], 2, v[11:12]
	;; [unrolled: 1-line block ×14, first 2 shown]
	v_dual_mov_b32 v57, 0 :: v_dual_add_nc_u32 v46, 0x840, v43
	v_add_nc_u32_e32 v47, 0x1080, v43
	v_dual_mov_b32 v63, 0 :: v_dual_add_nc_u32 v48, 0x18c0, v43
	v_add_nc_u32_e32 v49, 0x2100, v43
	v_add_nc_u32_e32 v50, 0x2940, v43
	v_add_nc_u32_e32 v51, 0x3180, v43
	v_add_nc_u32_e32 v52, 0x39c0, v43
	v_lshl_add_u32 v55, v0, 1, v42
	v_add_nc_u32_e32 v56, 0x800, v45
	v_add_nc_u32_e32 v59, 0x1000, v45
	;; [unrolled: 1-line block ×7, first 2 shown]
	v_dual_mov_b32 v67, 0xfeffffff :: v_dual_lshlrev_b32 v66, 3, v0
	v_mov_b32_e32 v58, 0
	s_add_u32 s4, s0, 0xd0
	s_addc_u32 s5, s1, 0
	s_mov_b32 s10, 0xbbbac73d
.LBB68_9:                               ; =>This Inner Loop Header: Depth=1
	s_mul_hi_i32 s21, s3, s16
	s_mul_i32 s20, s3, s16
	s_delay_alu instid0(SALU_CYCLE_1) | instskip(NEXT) | instid1(SALU_CYCLE_1)
	s_lshl_b64 s[20:21], s[20:21], 2
	s_add_u32 s19, s8, s20
	s_addc_u32 s20, s9, s21
	v_add_co_u32 v35, vcc_lo, s19, v3
	v_add_co_ci_u32_e32 v69, vcc_lo, s20, v4, vcc_lo
	v_add_co_u32 v70, vcc_lo, s19, v5
	v_add_co_ci_u32_e32 v71, vcc_lo, s20, v6, vcc_lo
	s_delay_alu instid0(VALU_DEP_4) | instskip(NEXT) | instid1(VALU_DEP_4)
	v_add_co_u32 v68, vcc_lo, v35, v39
	v_add_co_ci_u32_e32 v69, vcc_lo, 0, v69, vcc_lo
	s_delay_alu instid0(VALU_DEP_4) | instskip(NEXT) | instid1(VALU_DEP_4)
	v_add_co_u32 v72, vcc_lo, v70, v39
	v_add_co_ci_u32_e32 v73, vcc_lo, 0, v71, vcc_lo
	v_add_co_u32 v35, vcc_lo, s19, v7
	v_add_co_ci_u32_e32 v77, vcc_lo, s20, v8, vcc_lo
	v_add_co_u32 v78, vcc_lo, s19, v9
	v_add_co_ci_u32_e32 v79, vcc_lo, s20, v10, vcc_lo
	s_delay_alu instid0(VALU_DEP_4) | instskip(NEXT) | instid1(VALU_DEP_4)
	v_add_co_u32 v76, vcc_lo, v35, v39
	v_add_co_ci_u32_e32 v77, vcc_lo, 0, v77, vcc_lo
	s_delay_alu instid0(VALU_DEP_4) | instskip(NEXT) | instid1(VALU_DEP_4)
	v_add_co_u32 v80, vcc_lo, v78, v39
	v_add_co_ci_u32_e32 v81, vcc_lo, 0, v79, vcc_lo
	;; [unrolled: 10-line block ×4, first 2 shown]
	s_clause 0x7
	global_load_b128 v[68:71], v[68:69], off
	global_load_b128 v[72:75], v[72:73], off
	;; [unrolled: 1-line block ×8, first 2 shown]
	v_mov_b32_e32 v35, 0
	s_waitcnt vmcnt(7)
	ds_store_b128 v43, v[68:71]
	s_waitcnt vmcnt(6)
	ds_store_b128 v46, v[72:75]
	;; [unrolled: 2-line block ×8, first 2 shown]
	s_waitcnt lgkmcnt(0)
	s_barrier
	buffer_gl0_inv
	ds_load_b128 v[68:71], v41
	ds_load_b128 v[72:75], v44
	s_waitcnt lgkmcnt(0)
	;;#ASMSTART
	v_dot2_f32_f16 v35, v68, v72, v35
	;;#ASMEND
	;;#ASMSTART
	v_dot2_f32_f16 v35, v69, v73, v35
	;;#ASMEND
	;;#ASMSTART
	v_dot2_f32_f16 v35, v70, v74, v35
	;;#ASMEND
	;;#ASMSTART
	v_dot2_f32_f16 v35, v71, v75, v35
	;;#ASMEND
	ds_load_b128 v[68:71], v41 offset:16
	ds_load_b128 v[72:75], v44 offset:16
	s_waitcnt lgkmcnt(0)
	;;#ASMSTART
	v_dot2_f32_f16 v35, v68, v72, v35
	;;#ASMEND
	;;#ASMSTART
	v_dot2_f32_f16 v35, v69, v73, v35
	;;#ASMEND
	;;#ASMSTART
	v_dot2_f32_f16 v35, v70, v74, v35
	;;#ASMEND
	;;#ASMSTART
	v_dot2_f32_f16 v35, v71, v75, v35
	;;#ASMEND
	ds_load_b128 v[68:71], v41 offset:32
	ds_load_b128 v[72:75], v44 offset:32
	;; [unrolled: 15-line block ×31, first 2 shown]
	s_waitcnt lgkmcnt(0)
	;;#ASMSTART
	v_dot2_f32_f16 v35, v68, v72, v35
	;;#ASMEND
	;;#ASMSTART
	v_dot2_f32_f16 v35, v69, v73, v35
	;;#ASMEND
	;;#ASMSTART
	v_dot2_f32_f16 v35, v70, v74, v35
	;;#ASMEND
	;;#ASMSTART
	v_dot2_f32_f16 v35, v71, v75, v35
	;;#ASMEND
	v_cmp_ngt_f32_e64 s19, 0x3f200000, |v35|
                                        ; implicit-def: $vgpr68
	s_delay_alu instid0(VALU_DEP_1) | instskip(NEXT) | instid1(SALU_CYCLE_1)
	s_and_saveexec_b32 s20, s19
	s_xor_b32 s19, exec_lo, s20
	s_cbranch_execz .LBB68_11
; %bb.10:                               ;   in Loop: Header=BB68_9 Depth=1
	v_add_f32_e64 v68, |v35|, |v35|
	s_delay_alu instid0(VALU_DEP_1) | instskip(SKIP_1) | instid1(VALU_DEP_2)
	v_mul_f32_e32 v69, 0x3fb8aa3b, v68
	v_cmp_ngt_f32_e32 vcc_lo, 0xc2ce8ed0, v68
	v_rndne_f32_e32 v70, v69
	v_fma_f32 v71, 0x3fb8aa3b, v68, -v69
	s_delay_alu instid0(VALU_DEP_2) | instskip(NEXT) | instid1(VALU_DEP_2)
	v_sub_f32_e32 v69, v69, v70
	v_fmac_f32_e32 v71, 0x32a5705f, v68
	v_cvt_i32_f32_e32 v70, v70
	s_delay_alu instid0(VALU_DEP_2) | instskip(NEXT) | instid1(VALU_DEP_1)
	v_add_f32_e32 v69, v69, v71
	v_exp_f32_e32 v69, v69
	s_waitcnt_depctr 0xfff
	v_ldexp_f32 v69, v69, v70
	s_delay_alu instid0(VALU_DEP_1) | instskip(SKIP_1) | instid1(VALU_DEP_2)
	v_cndmask_b32_e32 v69, 0, v69, vcc_lo
	v_cmp_nlt_f32_e32 vcc_lo, 0x42b17218, v68
	v_cndmask_b32_e32 v68, 0x7f800000, v69, vcc_lo
	s_delay_alu instid0(VALU_DEP_1) | instskip(NEXT) | instid1(VALU_DEP_1)
	v_add_f32_e32 v68, 1.0, v68
	v_rcp_f32_e32 v68, v68
	s_waitcnt_depctr 0xfff
	v_fma_f32 v68, v68, -2.0, 1.0
.LBB68_11:                              ;   in Loop: Header=BB68_9 Depth=1
	s_and_not1_saveexec_b32 s19, s19
; %bb.12:                               ;   in Loop: Header=BB68_9 Depth=1
	v_mul_f32_e32 v68, v35, v35
	s_delay_alu instid0(VALU_DEP_1) | instskip(NEXT) | instid1(VALU_DEP_1)
	v_fmaak_f32 v69, s10, v68, 0x3ca908c9
	v_fmaak_f32 v69, v68, v69, 0xbd5c1c4e
	s_delay_alu instid0(VALU_DEP_1) | instskip(NEXT) | instid1(VALU_DEP_1)
	v_fmaak_f32 v69, v68, v69, 0x3e088382
	v_fmaak_f32 v69, v68, v69, 0xbeaaaa99
	s_delay_alu instid0(VALU_DEP_1) | instskip(NEXT) | instid1(VALU_DEP_1)
	v_mul_f32_e64 v69, |v35|, v69
	v_fma_f32 v68, v68, v69, |v35|
; %bb.13:                               ;   in Loop: Header=BB68_9 Depth=1
	s_or_b32 exec_lo, exec_lo, s19
	v_add_nc_u32_e32 v69, s3, v2
	s_mul_hi_i32 s21, s3, s13
	s_mul_i32 s20, s3, s13
	v_bfi_b32 v35, 0x7fffffff, v68, v35
	s_lshl_b64 s[20:21], s[20:21], 2
	v_ashrrev_i32_e32 v70, 31, v69
	s_add_u32 s19, s11, s20
	s_addc_u32 s20, s17, s21
	v_xor_b32_e32 v68, 16, v36
	v_add_nc_u32_e32 v117, 0x800, v66
	v_lshlrev_b64 v[69:70], 1, v[69:70]
	v_add_nc_u32_e32 v127, 0x1800, v66
	v_add_nc_u32_e32 v131, 0x3000, v66
	;; [unrolled: 1-line block ×5, first 2 shown]
	v_add_co_u32 v69, vcc_lo, s34, v69
	v_add_co_ci_u32_e32 v70, vcc_lo, s35, v70, vcc_lo
	v_add_nc_u32_e32 v130, 0x2800, v66
	flat_load_u16 v105, v[69:70]
	v_add_co_u32 v69, vcc_lo, s19, v19
	v_add_co_ci_u32_e32 v70, vcc_lo, s20, v20, vcc_lo
	v_add_co_u32 v71, vcc_lo, s19, v21
	v_add_co_ci_u32_e32 v72, vcc_lo, s20, v22, vcc_lo
	;; [unrolled: 2-line block ×16, first 2 shown]
	s_waitcnt vmcnt(0) lgkmcnt(0)
	s_barrier
	buffer_gl0_inv
	s_clause 0x7
	global_load_b128 v[73:76], v[69:70], off
	global_load_b128 v[77:80], v[71:72], off
	;; [unrolled: 1-line block ×8, first 2 shown]
	v_cmp_gt_i32_e32 vcc_lo, 32, v68
	v_cndmask_b32_e32 v69, v36, v68, vcc_lo
	s_delay_alu instid0(VALU_DEP_1) | instskip(SKIP_1) | instid1(VALU_DEP_1)
	v_lshlrev_b32_e32 v69, 2, v69
	v_fma_mix_f32 v105, v35, s18, v105 op_sel_hi:[0,0,1]
	v_dual_max_f32 v35, v67, v67 :: v_dual_add_f32 v70, 0x40051340, v105
	s_delay_alu instid0(VALU_DEP_1) | instskip(SKIP_2) | instid1(VALU_DEP_1)
	v_max_f32_e32 v35, v35, v70
	ds_bpermute_b32 v70, v69, v35
	v_xor_b32_e32 v69, 8, v36
	v_cmp_gt_i32_e32 vcc_lo, 32, v69
	v_cndmask_b32_e32 v71, v36, v69, vcc_lo
	s_waitcnt lgkmcnt(0)
	s_delay_alu instid0(VALU_DEP_1) | instskip(NEXT) | instid1(VALU_DEP_1)
	v_dual_max_f32 v70, v70, v70 :: v_dual_lshlrev_b32 v71, 2, v71
	v_max_f32_e32 v35, v35, v70
	v_xor_b32_e32 v70, 4, v36
	ds_bpermute_b32 v71, v71, v35
	v_cmp_gt_i32_e32 vcc_lo, 32, v70
	v_cndmask_b32_e32 v72, v36, v70, vcc_lo
	s_waitcnt lgkmcnt(0)
	s_delay_alu instid0(VALU_DEP_1) | instskip(NEXT) | instid1(VALU_DEP_1)
	v_dual_max_f32 v71, v71, v71 :: v_dual_lshlrev_b32 v72, 2, v72
	v_max_f32_e32 v35, v35, v71
	v_xor_b32_e32 v71, 2, v36
	ds_bpermute_b32 v72, v72, v35
	v_cmp_gt_i32_e32 vcc_lo, 32, v71
	v_cndmask_b32_e32 v106, v36, v71, vcc_lo
	s_delay_alu instid0(VALU_DEP_1) | instskip(SKIP_2) | instid1(VALU_DEP_1)
	v_lshlrev_b32_e32 v106, 2, v106
	s_waitcnt lgkmcnt(0)
	v_max_f32_e32 v72, v72, v72
	v_max_f32_e32 v35, v35, v72
	v_xor_b32_e32 v72, 1, v36
	ds_bpermute_b32 v106, v106, v35
	v_cmp_gt_i32_e32 vcc_lo, 32, v72
	v_cndmask_b32_e32 v107, v36, v72, vcc_lo
	s_waitcnt lgkmcnt(0)
	s_delay_alu instid0(VALU_DEP_1) | instskip(NEXT) | instid1(VALU_DEP_1)
	v_dual_max_f32 v106, v106, v106 :: v_dual_lshlrev_b32 v107, 2, v107
	v_max_f32_e32 v35, v35, v106
	ds_bpermute_b32 v106, v107, v35
	s_waitcnt lgkmcnt(0)
	v_max_f32_e32 v106, v106, v106
	s_delay_alu instid0(VALU_DEP_1) | instskip(NEXT) | instid1(VALU_DEP_1)
	v_max_f32_e32 v35, v35, v106
	v_sub_f32_e32 v105, v105, v35
	s_delay_alu instid0(VALU_DEP_1) | instskip(NEXT) | instid1(VALU_DEP_1)
	v_dual_sub_f32 v67, v67, v35 :: v_dual_mul_f32 v106, 0x3fb8aa3b, v105
	v_mul_f32_e32 v109, 0x3fb8aa3b, v67
	v_cmp_ngt_f32_e32 vcc_lo, 0xc2ce8ed0, v105
	s_delay_alu instid0(VALU_DEP_3) | instskip(SKIP_1) | instid1(VALU_DEP_4)
	v_fma_f32 v107, 0x3fb8aa3b, v105, -v106
	v_rndne_f32_e32 v108, v106
	v_fma_f32 v110, 0x3fb8aa3b, v67, -v109
	v_rndne_f32_e32 v111, v109
	s_delay_alu instid0(VALU_DEP_3) | instskip(SKIP_1) | instid1(VALU_DEP_4)
	v_dual_fmac_f32 v107, 0x32a5705f, v105 :: v_dual_sub_f32 v106, v106, v108
	v_cvt_i32_f32_e32 v108, v108
	v_fmac_f32_e32 v110, 0x32a5705f, v67
	s_delay_alu instid0(VALU_DEP_3) | instskip(SKIP_1) | instid1(VALU_DEP_2)
	v_add_f32_e32 v106, v106, v107
	v_sub_f32_e32 v107, v109, v111
	v_exp_f32_e32 v106, v106
	s_delay_alu instid0(VALU_DEP_1) | instskip(NEXT) | instid1(VALU_DEP_1)
	v_add_f32_e32 v107, v107, v110
	v_exp_f32_e32 v107, v107
	s_waitcnt_depctr 0xfff
	v_ldexp_f32 v106, v106, v108
	v_cvt_i32_f32_e32 v108, v111
	s_delay_alu instid0(VALU_DEP_2) | instskip(SKIP_1) | instid1(VALU_DEP_3)
	v_cndmask_b32_e32 v106, 0, v106, vcc_lo
	v_cmp_nlt_f32_e32 vcc_lo, 0x42b17218, v105
	v_ldexp_f32 v107, v107, v108
	s_delay_alu instid0(VALU_DEP_3) | instskip(SKIP_1) | instid1(VALU_DEP_2)
	v_cndmask_b32_e32 v125, 0x7f800000, v106, vcc_lo
	v_cmp_ngt_f32_e32 vcc_lo, 0xc2ce8ed0, v67
	v_cvt_f16_f32_e32 v106, v125
	s_delay_alu instid0(VALU_DEP_4)
	v_cndmask_b32_e32 v105, 0, v107, vcc_lo
	v_cmp_nlt_f32_e32 vcc_lo, 0x42b17218, v67
	ds_store_b16 v55, v106
	s_waitcnt vmcnt(7)
	ds_store_b128 v45, v[73:76]
	s_waitcnt vmcnt(6)
	ds_store_b128 v56, v[77:80]
	;; [unrolled: 2-line block ×8, first 2 shown]
	s_waitcnt lgkmcnt(0)
	s_barrier
	buffer_gl0_inv
	ds_load_2addr_b64 v[73:76], v66 offset1:32
	ds_load_b128 v[77:80], v42
	v_cndmask_b32_e32 v67, 0x7f800000, v105, vcc_lo
	ds_load_2addr_b64 v[81:84], v66 offset0:64 offset1:96
	ds_load_b128 v[85:88], v42 offset:16
	ds_load_2addr_b64 v[89:92], v66 offset0:128 offset1:160
	ds_load_b128 v[93:96], v42 offset:32
	ds_load_b128 v[97:100], v42 offset:48
	ds_load_2addr_b64 v[101:104], v66 offset0:192 offset1:224
	ds_load_2addr_b64 v[105:108], v117 offset1:32
	ds_load_2addr_b64 v[109:112], v117 offset0:64 offset1:96
	ds_load_2addr_b64 v[113:116], v117 offset0:128 offset1:160
	;; [unrolled: 1-line block ×3, first 2 shown]
	ds_load_2addr_b64 v[121:124], v126 offset1:32
	v_cvt_f16_f32_e64 v129, v67
	v_fma_f32 v53, v53, v67, v125
	s_delay_alu instid0(VALU_DEP_2)
	v_pk_mul_f16 v57, v129, v57 op_sel_hi:[0,1]
	v_pk_mul_f16 v54, v129, v54 op_sel_hi:[0,1]
	s_waitcnt lgkmcnt(11)
	v_pk_mul_f16 v73, v73, v77 op_sel_hi:[1,0]
	v_pk_mul_f16 v74, v74, v77 op_sel_hi:[1,0]
	v_pk_fma_f16 v57, v75, v77, v57 op_sel_hi:[1,0,1]
	v_pk_fma_f16 v54, v76, v77, v54 op_sel_hi:[1,0,1]
	s_delay_alu instid0(VALU_DEP_4) | instskip(NEXT) | instid1(VALU_DEP_4)
	v_pk_fma_f16 v58, v58, v129, v73 op_sel_hi:[1,0,1]
	v_pk_fma_f16 v63, v63, v129, v74 op_sel_hi:[1,0,1]
	s_waitcnt lgkmcnt(10)
	v_pk_fma_f16 v57, v83, v77, v57 op_sel:[0,1,0]
	v_pk_fma_f16 v54, v84, v77, v54 op_sel:[0,1,0]
	ds_load_2addr_b64 v[73:76], v126 offset0:64 offset1:96
	v_pk_fma_f16 v58, v81, v77, v58 op_sel:[0,1,0]
	v_pk_fma_f16 v63, v82, v77, v63 op_sel:[0,1,0]
	s_waitcnt lgkmcnt(9)
	v_pk_fma_f16 v57, v91, v78, v57 op_sel_hi:[1,0,1]
	v_pk_fma_f16 v54, v92, v78, v54 op_sel_hi:[1,0,1]
	ds_load_2addr_b64 v[81:84], v126 offset0:128 offset1:160
	v_pk_fma_f16 v58, v89, v78, v58 op_sel_hi:[1,0,1]
	v_pk_fma_f16 v63, v90, v78, v63 op_sel_hi:[1,0,1]
	s_waitcnt lgkmcnt(7)
	v_pk_fma_f16 v57, v103, v78, v57 op_sel:[0,1,0]
	v_pk_fma_f16 v54, v104, v78, v54 op_sel:[0,1,0]
	ds_load_2addr_b64 v[89:92], v126 offset0:192 offset1:224
	v_pk_fma_f16 v58, v101, v78, v58 op_sel:[0,1,0]
	v_pk_fma_f16 v63, v102, v78, v63 op_sel:[0,1,0]
	s_waitcnt lgkmcnt(7)
	v_pk_fma_f16 v57, v107, v79, v57 op_sel_hi:[1,0,1]
	v_pk_fma_f16 v54, v108, v79, v54 op_sel_hi:[1,0,1]
	ds_load_2addr_b64 v[101:104], v127 offset1:32
	v_pk_fma_f16 v58, v105, v79, v58 op_sel_hi:[1,0,1]
	v_pk_fma_f16 v63, v106, v79, v63 op_sel_hi:[1,0,1]
	s_waitcnt lgkmcnt(7)
	v_pk_fma_f16 v57, v111, v79, v57 op_sel:[0,1,0]
	v_pk_fma_f16 v54, v112, v79, v54 op_sel:[0,1,0]
	ds_load_2addr_b64 v[105:108], v127 offset0:64 offset1:96
	v_pk_fma_f16 v58, v109, v79, v58 op_sel:[0,1,0]
	v_pk_fma_f16 v63, v110, v79, v63 op_sel:[0,1,0]
	s_waitcnt lgkmcnt(7)
	v_pk_fma_f16 v57, v115, v80, v57 op_sel_hi:[1,0,1]
	v_pk_fma_f16 v54, v116, v80, v54 op_sel_hi:[1,0,1]
	ds_load_2addr_b64 v[109:112], v127 offset0:128 offset1:160
	v_pk_fma_f16 v58, v113, v80, v58 op_sel_hi:[1,0,1]
	v_pk_fma_f16 v63, v114, v80, v63 op_sel_hi:[1,0,1]
	s_waitcnt lgkmcnt(7)
	v_pk_fma_f16 v57, v119, v80, v57 op_sel:[0,1,0]
	v_pk_fma_f16 v54, v120, v80, v54 op_sel:[0,1,0]
	ds_load_2addr_b64 v[113:116], v127 offset0:192 offset1:224
	v_pk_fma_f16 v58, v117, v80, v58 op_sel:[0,1,0]
	v_pk_fma_f16 v63, v118, v80, v63 op_sel:[0,1,0]
	s_waitcnt lgkmcnt(7)
	v_pk_fma_f16 v57, v123, v85, v57 op_sel_hi:[1,0,1]
	v_pk_fma_f16 v54, v124, v85, v54 op_sel_hi:[1,0,1]
	ds_load_2addr_b64 v[77:80], v128 offset1:32
	;; [unrolled: 24-line block ×5, first 2 shown]
	v_pk_fma_f16 v58, v89, v95, v58 op_sel_hi:[1,0,1]
	v_pk_fma_f16 v63, v90, v95, v63 op_sel_hi:[1,0,1]
	s_waitcnt lgkmcnt(7)
	v_pk_fma_f16 v57, v103, v95, v57 op_sel:[0,1,0]
	v_pk_fma_f16 v54, v104, v95, v54 op_sel:[0,1,0]
	ds_load_2addr_b64 v[89:92], v132 offset0:64 offset1:96
	v_pk_fma_f16 v58, v101, v95, v58 op_sel:[0,1,0]
	v_pk_fma_f16 v63, v102, v95, v63 op_sel:[0,1,0]
	s_waitcnt lgkmcnt(7)
	v_pk_fma_f16 v57, v107, v96, v57 op_sel_hi:[1,0,1]
	v_pk_fma_f16 v54, v108, v96, v54 op_sel_hi:[1,0,1]
	ds_load_2addr_b64 v[101:104], v132 offset0:128 offset1:160
	v_pk_fma_f16 v58, v105, v96, v58 op_sel_hi:[1,0,1]
	v_pk_fma_f16 v63, v106, v96, v63 op_sel_hi:[1,0,1]
	s_waitcnt lgkmcnt(7)
	v_pk_fma_f16 v57, v111, v96, v57 op_sel:[0,1,0]
	v_pk_fma_f16 v54, v112, v96, v54 op_sel:[0,1,0]
	ds_load_2addr_b64 v[105:108], v132 offset0:192 offset1:224
	v_pk_fma_f16 v58, v109, v96, v58 op_sel:[0,1,0]
	v_pk_fma_f16 v63, v110, v96, v63 op_sel:[0,1,0]
	s_waitcnt lgkmcnt(7)
	v_pk_fma_f16 v57, v87, v97, v57 op_sel_hi:[1,0,1]
	v_pk_fma_f16 v54, v88, v97, v54 op_sel_hi:[1,0,1]
	s_waitcnt lgkmcnt(0)
	v_pk_fma_f16 v58, v85, v97, v58 op_sel_hi:[1,0,1]
	v_pk_fma_f16 v63, v86, v97, v63 op_sel_hi:[1,0,1]
	v_pk_fma_f16 v57, v79, v97, v57 op_sel:[0,1,0]
	v_pk_fma_f16 v54, v80, v97, v54 op_sel:[0,1,0]
	s_barrier
	v_pk_fma_f16 v58, v77, v97, v58 op_sel:[0,1,0]
	v_pk_fma_f16 v63, v78, v97, v63 op_sel:[0,1,0]
	v_pk_fma_f16 v57, v115, v98, v57 op_sel_hi:[1,0,1]
	v_pk_fma_f16 v54, v116, v98, v54 op_sel_hi:[1,0,1]
	buffer_gl0_inv
	v_pk_fma_f16 v58, v113, v98, v58 op_sel_hi:[1,0,1]
	v_pk_fma_f16 v63, v114, v98, v63 op_sel_hi:[1,0,1]
	s_load_b32 s19, s[4:5], 0x4
	v_pk_fma_f16 v57, v75, v98, v57 op_sel:[0,1,0]
	v_pk_fma_f16 v54, v76, v98, v54 op_sel:[0,1,0]
	;; [unrolled: 1-line block ×4, first 2 shown]
	s_delay_alu instid0(VALU_DEP_4) | instskip(NEXT) | instid1(VALU_DEP_4)
	v_pk_fma_f16 v57, v83, v99, v57 op_sel_hi:[1,0,1]
	v_pk_fma_f16 v54, v84, v99, v54 op_sel_hi:[1,0,1]
	s_delay_alu instid0(VALU_DEP_4) | instskip(NEXT) | instid1(VALU_DEP_4)
	v_pk_fma_f16 v58, v81, v99, v58 op_sel_hi:[1,0,1]
	v_pk_fma_f16 v63, v82, v99, v63 op_sel_hi:[1,0,1]
	s_delay_alu instid0(VALU_DEP_4) | instskip(NEXT) | instid1(VALU_DEP_4)
	v_pk_fma_f16 v57, v91, v99, v57 op_sel:[0,1,0]
	v_pk_fma_f16 v54, v92, v99, v54 op_sel:[0,1,0]
	s_delay_alu instid0(VALU_DEP_4) | instskip(NEXT) | instid1(VALU_DEP_4)
	v_pk_fma_f16 v58, v89, v99, v58 op_sel:[0,1,0]
	v_pk_fma_f16 v63, v90, v99, v63 op_sel:[0,1,0]
	s_delay_alu instid0(VALU_DEP_4) | instskip(NEXT) | instid1(VALU_DEP_4)
	v_pk_fma_f16 v57, v103, v100, v57 op_sel_hi:[1,0,1]
	v_pk_fma_f16 v54, v104, v100, v54 op_sel_hi:[1,0,1]
	s_delay_alu instid0(VALU_DEP_4) | instskip(NEXT) | instid1(VALU_DEP_4)
	v_pk_fma_f16 v58, v101, v100, v58 op_sel_hi:[1,0,1]
	v_pk_fma_f16 v63, v102, v100, v63 op_sel_hi:[1,0,1]
	s_waitcnt lgkmcnt(0)
	s_lshl_b32 s19, s19, 5
	v_pk_fma_f16 v57, v107, v100, v57 op_sel:[0,1,0]
	v_pk_fma_f16 v54, v108, v100, v54 op_sel:[0,1,0]
	v_pk_fma_f16 v58, v105, v100, v58 op_sel:[0,1,0]
	v_pk_fma_f16 v63, v106, v100, v63 op_sel:[0,1,0]
	s_add_i32 s3, s19, s3
	s_delay_alu instid0(SALU_CYCLE_1)
	s_cmp_lt_i32 s3, s2
	s_cbranch_scc0 .LBB68_15
; %bb.14:                               ;   in Loop: Header=BB68_9 Depth=1
	v_mov_b32_e32 v67, v35
	s_branch .LBB68_9
.LBB68_15:
	v_mov_b32_e32 v3, v36
.LBB68_16:
	v_cmp_lt_i32_e32 vcc_lo, v68, v40
	s_cmp_eq_u64 s[24:25], 0
	s_cselect_b32 s2, -1, 0
	s_cmp_lg_u32 s14, 0
	v_cndmask_b32_e32 v2, v3, v68, vcc_lo
	v_cmp_lt_i32_e32 vcc_lo, v69, v40
	s_cselect_b32 s3, -1, 0
	s_delay_alu instid0(SALU_CYCLE_1) | instskip(SKIP_2) | instid1(VALU_DEP_2)
	s_or_b32 s2, s3, s2
	v_cndmask_b32_e32 v4, v3, v69, vcc_lo
	v_cmp_lt_i32_e32 vcc_lo, v70, v40
	v_dual_cndmask_b32 v5, v3, v70 :: v_dual_lshlrev_b32 v4, 2, v4
	v_cmp_lt_i32_e32 vcc_lo, v71, v40
	s_delay_alu instid0(VALU_DEP_2)
	v_lshlrev_b32_e32 v5, 2, v5
	v_lshlrev_b32_e32 v2, 2, v2
	ds_bpermute_b32 v2, v2, v53
	s_waitcnt lgkmcnt(0)
	v_add_f32_e32 v2, v53, v2
	ds_bpermute_b32 v4, v4, v2
	s_waitcnt lgkmcnt(0)
	v_add_f32_e32 v2, v2, v4
	ds_bpermute_b32 v4, v5, v2
	v_cndmask_b32_e32 v5, v3, v71, vcc_lo
	v_cmp_lt_i32_e32 vcc_lo, v72, v40
	s_delay_alu instid0(VALU_DEP_2) | instskip(SKIP_3) | instid1(VALU_DEP_1)
	v_lshlrev_b32_e32 v5, 2, v5
	v_cndmask_b32_e32 v3, v3, v72, vcc_lo
	s_and_b32 vcc_lo, exec_lo, s2
	s_waitcnt lgkmcnt(0)
	v_dual_add_f32 v2, v2, v4 :: v_dual_lshlrev_b32 v3, 2, v3
	ds_bpermute_b32 v4, v5, v2
	s_waitcnt lgkmcnt(0)
	v_add_f32_e32 v2, v2, v4
	ds_bpermute_b32 v3, v3, v2
	s_waitcnt lgkmcnt(0)
	v_add_f32_e32 v36, v2, v3
	s_cbranch_vccnz .LBB68_18
; %bb.17:
	v_add_nc_u32_e32 v2, s15, v37
	s_delay_alu instid0(VALU_DEP_1) | instskip(NEXT) | instid1(VALU_DEP_1)
	v_ashrrev_i32_e32 v3, 31, v2
	v_lshlrev_b64 v[2:3], 2, v[2:3]
	s_delay_alu instid0(VALU_DEP_1) | instskip(NEXT) | instid1(VALU_DEP_2)
	v_add_co_u32 v2, vcc_lo, s24, v2
	v_add_co_ci_u32_e32 v3, vcc_lo, s25, v3, vcc_lo
	global_load_b32 v2, v[2:3], off
	s_waitcnt vmcnt(0)
	v_dual_max_f32 v3, v35, v35 :: v_dual_max_f32 v4, v2, v2
	s_delay_alu instid0(VALU_DEP_1) | instskip(NEXT) | instid1(VALU_DEP_1)
	v_max_f32_e32 v3, v3, v4
	v_sub_f32_e32 v2, v2, v3
	s_delay_alu instid0(VALU_DEP_1) | instskip(NEXT) | instid1(VALU_DEP_1)
	v_mul_f32_e32 v6, 0x3fb8aa3b, v2
	v_fma_f32 v9, 0x3fb8aa3b, v2, -v6
	v_sub_f32_e32 v4, v35, v3
	v_rndne_f32_e32 v10, v6
	v_mov_b32_e32 v35, v3
	s_delay_alu instid0(VALU_DEP_4) | instskip(NEXT) | instid1(VALU_DEP_3)
	v_fmac_f32_e32 v9, 0x32a5705f, v2
	v_dual_mul_f32 v5, 0x3fb8aa3b, v4 :: v_dual_sub_f32 v6, v6, v10
	v_cmp_ngt_f32_e32 vcc_lo, 0xc2ce8ed0, v4
	s_delay_alu instid0(VALU_DEP_2) | instskip(SKIP_1) | instid1(VALU_DEP_2)
	v_fma_f32 v7, 0x3fb8aa3b, v4, -v5
	v_rndne_f32_e32 v8, v5
	v_dual_add_f32 v6, v6, v9 :: v_dual_fmac_f32 v7, 0x32a5705f, v4
	s_delay_alu instid0(VALU_DEP_2) | instskip(NEXT) | instid1(VALU_DEP_2)
	v_sub_f32_e32 v5, v5, v8
	v_exp_f32_e32 v6, v6
	s_delay_alu instid0(VALU_DEP_1) | instskip(SKIP_2) | instid1(VALU_DEP_3)
	v_add_f32_e32 v5, v5, v7
	v_cvt_i32_f32_e32 v7, v8
	v_cvt_i32_f32_e32 v8, v10
	v_exp_f32_e32 v5, v5
	s_waitcnt_depctr 0xfff
	v_ldexp_f32 v6, v6, v8
	v_ldexp_f32 v5, v5, v7
	s_delay_alu instid0(VALU_DEP_1) | instskip(SKIP_1) | instid1(VALU_DEP_4)
	v_cndmask_b32_e32 v5, 0, v5, vcc_lo
	v_cmp_ngt_f32_e32 vcc_lo, 0xc2ce8ed0, v2
	v_cndmask_b32_e32 v6, 0, v6, vcc_lo
	v_cmp_nlt_f32_e32 vcc_lo, 0x42b17218, v4
	s_delay_alu instid0(VALU_DEP_4) | instskip(SKIP_1) | instid1(VALU_DEP_2)
	v_cndmask_b32_e32 v4, 0x7f800000, v5, vcc_lo
	v_cmp_nlt_f32_e32 vcc_lo, 0x42b17218, v2
	v_cvt_f16_f32_e32 v5, v4
	v_cndmask_b32_e32 v2, 0x7f800000, v6, vcc_lo
	s_delay_alu instid0(VALU_DEP_2) | instskip(NEXT) | instid1(VALU_DEP_2)
	v_pk_mul_f16 v58, v5, v58 op_sel_hi:[0,1]
	v_fmac_f32_e32 v2, v36, v4
	v_pk_mul_f16 v63, v5, v63 op_sel_hi:[0,1]
	v_pk_mul_f16 v57, v5, v57 op_sel_hi:[0,1]
	;; [unrolled: 1-line block ×3, first 2 shown]
	s_delay_alu instid0(VALU_DEP_4)
	v_mov_b32_e32 v36, v2
.LBB68_18:
	s_mov_b32 s2, exec_lo
	v_cmpx_gt_i32_e64 s6, v1
	s_cbranch_execz .LBB68_21
; %bb.19:
	s_delay_alu instid0(VALU_DEP_2) | instskip(SKIP_2) | instid1(VALU_DEP_2)
	v_div_scale_f32 v4, null, v36, v36, 1.0
	v_mad_u64_u32 v[2:3], null, s12, s6, v[1:2]
	s_load_b32 s1, s[0:1], 0xd4
	v_rcp_f32_e32 v6, v4
	v_div_scale_f32 v5, vcc_lo, 1.0, v36, 1.0
	v_lshrrev_b32_e32 v7, 16, v63
	v_cmp_eq_u32_e64 s0, 0, v0
	s_delay_alu instid0(VALU_DEP_4) | instskip(SKIP_4) | instid1(TRANS32_DEP_1)
	v_mul_lo_u32 v1, v2, s7
	v_lshrrev_b32_e32 v9, 16, v58
	v_lshrrev_b32_e32 v11, 16, v54
	v_cvt_f32_f16_e32 v0, v7
	v_lshrrev_b32_e32 v12, 16, v57
	v_fma_f32 v2, -v4, v6, 1.0
	v_cvt_f32_f16_e32 v7, v9
	v_cvt_f32_f16_e32 v8, v63
	v_add3_u32 v3, s15, v37, v1
	v_cvt_f32_f16_e32 v14, v58
	v_fmac_f32_e32 v6, v2, v6
	v_cvt_f32_f16_e32 v15, v54
	v_cvt_f32_f16_e32 v16, v57
	;; [unrolled: 1-line block ×3, first 2 shown]
	s_waitcnt lgkmcnt(0)
	v_mad_u64_u32 v[1:2], null, s1, v3, s[14:15]
	v_dual_mov_b32 v3, 0 :: v_dual_mul_f32 v10, v5, v6
	s_cmp_lg_u32 s1, 1
	s_cselect_b32 s1, -1, 0
	s_delay_alu instid0(VALU_DEP_1) | instskip(SKIP_1) | instid1(VALU_DEP_1)
	v_fma_f32 v2, -v4, v10, v5
	s_and_b32 s0, s0, s1
	v_fmac_f32_e32 v10, v2, v6
	s_delay_alu instid0(VALU_DEP_4) | instskip(NEXT) | instid1(VALU_DEP_2)
	v_lshl_add_u32 v2, v1, 8, v38
	v_fma_f32 v9, -v4, v10, v5
	s_delay_alu instid0(VALU_DEP_2) | instskip(NEXT) | instid1(VALU_DEP_2)
	v_lshlrev_b64 v[4:5], 2, v[2:3]
	v_div_fmas_f32 v6, v9, v6, v10
	v_cvt_f32_f16_e32 v9, v11
	s_delay_alu instid0(VALU_DEP_3) | instskip(NEXT) | instid1(VALU_DEP_4)
	v_add_co_u32 v10, vcc_lo, s28, v4
	v_add_co_ci_u32_e32 v11, vcc_lo, s29, v5, vcc_lo
	s_delay_alu instid0(VALU_DEP_4) | instskip(NEXT) | instid1(VALU_DEP_1)
	v_div_fixup_f32 v6, v6, v36, 1.0
	v_cndmask_b32_e64 v6, v6, 1.0, s1
	s_delay_alu instid0(VALU_DEP_1) | instskip(NEXT) | instid1(VALU_DEP_1)
	v_dual_mul_f32 v5, v6, v0 :: v_dual_add_nc_u32 v2, 0x80, v2
	v_lshlrev_b64 v[2:3], 2, v[2:3]
	v_mul_f32_e32 v4, v6, v8
	v_mul_f32_e32 v9, v6, v9
	;; [unrolled: 1-line block ×3, first 2 shown]
	s_delay_alu instid0(VALU_DEP_4)
	v_add_co_u32 v12, vcc_lo, s28, v2
	v_add_co_ci_u32_e32 v13, vcc_lo, s29, v3, vcc_lo
	v_mul_f32_e32 v3, v6, v7
	v_mul_f32_e32 v2, v6, v14
	;; [unrolled: 1-line block ×4, first 2 shown]
	s_clause 0x1
	global_store_b128 v[10:11], v[2:5], off
	global_store_b128 v[12:13], v[6:9], off
	s_and_b32 exec_lo, exec_lo, s0
	s_cbranch_execz .LBB68_21
; %bb.20:
	v_ashrrev_i32_e32 v2, 31, v1
	s_delay_alu instid0(VALU_DEP_1) | instskip(NEXT) | instid1(VALU_DEP_1)
	v_lshlrev_b64 v[0:1], 3, v[1:2]
	v_add_co_u32 v0, vcc_lo, s30, v0
	s_delay_alu instid0(VALU_DEP_2)
	v_add_co_ci_u32_e32 v1, vcc_lo, s31, v1, vcc_lo
	global_store_b64 v[0:1], v[35:36], off
.LBB68_21:
	s_nop 0
	s_sendmsg sendmsg(MSG_DEALLOC_VGPRS)
	s_endpgm
	.section	.rodata,"a",@progbits
	.p2align	6, 0x0
	.amdhsa_kernel _ZL15flash_attn_tileILi256ELi256ELi2ELi2ELb1EEvPKcS1_S1_S1_S1_PKiPfP15HIP_vector_typeIfLj2EEffffjfiS5_IjLj3EEiiiiiiiiiiiliiliiiiil
		.amdhsa_group_segment_fixed_size 19200
		.amdhsa_private_segment_fixed_size 0
		.amdhsa_kernarg_size 464
		.amdhsa_user_sgpr_count 13
		.amdhsa_user_sgpr_dispatch_ptr 0
		.amdhsa_user_sgpr_queue_ptr 0
		.amdhsa_user_sgpr_kernarg_segment_ptr 1
		.amdhsa_user_sgpr_dispatch_id 0
		.amdhsa_user_sgpr_private_segment_size 0
		.amdhsa_wavefront_size32 1
		.amdhsa_uses_dynamic_stack 0
		.amdhsa_enable_private_segment 0
		.amdhsa_system_sgpr_workgroup_id_x 1
		.amdhsa_system_sgpr_workgroup_id_y 1
		.amdhsa_system_sgpr_workgroup_id_z 1
		.amdhsa_system_sgpr_workgroup_info 0
		.amdhsa_system_vgpr_workitem_id 1
		.amdhsa_next_free_vgpr 133
		.amdhsa_next_free_sgpr 42
		.amdhsa_reserve_vcc 1
		.amdhsa_float_round_mode_32 0
		.amdhsa_float_round_mode_16_64 0
		.amdhsa_float_denorm_mode_32 3
		.amdhsa_float_denorm_mode_16_64 3
		.amdhsa_dx10_clamp 1
		.amdhsa_ieee_mode 1
		.amdhsa_fp16_overflow 0
		.amdhsa_workgroup_processor_mode 1
		.amdhsa_memory_ordered 1
		.amdhsa_forward_progress 0
		.amdhsa_shared_vgpr_count 0
		.amdhsa_exception_fp_ieee_invalid_op 0
		.amdhsa_exception_fp_denorm_src 0
		.amdhsa_exception_fp_ieee_div_zero 0
		.amdhsa_exception_fp_ieee_overflow 0
		.amdhsa_exception_fp_ieee_underflow 0
		.amdhsa_exception_fp_ieee_inexact 0
		.amdhsa_exception_int_div_zero 0
	.end_amdhsa_kernel
	.section	.text._ZL15flash_attn_tileILi256ELi256ELi2ELi2ELb1EEvPKcS1_S1_S1_S1_PKiPfP15HIP_vector_typeIfLj2EEffffjfiS5_IjLj3EEiiiiiiiiiiiliiliiiiil,"axG",@progbits,_ZL15flash_attn_tileILi256ELi256ELi2ELi2ELb1EEvPKcS1_S1_S1_S1_PKiPfP15HIP_vector_typeIfLj2EEffffjfiS5_IjLj3EEiiiiiiiiiiiliiliiiiil,comdat
.Lfunc_end68:
	.size	_ZL15flash_attn_tileILi256ELi256ELi2ELi2ELb1EEvPKcS1_S1_S1_S1_PKiPfP15HIP_vector_typeIfLj2EEffffjfiS5_IjLj3EEiiiiiiiiiiiliiliiiiil, .Lfunc_end68-_ZL15flash_attn_tileILi256ELi256ELi2ELi2ELb1EEvPKcS1_S1_S1_S1_PKiPfP15HIP_vector_typeIfLj2EEffffjfiS5_IjLj3EEiiiiiiiiiiiliiliiiiil
                                        ; -- End function
	.section	.AMDGPU.csdata,"",@progbits
; Kernel info:
; codeLenInByte = 9220
; NumSgprs: 44
; NumVgprs: 133
; ScratchSize: 0
; MemoryBound: 0
; FloatMode: 240
; IeeeMode: 1
; LDSByteSize: 19200 bytes/workgroup (compile time only)
; SGPRBlocks: 5
; VGPRBlocks: 16
; NumSGPRsForWavesPerEU: 44
; NumVGPRsForWavesPerEU: 133
; Occupancy: 6
; WaveLimiterHint : 1
; COMPUTE_PGM_RSRC2:SCRATCH_EN: 0
; COMPUTE_PGM_RSRC2:USER_SGPR: 13
; COMPUTE_PGM_RSRC2:TRAP_HANDLER: 0
; COMPUTE_PGM_RSRC2:TGID_X_EN: 1
; COMPUTE_PGM_RSRC2:TGID_Y_EN: 1
; COMPUTE_PGM_RSRC2:TGID_Z_EN: 1
; COMPUTE_PGM_RSRC2:TIDIG_COMP_CNT: 1
	.section	.text._ZL15flash_attn_tileILi256ELi256ELi1ELi2ELb1EEvPKcS1_S1_S1_S1_PKiPfP15HIP_vector_typeIfLj2EEffffjfiS5_IjLj3EEiiiiiiiiiiiliiliiiiil,"axG",@progbits,_ZL15flash_attn_tileILi256ELi256ELi1ELi2ELb1EEvPKcS1_S1_S1_S1_PKiPfP15HIP_vector_typeIfLj2EEffffjfiS5_IjLj3EEiiiiiiiiiiiliiliiiiil,comdat
	.globl	_ZL15flash_attn_tileILi256ELi256ELi1ELi2ELb1EEvPKcS1_S1_S1_S1_PKiPfP15HIP_vector_typeIfLj2EEffffjfiS5_IjLj3EEiiiiiiiiiiiliiliiiiil ; -- Begin function _ZL15flash_attn_tileILi256ELi256ELi1ELi2ELb1EEvPKcS1_S1_S1_S1_PKiPfP15HIP_vector_typeIfLj2EEffffjfiS5_IjLj3EEiiiiiiiiiiiliiliiiiil
	.p2align	8
	.type	_ZL15flash_attn_tileILi256ELi256ELi1ELi2ELb1EEvPKcS1_S1_S1_S1_PKiPfP15HIP_vector_typeIfLj2EEffffjfiS5_IjLj3EEiiiiiiiiiiiliiliiiiil,@function
_ZL15flash_attn_tileILi256ELi256ELi1ELi2ELb1EEvPKcS1_S1_S1_S1_PKiPfP15HIP_vector_typeIfLj2EEffffjfiS5_IjLj3EEiiiiiiiiiiiliiliiiiil: ; @_ZL15flash_attn_tileILi256ELi256ELi1ELi2ELb1EEvPKcS1_S1_S1_S1_PKiPfP15HIP_vector_typeIfLj2EEffffjfiS5_IjLj3EEiiiiiiiiiiiliiliiiiil
; %bb.0:
	s_clause 0x1
	s_load_b128 s[4:7], s[0:1], 0x5c
	s_load_b64 s[2:3], s[0:1], 0x80
	s_mov_b64 s[34:35], 0
	s_waitcnt lgkmcnt(0)
	s_lshr_b32 s8, s7, 31
	s_delay_alu instid0(SALU_CYCLE_1) | instskip(NEXT) | instid1(SALU_CYCLE_1)
	s_add_i32 s8, s7, s8
	s_ashr_i32 s8, s8, 1
	s_delay_alu instid0(SALU_CYCLE_1) | instskip(SKIP_1) | instid1(VALU_DEP_1)
	v_cvt_f32_u32_e32 v1, s8
	s_sub_i32 s10, 0, s8
	v_rcp_iflag_f32_e32 v1, v1
	s_waitcnt_depctr 0xfff
	v_mul_f32_e32 v1, 0x4f7ffffe, v1
	s_delay_alu instid0(VALU_DEP_1) | instskip(NEXT) | instid1(VALU_DEP_1)
	v_cvt_u32_f32_e32 v1, v1
	v_readfirstlane_b32 s9, v1
	s_delay_alu instid0(VALU_DEP_1) | instskip(NEXT) | instid1(SALU_CYCLE_1)
	s_mul_i32 s10, s10, s9
	s_mul_hi_u32 s10, s9, s10
	s_delay_alu instid0(SALU_CYCLE_1) | instskip(NEXT) | instid1(SALU_CYCLE_1)
	s_add_i32 s9, s9, s10
	s_mul_hi_u32 s9, s15, s9
	s_delay_alu instid0(SALU_CYCLE_1) | instskip(SKIP_2) | instid1(SALU_CYCLE_1)
	s_mul_i32 s10, s9, s8
	s_add_i32 s11, s9, 1
	s_sub_i32 s10, s15, s10
	s_sub_i32 s12, s10, s8
	s_cmp_ge_u32 s10, s8
	s_cselect_b32 s9, s11, s9
	s_cselect_b32 s10, s12, s10
	s_add_i32 s11, s9, 1
	s_cmp_ge_u32 s10, s8
	s_cselect_b32 s12, s11, s9
	s_abs_i32 s8, s3
	s_abs_i32 s16, s7
	v_cvt_f32_u32_e32 v1, s8
	s_sub_i32 s10, 0, s8
	s_lshl_b32 s11, s15, 1
	s_mul_i32 s15, s12, s7
	s_xor_b32 s3, s7, s3
	v_rcp_iflag_f32_e32 v1, v1
	s_sub_i32 s15, s11, s15
	s_ashr_i32 s3, s3, 31
	s_waitcnt_depctr 0xfff
	v_mul_f32_e32 v1, 0x4f7ffffe, v1
	s_delay_alu instid0(VALU_DEP_1) | instskip(NEXT) | instid1(VALU_DEP_1)
	v_cvt_u32_f32_e32 v1, v1
	v_readfirstlane_b32 s9, v1
	s_delay_alu instid0(VALU_DEP_1) | instskip(NEXT) | instid1(SALU_CYCLE_1)
	s_mul_i32 s10, s10, s9
	s_mul_hi_u32 s10, s9, s10
	s_delay_alu instid0(SALU_CYCLE_1) | instskip(NEXT) | instid1(SALU_CYCLE_1)
	s_add_i32 s9, s9, s10
	s_mul_hi_u32 s9, s16, s9
	s_delay_alu instid0(SALU_CYCLE_1) | instskip(SKIP_2) | instid1(SALU_CYCLE_1)
	s_mul_i32 s10, s9, s8
	s_add_i32 s11, s9, 1
	s_sub_i32 s10, s16, s10
	s_sub_i32 s16, s10, s8
	s_cmp_ge_u32 s10, s8
	s_cselect_b32 s9, s11, s9
	s_cselect_b32 s10, s16, s10
	s_add_i32 s11, s9, 1
	s_cmp_ge_u32 s10, s8
	s_clause 0x1
	s_load_b512 s[16:31], s[0:1], 0x0
	s_load_b64 s[36:37], s[0:1], 0xb8
	s_cselect_b32 s8, s11, s9
	s_delay_alu instid0(SALU_CYCLE_1) | instskip(NEXT) | instid1(SALU_CYCLE_1)
	s_xor_b32 s8, s8, s3
	s_sub_i32 s38, s8, s3
	s_delay_alu instid0(SALU_CYCLE_1) | instskip(NEXT) | instid1(SALU_CYCLE_1)
	s_abs_i32 s33, s38
	v_cvt_f32_u32_e32 v1, s33
	s_delay_alu instid0(VALU_DEP_1) | instskip(SKIP_4) | instid1(VALU_DEP_1)
	v_rcp_iflag_f32_e32 v1, v1
	s_waitcnt lgkmcnt(0)
	s_cmp_eq_u64 s[22:23], 0
	s_waitcnt_depctr 0xfff
	v_mul_f32_e32 v1, 0x4f7ffffe, v1
	v_cvt_u32_f32_e32 v1, v1
	s_delay_alu instid0(VALU_DEP_1)
	v_readfirstlane_b32 s39, v1
	s_cbranch_scc1 .LBB69_2
; %bb.1:
	s_abs_i32 s3, s36
	s_abs_i32 s10, s12
	v_cvt_f32_u32_e32 v1, s3
	s_sub_i32 s9, 0, s3
	s_delay_alu instid0(VALU_DEP_1) | instskip(SKIP_2) | instid1(VALU_DEP_1)
	v_rcp_iflag_f32_e32 v1, v1
	s_waitcnt_depctr 0xfff
	v_mul_f32_e32 v1, 0x4f7ffffe, v1
	v_cvt_u32_f32_e32 v1, v1
	s_delay_alu instid0(VALU_DEP_1) | instskip(NEXT) | instid1(VALU_DEP_1)
	v_readfirstlane_b32 s8, v1
	s_mul_i32 s9, s9, s8
	s_delay_alu instid0(SALU_CYCLE_1) | instskip(NEXT) | instid1(SALU_CYCLE_1)
	s_mul_hi_u32 s9, s8, s9
	s_add_i32 s11, s8, s9
	s_load_b64 s[8:9], s[0:1], 0xc8
	s_mul_hi_u32 s11, s10, s11
	s_delay_alu instid0(SALU_CYCLE_1) | instskip(NEXT) | instid1(SALU_CYCLE_1)
	s_mul_i32 s11, s11, s3
	s_sub_i32 s10, s10, s11
	s_ashr_i32 s11, s12, 31
	s_sub_i32 s34, s10, s3
	s_cmp_ge_u32 s10, s3
	s_cselect_b32 s10, s34, s10
	s_delay_alu instid0(SALU_CYCLE_1) | instskip(SKIP_2) | instid1(SALU_CYCLE_1)
	s_sub_i32 s34, s10, s3
	s_cmp_ge_u32 s10, s3
	s_cselect_b32 s3, s34, s10
	s_xor_b32 s3, s3, s11
	s_delay_alu instid0(SALU_CYCLE_1)
	s_sub_i32 s3, s3, s11
	s_waitcnt lgkmcnt(0)
	s_mul_i32 s9, s3, s9
	s_mul_hi_u32 s10, s3, s8
	s_ashr_i32 s11, s3, 31
	s_add_i32 s9, s10, s9
	s_mul_i32 s11, s11, s8
	s_mul_i32 s3, s3, s8
	s_add_i32 s9, s9, s11
	s_add_u32 s34, s22, s3
	s_addc_u32 s35, s23, s9
.LBB69_2:
	v_bfe_u32 v1, v0, 10, 10
	s_load_b128 s[8:11], s[0:1], 0x70
	v_and_b32_e32 v32, 0x3ff, v0
	s_delay_alu instid0(VALU_DEP_2) | instskip(SKIP_1) | instid1(VALU_DEP_2)
	v_lshrrev_b32_e32 v2, 1, v1
	v_and_b32_e32 v52, 1, v1
	v_add_nc_u32_e32 v33, s13, v2
	s_delay_alu instid0(VALU_DEP_1) | instskip(SKIP_3) | instid1(VALU_DEP_1)
	v_mul_hi_u32 v2, s4, v33
	s_waitcnt lgkmcnt(0)
	s_mul_i32 s3, s12, s10
	s_mul_i32 s4, s15, s9
	v_add_nc_u32_e32 v2, v33, v2
	s_delay_alu instid0(VALU_DEP_1)
	v_lshrrev_b32_e32 v2, s5, v2
	s_ashr_i32 s5, s3, 31
	s_add_u32 s3, s16, s3
	s_addc_u32 s5, s17, s5
	s_ashr_i32 s10, s4, 31
	v_mul_lo_u32 v2, v2, s6
	s_add_u32 s3, s3, s4
	s_addc_u32 s4, s5, s10
	s_ashr_i32 s5, s8, 31
	s_delay_alu instid0(SALU_CYCLE_1) | instskip(SKIP_2) | instid1(VALU_DEP_2)
	v_alignbit_b32 v5, s5, s8, 2
	s_ashr_i32 s8, s9, 31
	s_lshr_b32 s5, s5, 2
	v_sub_nc_u32_e32 v2, v33, v2
	s_lshr_b32 s10, s8, 2
	s_cmp_eq_u64 s[26:27], 0
	v_mul_lo_u32 v6, s10, v52
	s_delay_alu instid0(VALU_DEP_2) | instskip(SKIP_1) | instid1(VALU_DEP_1)
	v_mad_u64_u32 v[3:4], null, v5, v2, 0
	v_alignbit_b32 v5, s8, s9, 2
	v_mad_u64_u32 v[7:8], null, s5, v2, v[4:5]
	v_mul_lo_u32 v5, v5, v52
	s_delay_alu instid0(VALU_DEP_2) | instskip(NEXT) | instid1(VALU_DEP_2)
	v_mov_b32_e32 v4, v7
	v_lshlrev_b64 v[5:6], 2, v[5:6]
	s_delay_alu instid0(VALU_DEP_2) | instskip(NEXT) | instid1(VALU_DEP_2)
	v_lshlrev_b64 v[3:4], 2, v[3:4]
	v_add_co_u32 v0, vcc_lo, s3, v5
	s_delay_alu instid0(VALU_DEP_3) | instskip(SKIP_1) | instid1(VALU_DEP_3)
	v_add_co_ci_u32_e32 v5, vcc_lo, s4, v6, vcc_lo
	v_lshlrev_b32_e32 v6, 4, v32
	v_add_co_u32 v0, vcc_lo, v0, v3
	s_delay_alu instid0(VALU_DEP_3) | instskip(SKIP_1) | instid1(VALU_DEP_2)
	v_add_co_ci_u32_e32 v3, vcc_lo, v5, v4, vcc_lo
	s_load_b32 s3, s[0:1], 0x40
	v_add_co_u32 v7, vcc_lo, v0, v6
	s_delay_alu instid0(VALU_DEP_2)
	v_add_co_ci_u32_e32 v8, vcc_lo, 0, v3, vcc_lo
	v_lshlrev_b32_e32 v0, 9, v1
	s_clause 0x1
	global_load_b128 v[3:6], v[7:8], off
	global_load_b128 v[7:10], v[7:8], off offset:512
	v_lshl_or_b32 v15, v32, 3, v0
	s_waitcnt vmcnt(1) lgkmcnt(0)
	v_fma_mixlo_f16 v12, v5, s3, 0
	v_fma_mixlo_f16 v11, v3, s3, 0
	s_waitcnt vmcnt(0)
	v_fma_mixlo_f16 v14, v9, s3, 0
	v_fma_mixlo_f16 v13, v7, s3, 0
	v_add_nc_u32_e32 v3, 0x1000, v15
	v_fma_mixhi_f16 v12, v6, s3, 0
	v_fma_mixhi_f16 v11, v4, s3, 0
	;; [unrolled: 1-line block ×4, first 2 shown]
	s_mov_b32 s3, 0
	ds_store_2addr_b64 v3, v[11:12], v[13:14] offset0:64 offset1:96
	s_waitcnt lgkmcnt(0)
	s_barrier
	buffer_gl0_inv
	s_cbranch_scc1 .LBB69_4
; %bb.3:
	s_load_b32 s2, s[0:1], 0xd0
	s_waitcnt lgkmcnt(0)
	s_mul_i32 s2, s2, s12
	s_delay_alu instid0(SALU_CYCLE_1) | instskip(NEXT) | instid1(SALU_CYCLE_1)
	s_add_i32 s2, s2, s13
	s_lshl_b64 s[2:3], s[2:3], 2
	s_delay_alu instid0(SALU_CYCLE_1)
	s_add_u32 s2, s26, s2
	s_addc_u32 s3, s27, s3
	s_load_b32 s2, s[2:3], 0x0
.LBB69_4:
	v_lshlrev_b32_e32 v53, 2, v32
	v_mbcnt_lo_u32_b32 v54, -1, 0
	s_lshl_b32 s3, s14, 5
	s_waitcnt lgkmcnt(0)
	s_cmp_lt_i32 s3, s2
	s_cbranch_scc1 .LBB69_6
; %bb.5:
	v_mbcnt_lo_u32_b32 v3, -1, 0
	v_mov_b32_e32 v55, 32
	s_mov_b32 s4, 0
	s_mov_b32 s5, 0xfeffffff
	s_delay_alu instid0(VALU_DEP_2)
	v_xor_b32_e32 v76, 16, v3
	v_xor_b32_e32 v77, 8, v3
	;; [unrolled: 1-line block ×5, first 2 shown]
	s_branch .LBB69_7
.LBB69_6:
	s_mov_b32 s4, -1
                                        ; implicit-def: $sgpr5
                                        ; implicit-def: $vgpr3
                                        ; implicit-def: $vgpr55
                                        ; implicit-def: $vgpr76
                                        ; implicit-def: $vgpr77
                                        ; implicit-def: $vgpr78
                                        ; implicit-def: $vgpr79
                                        ; implicit-def: $vgpr80
.LBB69_7:
	s_delay_alu instid0(SALU_CYCLE_1) | instskip(SKIP_2) | instid1(VALU_DEP_3)
	v_cndmask_b32_e64 v4, 0, 1, s4
	v_dual_mov_b32 v73, s4 :: v_dual_mov_b32 v58, s4
	v_dual_mov_b32 v51, s5 :: v_dual_mov_b32 v74, s4
	v_cmp_ne_u32_e32 vcc_lo, 1, v4
	v_mov_b32_e32 v72, s4
	v_mov_b32_e32 v70, s4
	s_cbranch_vccnz .LBB69_16
; %bb.8:
	s_clause 0x1
	s_load_b128 s[8:11], s[0:1], 0x98
	s_load_b64 s[4:5], s[0:1], 0x8c
	s_sub_i32 s13, 0, s33
	s_abs_i32 s22, s15
	s_mul_i32 s13, s13, s39
	s_ashr_i32 s27, s37, 1
	s_mul_hi_u32 s13, s39, s13
	s_ashr_i32 s37, s12, 31
	s_add_i32 s39, s39, s13
	s_ashr_i32 s23, s15, 31
	s_mul_hi_u32 s36, s22, s39
	s_ashr_i32 s26, s38, 31
	s_load_b64 s[16:17], s[0:1], 0xa8
	s_mul_i32 s38, s36, s33
	v_lshrrev_b32_e32 v3, 3, v32
	v_dual_mov_b32 v70, 0 :: v_dual_and_b32 v17, 28, v53
	v_dual_mov_b32 v73, 0 :: v_dual_add_nc_u32 v62, 0x1200, v0
	s_delay_alu instid0(VALU_DEP_3)
	v_lshl_add_u32 v4, v1, 2, v3
	s_waitcnt lgkmcnt(0)
	s_mul_i32 s39, s37, s8
	s_ashr_i32 s13, s4, 2
	s_mul_i32 s4, s12, s9
	s_mul_hi_u32 s9, s12, s8
	s_mul_i32 s8, s12, s8
	s_add_i32 s4, s9, s4
	s_ashr_i32 s10, s10, 2
	s_add_i32 s4, s4, s39
	s_add_u32 s8, s18, s8
	s_addc_u32 s4, s19, s4
	s_sub_i32 s18, s22, s38
	s_xor_b32 s9, s23, s26
	s_add_i32 s19, s36, 1
	s_sub_i32 s22, s18, s33
	s_cmp_ge_u32 s18, s33
	s_mul_i32 s17, s12, s17
	s_cselect_b32 s19, s19, s36
	s_cselect_b32 s18, s22, s18
	s_add_i32 s22, s19, 1
	s_cmp_ge_u32 s18, s33
	s_mul_i32 s37, s37, s16
	s_cselect_b32 s18, s22, s19
	s_mul_hi_u32 s19, s12, s16
	s_xor_b32 s18, s18, s9
	v_mul_lo_u32 v3, s13, v4
	s_sub_i32 s18, s18, s9
	s_mul_i32 s16, s12, s16
	s_mul_i32 s5, s18, s5
	;; [unrolled: 1-line block ×3, first 2 shown]
	s_ashr_i32 s9, s5, 31
	s_add_u32 s8, s8, s5
	s_addc_u32 s9, s4, s9
	s_add_i32 s4, s19, s17
	v_mul_lo_u32 v9, s10, v1
	s_add_i32 s4, s4, s37
	s_add_u32 s5, s20, s16
	s_addc_u32 s4, s21, s4
	s_ashr_i32 s16, s18, 31
	s_add_u32 s11, s5, s18
	s_addc_u32 s16, s4, s16
	s_lshl_b32 s4, s13, 3
	s_delay_alu instid0(SALU_CYCLE_1)
	v_dual_mov_b32 v72, 0 :: v_dual_add_nc_u32 v5, s4, v3
	v_mov_b32_e32 v74, 0
	v_lshl_add_u32 v64, v53, 2, v0
	s_load_b32 s17, s[0:1], 0x54
	v_dual_mov_b32 v75, 0xfeffffff :: v_dual_lshlrev_b32 v6, 2, v17
	v_add_nc_u32_e32 v7, s4, v5
	v_lshl_add_u32 v63, v1, 6, 0x1600
	v_ashrrev_i32_e32 v10, 31, v9
	s_delay_alu instid0(VALU_DEP_4)
	v_mad_u32_u24 v56, 0x90, v4, v6
	v_ashrrev_i32_e32 v4, 31, v3
	v_add_nc_u32_e32 v11, s4, v7
	s_lshl_b32 s4, s10, 1
	v_ashrrev_i32_e32 v6, 31, v5
	v_add_nc_u32_e32 v13, s4, v9
	v_ashrrev_i32_e32 v8, 31, v7
	v_ashrrev_i32_e32 v12, 31, v11
	v_mad_u64_u32 v[34:35], null, v2, s27, v[32:33]
	s_delay_alu instid0(VALU_DEP_4)
	v_add_nc_u32_e32 v0, s4, v13
	v_ashrrev_i32_e32 v14, 31, v13
	v_lshlrev_b64 v[35:36], 2, v[3:4]
	v_lshlrev_b64 v[37:38], 2, v[5:6]
	v_lshlrev_b64 v[39:40], 2, v[7:8]
	v_add_nc_u32_e32 v15, s4, v0
	v_ashrrev_i32_e32 v1, 31, v0
	v_lshlrev_b64 v[41:42], 2, v[11:12]
	v_lshlrev_b64 v[43:44], 2, v[9:10]
	;; [unrolled: 1-line block ×3, first 2 shown]
	v_ashrrev_i32_e32 v16, 31, v15
	v_lshlrev_b64 v[47:48], 2, v[0:1]
	v_dual_mov_b32 v58, 0 :: v_dual_add_nc_u32 v57, 0x480, v56
	v_add_nc_u32_e32 v59, 0x900, v56
	s_delay_alu instid0(VALU_DEP_4)
	v_lshlrev_b64 v[49:50], 2, v[15:16]
	v_dual_mov_b32 v55, 32 :: v_dual_add_nc_u32 v60, 0xd80, v56
	v_mul_u32_u24_e32 v61, 0x90, v32
	v_lshl_add_u32 v65, v32, 1, v63
	v_add_nc_u32_e32 v66, 0x400, v64
	v_add_nc_u32_e32 v67, 0x800, v64
	;; [unrolled: 1-line block ×3, first 2 shown]
	v_lshlrev_b32_e32 v69, 3, v32
	v_lshlrev_b32_e32 v71, 2, v17
	s_add_u32 s4, s0, 0xd0
	s_addc_u32 s5, s1, 0
	s_mov_b32 s18, 0xbbbac73d
.LBB69_9:                               ; =>This Inner Loop Header: Depth=1
	s_mul_hi_i32 s21, s3, s13
	s_mul_i32 s20, s3, s13
	s_delay_alu instid0(SALU_CYCLE_1) | instskip(NEXT) | instid1(SALU_CYCLE_1)
	s_lshl_b64 s[20:21], s[20:21], 2
	s_add_u32 s19, s8, s20
	s_addc_u32 s20, s9, s21
	v_add_co_u32 v0, vcc_lo, s19, v35
	v_add_co_ci_u32_e32 v1, vcc_lo, s20, v36, vcc_lo
	v_add_co_u32 v2, vcc_lo, s19, v37
	v_add_co_ci_u32_e32 v3, vcc_lo, s20, v38, vcc_lo
	s_delay_alu instid0(VALU_DEP_4) | instskip(NEXT) | instid1(VALU_DEP_4)
	v_add_co_u32 v0, vcc_lo, v0, v71
	v_add_co_ci_u32_e32 v1, vcc_lo, 0, v1, vcc_lo
	s_delay_alu instid0(VALU_DEP_4) | instskip(NEXT) | instid1(VALU_DEP_4)
	v_add_co_u32 v2, vcc_lo, v2, v71
	v_add_co_ci_u32_e32 v3, vcc_lo, 0, v3, vcc_lo
	v_add_co_u32 v4, vcc_lo, s19, v39
	v_add_co_ci_u32_e32 v5, vcc_lo, s20, v40, vcc_lo
	;; [unrolled: 2-line block ×3, first 2 shown]
	s_delay_alu instid0(VALU_DEP_4) | instskip(NEXT) | instid1(VALU_DEP_4)
	v_add_co_u32 v4, vcc_lo, v4, v71
	v_add_co_ci_u32_e32 v5, vcc_lo, 0, v5, vcc_lo
	s_delay_alu instid0(VALU_DEP_4) | instskip(NEXT) | instid1(VALU_DEP_4)
	v_add_co_u32 v6, vcc_lo, v6, v71
	v_add_co_ci_u32_e32 v7, vcc_lo, 0, v7, vcc_lo
	s_clause 0x3
	global_load_b128 v[8:11], v[0:1], off
	global_load_b128 v[12:15], v[2:3], off
	;; [unrolled: 1-line block ×4, first 2 shown]
	s_waitcnt vmcnt(3)
	ds_store_b128 v56, v[8:11]
	s_waitcnt vmcnt(2)
	ds_store_b128 v57, v[12:15]
	;; [unrolled: 2-line block ×4, first 2 shown]
	s_waitcnt lgkmcnt(0)
	s_barrier
	buffer_gl0_inv
	ds_load_b128 v[9:12], v61
	ds_load_b128 v[13:16], v62
	v_mov_b32_e32 v8, 0
	s_waitcnt lgkmcnt(0)
	;;#ASMSTART
	v_dot2_f32_f16 v8, v9, v13, v8
	;;#ASMEND
	;;#ASMSTART
	v_dot2_f32_f16 v8, v10, v14, v8
	;;#ASMEND
	;;#ASMSTART
	v_dot2_f32_f16 v8, v11, v15, v8
	;;#ASMEND
	;;#ASMSTART
	v_dot2_f32_f16 v8, v12, v16, v8
	;;#ASMEND
	ds_load_b128 v[9:12], v61 offset:16
	ds_load_b128 v[13:16], v62 offset:16
	s_waitcnt lgkmcnt(0)
	;;#ASMSTART
	v_dot2_f32_f16 v8, v9, v13, v8
	;;#ASMEND
	;;#ASMSTART
	v_dot2_f32_f16 v8, v10, v14, v8
	;;#ASMEND
	;;#ASMSTART
	v_dot2_f32_f16 v8, v11, v15, v8
	;;#ASMEND
	;;#ASMSTART
	v_dot2_f32_f16 v8, v12, v16, v8
	;;#ASMEND
	ds_load_b128 v[9:12], v61 offset:32
	ds_load_b128 v[13:16], v62 offset:32
	;; [unrolled: 15-line block ×7, first 2 shown]
	s_waitcnt lgkmcnt(0)
	;;#ASMSTART
	v_dot2_f32_f16 v8, v9, v13, v8
	;;#ASMEND
	;;#ASMSTART
	v_dot2_f32_f16 v8, v10, v14, v8
	;;#ASMEND
	;; [unrolled: 3-line block ×4, first 2 shown]
	s_barrier
	buffer_gl0_inv
	s_clause 0x3
	global_load_b128 v[9:12], v[0:1], off offset:128
	global_load_b128 v[13:16], v[2:3], off offset:128
	;; [unrolled: 1-line block ×4, first 2 shown]
	s_waitcnt vmcnt(3)
	ds_store_b128 v56, v[9:12]
	s_waitcnt vmcnt(2)
	ds_store_b128 v57, v[13:16]
	;; [unrolled: 2-line block ×4, first 2 shown]
	s_waitcnt lgkmcnt(0)
	s_barrier
	buffer_gl0_inv
	ds_load_b128 v[9:12], v61
	ds_load_b128 v[13:16], v62 offset:128
	s_waitcnt lgkmcnt(0)
	;;#ASMSTART
	v_dot2_f32_f16 v8, v9, v13, v8
	;;#ASMEND
	;;#ASMSTART
	v_dot2_f32_f16 v8, v10, v14, v8
	;;#ASMEND
	;;#ASMSTART
	v_dot2_f32_f16 v8, v11, v15, v8
	;;#ASMEND
	;;#ASMSTART
	v_dot2_f32_f16 v8, v12, v16, v8
	;;#ASMEND
	ds_load_b128 v[9:12], v61 offset:16
	ds_load_b128 v[13:16], v62 offset:144
	s_waitcnt lgkmcnt(0)
	;;#ASMSTART
	v_dot2_f32_f16 v8, v9, v13, v8
	;;#ASMEND
	;;#ASMSTART
	v_dot2_f32_f16 v8, v10, v14, v8
	;;#ASMEND
	;;#ASMSTART
	v_dot2_f32_f16 v8, v11, v15, v8
	;;#ASMEND
	;;#ASMSTART
	v_dot2_f32_f16 v8, v12, v16, v8
	;;#ASMEND
	ds_load_b128 v[9:12], v61 offset:32
	;; [unrolled: 15-line block ×7, first 2 shown]
	ds_load_b128 v[13:16], v62 offset:240
	s_waitcnt lgkmcnt(0)
	;;#ASMSTART
	v_dot2_f32_f16 v8, v9, v13, v8
	;;#ASMEND
	;;#ASMSTART
	v_dot2_f32_f16 v8, v10, v14, v8
	;;#ASMEND
	;; [unrolled: 3-line block ×4, first 2 shown]
	s_barrier
	buffer_gl0_inv
	s_clause 0x3
	global_load_b128 v[9:12], v[0:1], off offset:256
	global_load_b128 v[13:16], v[2:3], off offset:256
	;; [unrolled: 1-line block ×4, first 2 shown]
	s_waitcnt vmcnt(3)
	ds_store_b128 v56, v[9:12]
	s_waitcnt vmcnt(2)
	ds_store_b128 v57, v[13:16]
	;; [unrolled: 2-line block ×4, first 2 shown]
	s_waitcnt lgkmcnt(0)
	s_barrier
	buffer_gl0_inv
	ds_load_b128 v[9:12], v61
	ds_load_b128 v[13:16], v62 offset:256
	s_waitcnt lgkmcnt(0)
	;;#ASMSTART
	v_dot2_f32_f16 v8, v9, v13, v8
	;;#ASMEND
	;;#ASMSTART
	v_dot2_f32_f16 v8, v10, v14, v8
	;;#ASMEND
	;;#ASMSTART
	v_dot2_f32_f16 v8, v11, v15, v8
	;;#ASMEND
	;;#ASMSTART
	v_dot2_f32_f16 v8, v12, v16, v8
	;;#ASMEND
	ds_load_b128 v[9:12], v61 offset:16
	ds_load_b128 v[13:16], v62 offset:272
	s_waitcnt lgkmcnt(0)
	;;#ASMSTART
	v_dot2_f32_f16 v8, v9, v13, v8
	;;#ASMEND
	;;#ASMSTART
	v_dot2_f32_f16 v8, v10, v14, v8
	;;#ASMEND
	;;#ASMSTART
	v_dot2_f32_f16 v8, v11, v15, v8
	;;#ASMEND
	;;#ASMSTART
	v_dot2_f32_f16 v8, v12, v16, v8
	;;#ASMEND
	ds_load_b128 v[9:12], v61 offset:32
	;; [unrolled: 15-line block ×7, first 2 shown]
	ds_load_b128 v[13:16], v62 offset:368
	s_waitcnt lgkmcnt(0)
	;;#ASMSTART
	v_dot2_f32_f16 v8, v9, v13, v8
	;;#ASMEND
	;;#ASMSTART
	v_dot2_f32_f16 v8, v10, v14, v8
	;;#ASMEND
	;; [unrolled: 3-line block ×4, first 2 shown]
	s_barrier
	buffer_gl0_inv
	s_clause 0x3
	global_load_b128 v[9:12], v[0:1], off offset:384
	global_load_b128 v[0:3], v[2:3], off offset:384
	;; [unrolled: 1-line block ×4, first 2 shown]
	s_waitcnt vmcnt(3)
	ds_store_b128 v56, v[9:12]
	s_waitcnt vmcnt(2)
	ds_store_b128 v57, v[0:3]
	s_waitcnt vmcnt(1)
	ds_store_b128 v59, v[13:16]
	s_waitcnt vmcnt(0)
	ds_store_b128 v60, v[4:7]
	s_waitcnt lgkmcnt(0)
	s_barrier
	buffer_gl0_inv
	ds_load_b128 v[0:3], v61
	ds_load_b128 v[4:7], v62 offset:384
	s_waitcnt lgkmcnt(0)
	;;#ASMSTART
	v_dot2_f32_f16 v8, v0, v4, v8
	;;#ASMEND
	;;#ASMSTART
	v_dot2_f32_f16 v8, v1, v5, v8
	;;#ASMEND
	;;#ASMSTART
	v_dot2_f32_f16 v8, v2, v6, v8
	;;#ASMEND
	;;#ASMSTART
	v_dot2_f32_f16 v8, v3, v7, v8
	;;#ASMEND
	ds_load_b128 v[0:3], v61 offset:16
	ds_load_b128 v[4:7], v62 offset:400
	s_waitcnt lgkmcnt(0)
	;;#ASMSTART
	v_dot2_f32_f16 v8, v0, v4, v8
	;;#ASMEND
	;;#ASMSTART
	v_dot2_f32_f16 v8, v1, v5, v8
	;;#ASMEND
	;;#ASMSTART
	v_dot2_f32_f16 v8, v2, v6, v8
	;;#ASMEND
	;;#ASMSTART
	v_dot2_f32_f16 v8, v3, v7, v8
	;;#ASMEND
	ds_load_b128 v[0:3], v61 offset:32
	;; [unrolled: 15-line block ×7, first 2 shown]
	ds_load_b128 v[4:7], v62 offset:496
	s_waitcnt lgkmcnt(0)
	;;#ASMSTART
	v_dot2_f32_f16 v8, v0, v4, v8
	;;#ASMEND
	;;#ASMSTART
	v_dot2_f32_f16 v8, v1, v5, v8
	;;#ASMEND
	;; [unrolled: 3-line block ×4, first 2 shown]
	v_cmp_ngt_f32_e64 s19, 0x3f200000, |v8|
                                        ; implicit-def: $vgpr0
	s_delay_alu instid0(VALU_DEP_1) | instskip(NEXT) | instid1(SALU_CYCLE_1)
	s_and_saveexec_b32 s20, s19
	s_xor_b32 s19, exec_lo, s20
	s_cbranch_execz .LBB69_11
; %bb.10:                               ;   in Loop: Header=BB69_9 Depth=1
	v_add_f32_e64 v0, |v8|, |v8|
	s_delay_alu instid0(VALU_DEP_1) | instskip(SKIP_1) | instid1(VALU_DEP_2)
	v_mul_f32_e32 v1, 0x3fb8aa3b, v0
	v_cmp_ngt_f32_e32 vcc_lo, 0xc2ce8ed0, v0
	v_rndne_f32_e32 v2, v1
	v_fma_f32 v3, 0x3fb8aa3b, v0, -v1
	s_delay_alu instid0(VALU_DEP_2) | instskip(NEXT) | instid1(VALU_DEP_2)
	v_sub_f32_e32 v1, v1, v2
	v_fmac_f32_e32 v3, 0x32a5705f, v0
	v_cvt_i32_f32_e32 v2, v2
	s_delay_alu instid0(VALU_DEP_2) | instskip(NEXT) | instid1(VALU_DEP_1)
	v_add_f32_e32 v1, v1, v3
	v_exp_f32_e32 v1, v1
	s_waitcnt_depctr 0xfff
	v_ldexp_f32 v1, v1, v2
	s_delay_alu instid0(VALU_DEP_1) | instskip(SKIP_1) | instid1(VALU_DEP_2)
	v_cndmask_b32_e32 v1, 0, v1, vcc_lo
	v_cmp_nlt_f32_e32 vcc_lo, 0x42b17218, v0
	v_cndmask_b32_e32 v0, 0x7f800000, v1, vcc_lo
	s_delay_alu instid0(VALU_DEP_1) | instskip(NEXT) | instid1(VALU_DEP_1)
	v_add_f32_e32 v0, 1.0, v0
	v_rcp_f32_e32 v0, v0
	s_waitcnt_depctr 0xfff
	v_fma_f32 v0, v0, -2.0, 1.0
.LBB69_11:                              ;   in Loop: Header=BB69_9 Depth=1
	s_and_not1_saveexec_b32 s19, s19
; %bb.12:                               ;   in Loop: Header=BB69_9 Depth=1
	v_mul_f32_e32 v0, v8, v8
	s_delay_alu instid0(VALU_DEP_1) | instskip(NEXT) | instid1(VALU_DEP_1)
	v_fmaak_f32 v1, s18, v0, 0x3ca908c9
	v_fmaak_f32 v1, v0, v1, 0xbd5c1c4e
	s_delay_alu instid0(VALU_DEP_1) | instskip(NEXT) | instid1(VALU_DEP_1)
	v_fmaak_f32 v1, v0, v1, 0x3e088382
	v_fmaak_f32 v1, v0, v1, 0xbeaaaa99
	s_delay_alu instid0(VALU_DEP_1) | instskip(NEXT) | instid1(VALU_DEP_1)
	v_mul_f32_e64 v1, |v8|, v1
	v_fma_f32 v0, v0, v1, |v8|
; %bb.13:                               ;   in Loop: Header=BB69_9 Depth=1
	s_or_b32 exec_lo, exec_lo, s19
	v_xor_b32_e32 v76, 16, v54
	v_add_nc_u32_e32 v1, s3, v34
	s_mul_hi_i32 s21, s3, s10
	s_mul_i32 s20, s3, s10
	v_lshlrev_b32_e32 v82, 2, v53
	s_lshl_b64 s[20:21], s[20:21], 2
	v_ashrrev_i32_e32 v2, 31, v1
	s_add_u32 s19, s11, s20
	s_addc_u32 s20, s16, s21
	v_bfi_b32 v0, 0x7fffffff, v0, v8
	v_xor_b32_e32 v77, 8, v54
	v_lshlrev_b64 v[1:2], 1, v[1:2]
	v_xor_b32_e32 v78, 4, v54
	v_xor_b32_e32 v79, 2, v54
	;; [unrolled: 1-line block ×3, first 2 shown]
	v_add_nc_u32_e32 v81, 0x800, v69
	v_add_co_u32 v1, vcc_lo, s34, v1
	v_add_co_ci_u32_e32 v2, vcc_lo, s35, v2, vcc_lo
	flat_load_u16 v7, v[1:2]
	v_add_co_u32 v1, vcc_lo, s19, v43
	v_add_co_ci_u32_e32 v2, vcc_lo, s20, v44, vcc_lo
	v_add_co_u32 v3, vcc_lo, s19, v45
	v_add_co_ci_u32_e32 v4, vcc_lo, s20, v46, vcc_lo
	v_add_co_u32 v9, vcc_lo, s19, v47
	v_add_co_ci_u32_e32 v10, vcc_lo, s20, v48, vcc_lo
	v_add_co_u32 v11, vcc_lo, s19, v49
	v_add_co_ci_u32_e32 v12, vcc_lo, s20, v50, vcc_lo
	v_add_co_u32 v1, vcc_lo, v1, v82
	v_add_co_ci_u32_e32 v2, vcc_lo, 0, v2, vcc_lo
	v_add_co_u32 v5, vcc_lo, v3, v82
	v_add_co_ci_u32_e32 v6, vcc_lo, 0, v4, vcc_lo
	v_add_co_u32 v13, vcc_lo, v9, v82
	v_add_co_ci_u32_e32 v14, vcc_lo, 0, v10, vcc_lo
	v_add_co_u32 v17, vcc_lo, v11, v82
	v_add_co_ci_u32_e32 v18, vcc_lo, 0, v12, vcc_lo
	s_waitcnt vmcnt(0) lgkmcnt(0)
	s_barrier
	buffer_gl0_inv
	s_clause 0x3
	global_load_b128 v[1:4], v[1:2], off
	global_load_b128 v[9:12], v[5:6], off
	;; [unrolled: 1-line block ×4, first 2 shown]
	v_max_f32_e32 v5, v75, v75
	v_cmp_gt_i32_e32 vcc_lo, 32, v76
	s_or_b32 s19, s3, 8
	s_delay_alu instid0(SALU_CYCLE_1) | instskip(SKIP_4) | instid1(SALU_CYCLE_1)
	s_mul_hi_i32 s21, s19, s10
	s_mul_i32 s20, s19, s10
	v_cndmask_b32_e32 v6, v54, v76, vcc_lo
	v_cmp_gt_i32_e32 vcc_lo, 32, v77
	s_lshl_b64 s[20:21], s[20:21], 2
	s_add_u32 s19, s11, s20
	s_addc_u32 s20, s16, s21
	v_lshlrev_b32_e32 v6, 2, v6
	v_fma_mix_f32 v0, v0, s17, v7 op_sel_hi:[0,0,1]
	s_delay_alu instid0(VALU_DEP_1) | instskip(NEXT) | instid1(VALU_DEP_1)
	v_add_f32_e32 v7, 0x40051340, v0
	v_max_f32_e32 v5, v5, v7
	v_cndmask_b32_e32 v7, v54, v77, vcc_lo
	v_cmp_gt_i32_e32 vcc_lo, 32, v78
	ds_bpermute_b32 v6, v6, v5
	s_waitcnt lgkmcnt(0)
	v_dual_max_f32 v6, v6, v6 :: v_dual_lshlrev_b32 v7, 2, v7
	s_delay_alu instid0(VALU_DEP_1) | instskip(SKIP_4) | instid1(VALU_DEP_2)
	v_max_f32_e32 v5, v5, v6
	ds_bpermute_b32 v6, v7, v5
	v_cndmask_b32_e32 v7, v54, v78, vcc_lo
	v_cmp_gt_i32_e32 vcc_lo, 32, v79
	s_waitcnt lgkmcnt(0)
	v_dual_max_f32 v6, v6, v6 :: v_dual_lshlrev_b32 v7, 2, v7
	s_delay_alu instid0(VALU_DEP_1) | instskip(SKIP_4) | instid1(VALU_DEP_2)
	v_max_f32_e32 v5, v5, v6
	ds_bpermute_b32 v6, v7, v5
	v_cndmask_b32_e32 v7, v54, v79, vcc_lo
	v_cmp_gt_i32_e32 vcc_lo, 32, v80
	s_waitcnt lgkmcnt(0)
	v_dual_max_f32 v6, v6, v6 :: v_dual_lshlrev_b32 v7, 2, v7
	s_delay_alu instid0(VALU_DEP_1)
	v_max_f32_e32 v5, v5, v6
	ds_bpermute_b32 v6, v7, v5
	v_cndmask_b32_e32 v7, v54, v80, vcc_lo
	v_add_co_u32 v8, vcc_lo, s19, v43
	v_add_co_ci_u32_e32 v21, vcc_lo, s20, v44, vcc_lo
	s_waitcnt lgkmcnt(0)
	s_delay_alu instid0(VALU_DEP_3) | instskip(NEXT) | instid1(VALU_DEP_1)
	v_dual_max_f32 v6, v6, v6 :: v_dual_lshlrev_b32 v7, 2, v7
	v_max_f32_e32 v5, v5, v6
	ds_bpermute_b32 v6, v7, v5
	s_waitcnt lgkmcnt(0)
	v_max_f32_e32 v6, v6, v6
	s_delay_alu instid0(VALU_DEP_1) | instskip(NEXT) | instid1(VALU_DEP_1)
	v_max_f32_e32 v51, v5, v6
	v_sub_f32_e32 v0, v0, v51
	v_sub_f32_e32 v75, v75, v51
	s_delay_alu instid0(VALU_DEP_1) | instskip(NEXT) | instid1(VALU_DEP_1)
	v_dual_mul_f32 v5, 0x3fb8aa3b, v0 :: v_dual_mul_f32 v140, 0x3fb8aa3b, v75
	v_fma_f32 v6, 0x3fb8aa3b, v0, -v5
	v_rndne_f32_e32 v7, v5
	s_delay_alu instid0(VALU_DEP_3) | instskip(SKIP_1) | instid1(VALU_DEP_3)
	v_fma_f32 v141, 0x3fb8aa3b, v75, -v140
	v_rndne_f32_e32 v142, v140
	v_dual_fmac_f32 v6, 0x32a5705f, v0 :: v_dual_sub_f32 v5, v5, v7
	v_cvt_i32_f32_e32 v7, v7
	s_delay_alu instid0(VALU_DEP_3) | instskip(NEXT) | instid1(VALU_DEP_3)
	v_dual_fmac_f32 v141, 0x32a5705f, v75 :: v_dual_sub_f32 v140, v140, v142
	v_add_f32_e32 v5, v5, v6
	v_add_co_u32 v6, vcc_lo, s19, v45
	v_add_co_ci_u32_e32 v22, vcc_lo, s20, v46, vcc_lo
	s_delay_alu instid0(VALU_DEP_3)
	v_exp_f32_e32 v5, v5
	v_add_co_u32 v23, vcc_lo, s19, v47
	v_add_co_ci_u32_e32 v24, vcc_lo, s20, v48, vcc_lo
	v_add_co_u32 v25, vcc_lo, s19, v49
	v_add_co_ci_u32_e32 v26, vcc_lo, s20, v50, vcc_lo
	;; [unrolled: 2-line block ×3, first 2 shown]
	s_delay_alu instid0(TRANS32_DEP_1)
	v_ldexp_f32 v5, v5, v7
	v_cmp_ngt_f32_e32 vcc_lo, 0xc2ce8ed0, v0
	s_or_b32 s19, s3, 16
	v_add_f32_e32 v140, v140, v141
	s_mul_hi_i32 s21, s19, s10
	s_mul_i32 s20, s19, s10
	v_cndmask_b32_e32 v5, 0, v5, vcc_lo
	v_add_co_u32 v92, vcc_lo, v6, v82
	v_add_co_ci_u32_e32 v93, vcc_lo, 0, v22, vcc_lo
	v_cmp_nlt_f32_e32 vcc_lo, 0x42b17218, v0
	s_lshl_b64 s[20:21], s[20:21], 2
	v_exp_f32_e32 v140, v140
	s_add_u32 s19, s11, s20
	s_addc_u32 s20, s16, s21
	v_cndmask_b32_e32 v83, 0x7f800000, v5, vcc_lo
	v_add_co_u32 v96, vcc_lo, v23, v82
	v_add_co_ci_u32_e32 v97, vcc_lo, 0, v24, vcc_lo
	s_delay_alu instid0(VALU_DEP_3)
	v_cvt_f16_f32_e32 v0, v83
	v_add_co_u32 v100, vcc_lo, v25, v82
	v_add_co_ci_u32_e32 v101, vcc_lo, 0, v26, vcc_lo
	ds_store_b16 v65, v0
	s_waitcnt vmcnt(3)
	ds_store_b128 v64, v[1:4]
	s_waitcnt vmcnt(2)
	ds_store_b128 v66, v[9:12]
	s_waitcnt vmcnt(1)
	ds_store_b128 v67, v[13:16]
	s_waitcnt vmcnt(0)
	ds_store_b128 v68, v[17:20]
	s_waitcnt lgkmcnt(0)
	s_barrier
	buffer_gl0_inv
	ds_load_2addr_b64 v[84:87], v69 offset1:32
	ds_load_b128 v[0:3], v63
	ds_load_2addr_b64 v[28:31], v69 offset0:64 offset1:96
	ds_load_2addr_b64 v[24:27], v69 offset0:128 offset1:160
	;; [unrolled: 1-line block ×3, first 2 shown]
	ds_load_2addr_b64 v[16:19], v81 offset1:32
	ds_load_2addr_b64 v[12:15], v81 offset0:64 offset1:96
	ds_load_2addr_b64 v[8:11], v81 offset0:128 offset1:160
	;; [unrolled: 1-line block ×3, first 2 shown]
	s_waitcnt lgkmcnt(0)
	s_barrier
	buffer_gl0_inv
	s_clause 0x3
	global_load_b128 v[88:91], v[88:89], off
	global_load_b128 v[92:95], v[92:93], off
	;; [unrolled: 1-line block ×4, first 2 shown]
	v_add_co_u32 v104, vcc_lo, s19, v43
	v_add_co_ci_u32_e32 v105, vcc_lo, s20, v44, vcc_lo
	v_add_co_u32 v106, vcc_lo, s19, v45
	v_add_co_ci_u32_e32 v107, vcc_lo, s20, v46, vcc_lo
	;; [unrolled: 2-line block ×8, first 2 shown]
	v_cvt_i32_f32_e32 v141, v142
	s_or_b32 s19, s3, 24
	v_cmp_ngt_f32_e32 vcc_lo, 0xc2ce8ed0, v75
	s_mul_hi_i32 s21, s19, s10
	s_mul_i32 s20, s19, s10
	v_ldexp_f32 v140, v140, v141
	s_lshl_b64 s[20:21], s[20:21], 2
	v_pk_mul_f16 v84, v84, v0 op_sel_hi:[1,0]
	s_add_u32 s19, s11, s20
	s_addc_u32 s20, s16, s21
	v_cndmask_b32_e32 v140, 0, v140, vcc_lo
	v_add_co_u32 v141, vcc_lo, s19, v43
	v_add_co_ci_u32_e32 v142, vcc_lo, s20, v44, vcc_lo
	v_cmp_nlt_f32_e32 vcc_lo, 0x42b17218, v75
	v_pk_mul_f16 v85, v85, v0 op_sel_hi:[1,0]
	s_waitcnt vmcnt(3)
	ds_store_b128 v64, v[88:91]
	s_waitcnt vmcnt(2)
	ds_store_b128 v66, v[92:95]
	;; [unrolled: 2-line block ×4, first 2 shown]
	v_cndmask_b32_e32 v152, 0x7f800000, v140, vcc_lo
	s_waitcnt lgkmcnt(0)
	s_barrier
	buffer_gl0_inv
	ds_load_2addr_b64 v[88:91], v69 offset1:32
	ds_load_b128 v[92:95], v63 offset:16
	ds_load_2addr_b64 v[96:99], v69 offset0:64 offset1:96
	ds_load_2addr_b64 v[100:103], v69 offset0:128 offset1:160
	;; [unrolled: 1-line block ×3, first 2 shown]
	ds_load_2addr_b64 v[108:111], v81 offset1:32
	ds_load_2addr_b64 v[112:115], v81 offset0:64 offset1:96
	ds_load_2addr_b64 v[116:119], v81 offset0:128 offset1:160
	;; [unrolled: 1-line block ×3, first 2 shown]
	s_waitcnt lgkmcnt(0)
	s_barrier
	buffer_gl0_inv
	s_clause 0x3
	global_load_b128 v[124:127], v[124:125], off
	global_load_b128 v[128:131], v[128:129], off
	;; [unrolled: 1-line block ×4, first 2 shown]
	v_cvt_f16_f32_e64 v140, v152
	v_add_co_u32 v75, vcc_lo, s19, v45
	v_add_co_ci_u32_e32 v143, vcc_lo, s20, v46, vcc_lo
	s_delay_alu instid0(VALU_DEP_3)
	v_pk_mul_f16 v72, v140, v72 op_sel_hi:[0,1]
	v_pk_mul_f16 v70, v140, v70 op_sel_hi:[0,1]
	v_pk_fma_f16 v73, v73, v140, v84 op_sel_hi:[1,0,1]
	v_pk_fma_f16 v74, v74, v140, v85 op_sel_hi:[1,0,1]
	v_add_co_u32 v144, vcc_lo, s19, v47
	v_pk_fma_f16 v72, v86, v0, v72 op_sel_hi:[1,0,1]
	v_pk_fma_f16 v70, v87, v0, v70 op_sel_hi:[1,0,1]
	v_add_co_ci_u32_e32 v145, vcc_lo, s20, v48, vcc_lo
	v_add_co_u32 v146, vcc_lo, s19, v49
	s_delay_alu instid0(VALU_DEP_4) | instskip(NEXT) | instid1(VALU_DEP_4)
	v_pk_fma_f16 v30, v30, v0, v72 op_sel:[0,1,0]
	v_pk_fma_f16 v31, v31, v0, v70 op_sel:[0,1,0]
	;; [unrolled: 1-line block ×4, first 2 shown]
	v_add_co_ci_u32_e32 v147, vcc_lo, s20, v50, vcc_lo
	v_add_co_u32 v140, vcc_lo, v141, v82
	v_add_co_ci_u32_e32 v141, vcc_lo, 0, v142, vcc_lo
	v_add_co_u32 v142, vcc_lo, v75, v82
	v_pk_fma_f16 v26, v26, v1, v30 op_sel_hi:[1,0,1]
	v_pk_fma_f16 v27, v27, v1, v31 op_sel_hi:[1,0,1]
	;; [unrolled: 1-line block ×4, first 2 shown]
	v_add_co_ci_u32_e32 v143, vcc_lo, 0, v143, vcc_lo
	v_add_co_u32 v144, vcc_lo, v144, v82
	v_add_co_ci_u32_e32 v145, vcc_lo, 0, v145, vcc_lo
	v_pk_fma_f16 v22, v22, v1, v26 op_sel:[0,1,0]
	v_pk_fma_f16 v23, v23, v1, v27 op_sel:[0,1,0]
	;; [unrolled: 1-line block ×4, first 2 shown]
	v_add_co_u32 v0, vcc_lo, v146, v82
	v_add_co_ci_u32_e32 v1, vcc_lo, 0, v147, vcc_lo
	v_pk_fma_f16 v70, v18, v2, v22 op_sel_hi:[1,0,1]
	v_pk_fma_f16 v82, v19, v2, v23 op_sel_hi:[1,0,1]
	;; [unrolled: 1-line block ×4, first 2 shown]
	v_fma_f32 v58, v58, v152, v83
	s_waitcnt vmcnt(3)
	ds_store_b128 v64, v[124:127]
	s_waitcnt vmcnt(2)
	ds_store_b128 v66, v[128:131]
	;; [unrolled: 2-line block ×4, first 2 shown]
	s_waitcnt lgkmcnt(0)
	s_barrier
	buffer_gl0_inv
	ds_load_2addr_b64 v[16:19], v69 offset1:32
	ds_load_b128 v[20:23], v63 offset:32
	ds_load_2addr_b64 v[24:27], v69 offset0:64 offset1:96
	ds_load_2addr_b64 v[28:31], v69 offset0:128 offset1:160
	ds_load_2addr_b64 v[72:75], v69 offset0:192 offset1:224
	ds_load_2addr_b64 v[84:87], v81 offset1:32
	ds_load_2addr_b64 v[124:127], v81 offset0:64 offset1:96
	ds_load_2addr_b64 v[128:131], v81 offset0:128 offset1:160
	;; [unrolled: 1-line block ×3, first 2 shown]
	s_waitcnt lgkmcnt(0)
	s_barrier
	buffer_gl0_inv
	s_clause 0x3
	global_load_b128 v[136:139], v[140:141], off
	global_load_b128 v[140:143], v[142:143], off
	;; [unrolled: 1-line block ×4, first 2 shown]
	v_pk_fma_f16 v0, v12, v2, v153 op_sel:[0,1,0]
	v_pk_fma_f16 v1, v13, v2, v154 op_sel:[0,1,0]
	;; [unrolled: 1-line block ×4, first 2 shown]
	s_waitcnt vmcnt(3)
	ds_store_b128 v64, v[136:139]
	s_waitcnt vmcnt(2)
	ds_store_b128 v66, v[140:143]
	;; [unrolled: 2-line block ×4, first 2 shown]
	v_pk_fma_f16 v0, v8, v3, v0 op_sel_hi:[1,0,1]
	v_pk_fma_f16 v1, v9, v3, v1 op_sel_hi:[1,0,1]
	;; [unrolled: 1-line block ×4, first 2 shown]
	s_waitcnt lgkmcnt(0)
	v_pk_fma_f16 v0, v4, v3, v0 op_sel:[0,1,0]
	v_pk_fma_f16 v1, v5, v3, v1 op_sel:[0,1,0]
	;; [unrolled: 1-line block ×4, first 2 shown]
	s_barrier
	v_pk_fma_f16 v0, v88, v92, v0 op_sel_hi:[1,0,1]
	v_pk_fma_f16 v1, v89, v92, v1 op_sel_hi:[1,0,1]
	;; [unrolled: 1-line block ×4, first 2 shown]
	buffer_gl0_inv
	v_pk_fma_f16 v0, v96, v92, v0 op_sel:[0,1,0]
	v_pk_fma_f16 v1, v97, v92, v1 op_sel:[0,1,0]
	;; [unrolled: 1-line block ×4, first 2 shown]
	s_delay_alu instid0(VALU_DEP_4) | instskip(NEXT) | instid1(VALU_DEP_4)
	v_pk_fma_f16 v0, v100, v93, v0 op_sel_hi:[1,0,1]
	v_pk_fma_f16 v1, v101, v93, v1 op_sel_hi:[1,0,1]
	s_delay_alu instid0(VALU_DEP_4) | instskip(NEXT) | instid1(VALU_DEP_4)
	v_pk_fma_f16 v3, v102, v93, v3 op_sel_hi:[1,0,1]
	v_pk_fma_f16 v2, v103, v93, v2 op_sel_hi:[1,0,1]
	s_delay_alu instid0(VALU_DEP_4) | instskip(NEXT) | instid1(VALU_DEP_4)
	v_pk_fma_f16 v0, v104, v93, v0 op_sel:[0,1,0]
	v_pk_fma_f16 v1, v105, v93, v1 op_sel:[0,1,0]
	s_delay_alu instid0(VALU_DEP_4) | instskip(NEXT) | instid1(VALU_DEP_4)
	v_pk_fma_f16 v3, v106, v93, v3 op_sel:[0,1,0]
	v_pk_fma_f16 v2, v107, v93, v2 op_sel:[0,1,0]
	s_delay_alu instid0(VALU_DEP_4) | instskip(NEXT) | instid1(VALU_DEP_4)
	v_pk_fma_f16 v0, v108, v94, v0 op_sel_hi:[1,0,1]
	v_pk_fma_f16 v1, v109, v94, v1 op_sel_hi:[1,0,1]
	s_delay_alu instid0(VALU_DEP_4) | instskip(NEXT) | instid1(VALU_DEP_4)
	v_pk_fma_f16 v3, v110, v94, v3 op_sel_hi:[1,0,1]
	v_pk_fma_f16 v2, v111, v94, v2 op_sel_hi:[1,0,1]
	s_delay_alu instid0(VALU_DEP_4) | instskip(NEXT) | instid1(VALU_DEP_4)
	v_pk_fma_f16 v0, v112, v94, v0 op_sel:[0,1,0]
	v_pk_fma_f16 v1, v113, v94, v1 op_sel:[0,1,0]
	s_delay_alu instid0(VALU_DEP_4) | instskip(NEXT) | instid1(VALU_DEP_4)
	v_pk_fma_f16 v3, v114, v94, v3 op_sel:[0,1,0]
	v_pk_fma_f16 v2, v115, v94, v2 op_sel:[0,1,0]
	s_delay_alu instid0(VALU_DEP_4) | instskip(NEXT) | instid1(VALU_DEP_4)
	v_pk_fma_f16 v0, v116, v95, v0 op_sel_hi:[1,0,1]
	v_pk_fma_f16 v1, v117, v95, v1 op_sel_hi:[1,0,1]
	s_delay_alu instid0(VALU_DEP_4) | instskip(NEXT) | instid1(VALU_DEP_4)
	v_pk_fma_f16 v3, v118, v95, v3 op_sel_hi:[1,0,1]
	v_pk_fma_f16 v2, v119, v95, v2 op_sel_hi:[1,0,1]
	s_delay_alu instid0(VALU_DEP_4) | instskip(NEXT) | instid1(VALU_DEP_4)
	v_pk_fma_f16 v0, v120, v95, v0 op_sel:[0,1,0]
	v_pk_fma_f16 v1, v121, v95, v1 op_sel:[0,1,0]
	s_delay_alu instid0(VALU_DEP_4) | instskip(NEXT) | instid1(VALU_DEP_4)
	v_pk_fma_f16 v3, v122, v95, v3 op_sel:[0,1,0]
	v_pk_fma_f16 v2, v123, v95, v2 op_sel:[0,1,0]
	s_delay_alu instid0(VALU_DEP_4) | instskip(NEXT) | instid1(VALU_DEP_4)
	v_pk_fma_f16 v0, v16, v20, v0 op_sel_hi:[1,0,1]
	v_pk_fma_f16 v1, v17, v20, v1 op_sel_hi:[1,0,1]
	s_delay_alu instid0(VALU_DEP_4) | instskip(NEXT) | instid1(VALU_DEP_4)
	v_pk_fma_f16 v3, v18, v20, v3 op_sel_hi:[1,0,1]
	v_pk_fma_f16 v2, v19, v20, v2 op_sel_hi:[1,0,1]
	s_delay_alu instid0(VALU_DEP_4) | instskip(NEXT) | instid1(VALU_DEP_4)
	v_pk_fma_f16 v0, v24, v20, v0 op_sel:[0,1,0]
	v_pk_fma_f16 v1, v25, v20, v1 op_sel:[0,1,0]
	s_delay_alu instid0(VALU_DEP_4) | instskip(NEXT) | instid1(VALU_DEP_4)
	v_pk_fma_f16 v3, v26, v20, v3 op_sel:[0,1,0]
	v_pk_fma_f16 v2, v27, v20, v2 op_sel:[0,1,0]
	s_delay_alu instid0(VALU_DEP_4) | instskip(NEXT) | instid1(VALU_DEP_4)
	v_pk_fma_f16 v0, v28, v21, v0 op_sel_hi:[1,0,1]
	v_pk_fma_f16 v1, v29, v21, v1 op_sel_hi:[1,0,1]
	s_delay_alu instid0(VALU_DEP_4) | instskip(NEXT) | instid1(VALU_DEP_4)
	v_pk_fma_f16 v3, v30, v21, v3 op_sel_hi:[1,0,1]
	v_pk_fma_f16 v2, v31, v21, v2 op_sel_hi:[1,0,1]
	s_delay_alu instid0(VALU_DEP_4) | instskip(NEXT) | instid1(VALU_DEP_4)
	v_pk_fma_f16 v0, v72, v21, v0 op_sel:[0,1,0]
	v_pk_fma_f16 v1, v73, v21, v1 op_sel:[0,1,0]
	s_delay_alu instid0(VALU_DEP_4) | instskip(NEXT) | instid1(VALU_DEP_4)
	v_pk_fma_f16 v3, v74, v21, v3 op_sel:[0,1,0]
	v_pk_fma_f16 v2, v75, v21, v2 op_sel:[0,1,0]
	s_delay_alu instid0(VALU_DEP_4) | instskip(NEXT) | instid1(VALU_DEP_4)
	v_pk_fma_f16 v0, v84, v22, v0 op_sel_hi:[1,0,1]
	v_pk_fma_f16 v8, v85, v22, v1 op_sel_hi:[1,0,1]
	s_delay_alu instid0(VALU_DEP_4) | instskip(NEXT) | instid1(VALU_DEP_4)
	v_pk_fma_f16 v9, v86, v22, v3 op_sel_hi:[1,0,1]
	v_pk_fma_f16 v10, v87, v22, v2 op_sel_hi:[1,0,1]
	s_delay_alu instid0(VALU_DEP_4)
	v_pk_fma_f16 v11, v124, v22, v0 op_sel:[0,1,0]
	ds_load_2addr_b64 v[0:3], v69 offset1:32
	ds_load_b128 v[4:7], v63 offset:48
	v_pk_fma_f16 v12, v125, v22, v8 op_sel:[0,1,0]
	v_pk_fma_f16 v13, v126, v22, v9 op_sel:[0,1,0]
	;; [unrolled: 1-line block ×3, first 2 shown]
	v_pk_fma_f16 v15, v128, v23, v11 op_sel_hi:[1,0,1]
	ds_load_2addr_b64 v[8:11], v69 offset0:64 offset1:96
	v_pk_fma_f16 v16, v129, v23, v12 op_sel_hi:[1,0,1]
	v_pk_fma_f16 v17, v130, v23, v13 op_sel_hi:[1,0,1]
	;; [unrolled: 1-line block ×3, first 2 shown]
	v_pk_fma_f16 v70, v132, v23, v15 op_sel:[0,1,0]
	ds_load_2addr_b64 v[12:15], v69 offset0:128 offset1:160
	v_pk_fma_f16 v72, v133, v23, v16 op_sel:[0,1,0]
	v_pk_fma_f16 v73, v134, v23, v17 op_sel:[0,1,0]
	;; [unrolled: 1-line block ×3, first 2 shown]
	ds_load_2addr_b64 v[16:19], v69 offset0:192 offset1:224
	ds_load_2addr_b64 v[20:23], v81 offset1:32
	ds_load_2addr_b64 v[24:27], v81 offset0:64 offset1:96
	ds_load_2addr_b64 v[28:31], v81 offset0:128 offset1:160
	;; [unrolled: 1-line block ×3, first 2 shown]
	s_waitcnt lgkmcnt(0)
	s_barrier
	buffer_gl0_inv
	s_load_b32 s19, s[4:5], 0x4
	v_pk_fma_f16 v0, v0, v4, v70 op_sel_hi:[1,0,1]
	v_pk_fma_f16 v1, v1, v4, v72 op_sel_hi:[1,0,1]
	v_pk_fma_f16 v2, v2, v4, v73 op_sel_hi:[1,0,1]
	v_pk_fma_f16 v3, v3, v4, v74 op_sel_hi:[1,0,1]
	s_delay_alu instid0(VALU_DEP_4) | instskip(NEXT) | instid1(VALU_DEP_4)
	v_pk_fma_f16 v0, v8, v4, v0 op_sel:[0,1,0]
	v_pk_fma_f16 v1, v9, v4, v1 op_sel:[0,1,0]
	s_delay_alu instid0(VALU_DEP_4) | instskip(NEXT) | instid1(VALU_DEP_4)
	v_pk_fma_f16 v2, v10, v4, v2 op_sel:[0,1,0]
	v_pk_fma_f16 v3, v11, v4, v3 op_sel:[0,1,0]
	s_delay_alu instid0(VALU_DEP_4) | instskip(NEXT) | instid1(VALU_DEP_4)
	v_pk_fma_f16 v0, v12, v5, v0 op_sel_hi:[1,0,1]
	v_pk_fma_f16 v1, v13, v5, v1 op_sel_hi:[1,0,1]
	s_delay_alu instid0(VALU_DEP_4) | instskip(NEXT) | instid1(VALU_DEP_4)
	v_pk_fma_f16 v2, v14, v5, v2 op_sel_hi:[1,0,1]
	v_pk_fma_f16 v3, v15, v5, v3 op_sel_hi:[1,0,1]
	s_delay_alu instid0(VALU_DEP_4) | instskip(NEXT) | instid1(VALU_DEP_4)
	v_pk_fma_f16 v0, v16, v5, v0 op_sel:[0,1,0]
	v_pk_fma_f16 v1, v17, v5, v1 op_sel:[0,1,0]
	s_delay_alu instid0(VALU_DEP_4) | instskip(NEXT) | instid1(VALU_DEP_4)
	v_pk_fma_f16 v2, v18, v5, v2 op_sel:[0,1,0]
	v_pk_fma_f16 v3, v19, v5, v3 op_sel:[0,1,0]
	s_waitcnt lgkmcnt(0)
	s_lshl_b32 s19, s19, 5
	v_pk_fma_f16 v0, v20, v6, v0 op_sel_hi:[1,0,1]
	v_pk_fma_f16 v1, v21, v6, v1 op_sel_hi:[1,0,1]
	;; [unrolled: 1-line block ×4, first 2 shown]
	s_add_i32 s3, s19, s3
	v_pk_fma_f16 v0, v24, v6, v0 op_sel:[0,1,0]
	v_pk_fma_f16 v1, v25, v6, v1 op_sel:[0,1,0]
	;; [unrolled: 1-line block ×4, first 2 shown]
	s_cmp_lt_i32 s3, s2
	v_pk_fma_f16 v0, v28, v7, v0 op_sel_hi:[1,0,1]
	v_pk_fma_f16 v1, v29, v7, v1 op_sel_hi:[1,0,1]
	;; [unrolled: 1-line block ×4, first 2 shown]
	s_delay_alu instid0(VALU_DEP_4) | instskip(NEXT) | instid1(VALU_DEP_4)
	v_pk_fma_f16 v73, v84, v7, v0 op_sel:[0,1,0]
	v_pk_fma_f16 v74, v85, v7, v1 op_sel:[0,1,0]
	s_delay_alu instid0(VALU_DEP_4) | instskip(NEXT) | instid1(VALU_DEP_4)
	v_pk_fma_f16 v72, v86, v7, v2 op_sel:[0,1,0]
	v_pk_fma_f16 v70, v87, v7, v3 op_sel:[0,1,0]
	s_cbranch_scc0 .LBB69_15
; %bb.14:                               ;   in Loop: Header=BB69_9 Depth=1
	v_mov_b32_e32 v75, v51
	s_branch .LBB69_9
.LBB69_15:
	v_mov_b32_e32 v3, v54
.LBB69_16:
	v_cmp_lt_i32_e32 vcc_lo, v76, v55
	s_cmp_eq_u64 s[24:25], 0
	s_cselect_b32 s2, -1, 0
	s_cmp_lg_u32 s14, 0
	v_cndmask_b32_e32 v0, v3, v76, vcc_lo
	v_cmp_lt_i32_e32 vcc_lo, v77, v55
	s_cselect_b32 s3, -1, 0
	s_delay_alu instid0(SALU_CYCLE_1) | instskip(SKIP_2) | instid1(VALU_DEP_2)
	s_or_b32 s2, s3, s2
	v_cndmask_b32_e32 v1, v3, v77, vcc_lo
	v_cmp_lt_i32_e32 vcc_lo, v78, v55
	v_lshlrev_b32_e32 v1, 2, v1
	v_lshlrev_b32_e32 v0, 2, v0
	v_cndmask_b32_e32 v2, v3, v78, vcc_lo
	v_cmp_lt_i32_e32 vcc_lo, v79, v55
	ds_bpermute_b32 v0, v0, v58
	v_lshlrev_b32_e32 v2, 2, v2
	s_waitcnt lgkmcnt(0)
	v_add_f32_e32 v0, v58, v0
	ds_bpermute_b32 v1, v1, v0
	s_waitcnt lgkmcnt(0)
	v_add_f32_e32 v0, v0, v1
	ds_bpermute_b32 v1, v2, v0
	v_cndmask_b32_e32 v2, v3, v79, vcc_lo
	v_cmp_lt_i32_e32 vcc_lo, v80, v55
	s_delay_alu instid0(VALU_DEP_2)
	v_lshlrev_b32_e32 v2, 2, v2
	s_waitcnt lgkmcnt(0)
	v_add_f32_e32 v0, v0, v1
	ds_bpermute_b32 v1, v2, v0
	v_cndmask_b32_e32 v2, v3, v80, vcc_lo
	s_and_b32 vcc_lo, exec_lo, s2
	s_waitcnt lgkmcnt(0)
	s_delay_alu instid0(VALU_DEP_1)
	v_dual_add_f32 v1, v0, v1 :: v_dual_lshlrev_b32 v2, 2, v2
	v_add_nc_u32_e32 v0, s15, v52
	ds_bpermute_b32 v2, v2, v1
	s_waitcnt lgkmcnt(0)
	v_add_f32_e32 v52, v1, v2
	s_cbranch_vccnz .LBB69_18
; %bb.17:
	v_ashrrev_i32_e32 v1, 31, v0
	s_delay_alu instid0(VALU_DEP_1) | instskip(NEXT) | instid1(VALU_DEP_1)
	v_lshlrev_b64 v[1:2], 2, v[0:1]
	v_add_co_u32 v1, vcc_lo, s24, v1
	s_delay_alu instid0(VALU_DEP_2) | instskip(SKIP_3) | instid1(VALU_DEP_1)
	v_add_co_ci_u32_e32 v2, vcc_lo, s25, v2, vcc_lo
	global_load_b32 v1, v[1:2], off
	s_waitcnt vmcnt(0)
	v_dual_max_f32 v2, v51, v51 :: v_dual_max_f32 v3, v1, v1
	v_max_f32_e32 v2, v2, v3
	s_delay_alu instid0(VALU_DEP_1) | instskip(NEXT) | instid1(VALU_DEP_1)
	v_sub_f32_e32 v1, v1, v2
	v_mul_f32_e32 v5, 0x3fb8aa3b, v1
	v_sub_f32_e32 v3, v51, v2
	v_mov_b32_e32 v51, v2
	s_delay_alu instid0(VALU_DEP_3) | instskip(NEXT) | instid1(VALU_DEP_3)
	v_rndne_f32_e32 v9, v5
	v_mul_f32_e32 v4, 0x3fb8aa3b, v3
	v_fma_f32 v8, 0x3fb8aa3b, v1, -v5
	s_delay_alu instid0(VALU_DEP_3) | instskip(NEXT) | instid1(VALU_DEP_3)
	v_sub_f32_e32 v5, v5, v9
	v_fma_f32 v6, 0x3fb8aa3b, v3, -v4
	v_rndne_f32_e32 v7, v4
	s_delay_alu instid0(VALU_DEP_4) | instskip(NEXT) | instid1(VALU_DEP_2)
	v_fmac_f32_e32 v8, 0x32a5705f, v1
	v_sub_f32_e32 v4, v4, v7
	s_delay_alu instid0(VALU_DEP_4) | instskip(SKIP_1) | instid1(VALU_DEP_2)
	v_fmac_f32_e32 v6, 0x32a5705f, v3
	v_cmp_ngt_f32_e32 vcc_lo, 0xc2ce8ed0, v3
	v_dual_add_f32 v5, v5, v8 :: v_dual_add_f32 v4, v4, v6
	v_cvt_i32_f32_e32 v6, v7
	s_delay_alu instid0(VALU_DEP_2) | instskip(SKIP_1) | instid1(VALU_DEP_3)
	v_exp_f32_e32 v5, v5
	v_cvt_i32_f32_e32 v7, v9
	v_exp_f32_e32 v4, v4
	s_waitcnt_depctr 0xfff
	v_ldexp_f32 v5, v5, v7
	v_ldexp_f32 v4, v4, v6
	s_delay_alu instid0(VALU_DEP_1) | instskip(SKIP_1) | instid1(VALU_DEP_4)
	v_cndmask_b32_e32 v4, 0, v4, vcc_lo
	v_cmp_ngt_f32_e32 vcc_lo, 0xc2ce8ed0, v1
	v_cndmask_b32_e32 v5, 0, v5, vcc_lo
	v_cmp_nlt_f32_e32 vcc_lo, 0x42b17218, v3
	s_delay_alu instid0(VALU_DEP_4) | instskip(SKIP_1) | instid1(VALU_DEP_4)
	v_cndmask_b32_e32 v3, 0x7f800000, v4, vcc_lo
	v_cmp_nlt_f32_e32 vcc_lo, 0x42b17218, v1
	v_cndmask_b32_e32 v1, 0x7f800000, v5, vcc_lo
	s_delay_alu instid0(VALU_DEP_1) | instskip(NEXT) | instid1(VALU_DEP_1)
	v_fmac_f32_e32 v1, v52, v3
	v_mov_b32_e32 v52, v1
	v_cvt_f16_f32_e32 v4, v3
	s_delay_alu instid0(VALU_DEP_1)
	v_pk_mul_f16 v73, v4, v73 op_sel_hi:[0,1]
	v_pk_mul_f16 v74, v4, v74 op_sel_hi:[0,1]
	;; [unrolled: 1-line block ×4, first 2 shown]
.LBB69_18:
	s_delay_alu instid0(VALU_DEP_1) | instskip(SKIP_2) | instid1(VALU_DEP_2)
	v_div_scale_f32 v4, null, v52, v52, 1.0
	s_load_b32 s1, s[0:1], 0xd4
	v_mad_u64_u32 v[1:2], null, s12, s6, v[33:34]
	v_rcp_f32_e32 v5, v4
	v_div_scale_f32 v7, vcc_lo, 1.0, v52, 1.0
	v_lshrrev_b32_e32 v8, 16, v73
	v_lshrrev_b32_e32 v10, 16, v70
	;; [unrolled: 1-line block ×3, first 2 shown]
	v_mad_u64_u32 v[2:3], null, v1, s7, v[0:1]
	v_lshrrev_b32_e32 v3, 16, v74
	v_cvt_f32_f16_e32 v8, v8
	s_delay_alu instid0(TRANS32_DEP_1)
	v_fma_f32 v6, -v4, v5, 1.0
	v_cvt_f32_f16_e32 v13, v73
	v_cvt_f32_f16_e32 v14, v70
	;; [unrolled: 1-line block ×4, first 2 shown]
	v_fmac_f32_e32 v5, v6, v5
	v_cvt_f32_f16_e32 v6, v74
	s_waitcnt lgkmcnt(0)
	v_mad_u64_u32 v[0:1], null, s1, v2, s[14:15]
	s_delay_alu instid0(VALU_DEP_3)
	v_dual_mov_b32 v2, 0 :: v_dual_mul_f32 v9, v7, v5
	s_cmp_lg_u32 s1, 1
	v_cvt_f32_f16_e32 v17, v11
	s_cselect_b32 s1, -1, 0
	v_cmp_eq_u32_e64 s0, 0, v32
	v_fma_f32 v1, -v4, v9, v7
	s_delay_alu instid0(VALU_DEP_2) | instskip(NEXT) | instid1(VALU_DEP_1)
	s_and_b32 s0, s0, s1
	v_fmac_f32_e32 v9, v1, v5
	v_lshl_add_u32 v1, v0, 8, v53
	s_delay_alu instid0(VALU_DEP_2) | instskip(NEXT) | instid1(VALU_DEP_2)
	v_fma_f32 v7, -v4, v9, v7
	v_lshlrev_b64 v[3:4], 2, v[1:2]
	s_delay_alu instid0(VALU_DEP_2) | instskip(SKIP_1) | instid1(VALU_DEP_3)
	v_div_fmas_f32 v5, v7, v5, v9
	v_cvt_f32_f16_e32 v7, v10
	v_add_co_u32 v9, vcc_lo, s28, v3
	s_delay_alu instid0(VALU_DEP_4) | instskip(NEXT) | instid1(VALU_DEP_4)
	v_add_co_ci_u32_e32 v10, vcc_lo, s29, v4, vcc_lo
	v_div_fixup_f32 v5, v5, v52, 1.0
	s_delay_alu instid0(VALU_DEP_1) | instskip(NEXT) | instid1(VALU_DEP_1)
	v_cndmask_b32_e64 v5, v5, 1.0, s1
	v_dual_mul_f32 v4, v5, v16 :: v_dual_add_nc_u32 v1, 0x80, v1
	s_delay_alu instid0(VALU_DEP_1) | instskip(SKIP_2) | instid1(VALU_DEP_3)
	v_lshlrev_b64 v[1:2], 2, v[1:2]
	v_mul_f32_e32 v3, v5, v6
	v_mul_f32_e32 v6, v5, v17
	v_add_co_u32 v11, vcc_lo, s28, v1
	s_delay_alu instid0(VALU_DEP_4)
	v_add_co_ci_u32_e32 v12, vcc_lo, s29, v2, vcc_lo
	v_mul_f32_e32 v2, v5, v8
	v_mul_f32_e32 v1, v5, v13
	;; [unrolled: 1-line block ×5, first 2 shown]
	s_clause 0x1
	global_store_b128 v[9:10], v[1:4], off
	global_store_b128 v[11:12], v[5:8], off
	s_and_saveexec_b32 s1, s0
	s_cbranch_execz .LBB69_20
; %bb.19:
	v_ashrrev_i32_e32 v1, 31, v0
	s_delay_alu instid0(VALU_DEP_1) | instskip(NEXT) | instid1(VALU_DEP_1)
	v_lshlrev_b64 v[0:1], 3, v[0:1]
	v_add_co_u32 v0, vcc_lo, s30, v0
	s_delay_alu instid0(VALU_DEP_2)
	v_add_co_ci_u32_e32 v1, vcc_lo, s31, v1, vcc_lo
	global_store_b64 v[0:1], v[51:52], off
.LBB69_20:
	s_nop 0
	s_sendmsg sendmsg(MSG_DEALLOC_VGPRS)
	s_endpgm
	.section	.rodata,"a",@progbits
	.p2align	6, 0x0
	.amdhsa_kernel _ZL15flash_attn_tileILi256ELi256ELi1ELi2ELb1EEvPKcS1_S1_S1_S1_PKiPfP15HIP_vector_typeIfLj2EEffffjfiS5_IjLj3EEiiiiiiiiiiiliiliiiiil
		.amdhsa_group_segment_fixed_size 5760
		.amdhsa_private_segment_fixed_size 0
		.amdhsa_kernarg_size 464
		.amdhsa_user_sgpr_count 13
		.amdhsa_user_sgpr_dispatch_ptr 0
		.amdhsa_user_sgpr_queue_ptr 0
		.amdhsa_user_sgpr_kernarg_segment_ptr 1
		.amdhsa_user_sgpr_dispatch_id 0
		.amdhsa_user_sgpr_private_segment_size 0
		.amdhsa_wavefront_size32 1
		.amdhsa_uses_dynamic_stack 0
		.amdhsa_enable_private_segment 0
		.amdhsa_system_sgpr_workgroup_id_x 1
		.amdhsa_system_sgpr_workgroup_id_y 1
		.amdhsa_system_sgpr_workgroup_id_z 1
		.amdhsa_system_sgpr_workgroup_info 0
		.amdhsa_system_vgpr_workitem_id 1
		.amdhsa_next_free_vgpr 155
		.amdhsa_next_free_sgpr 40
		.amdhsa_reserve_vcc 1
		.amdhsa_float_round_mode_32 0
		.amdhsa_float_round_mode_16_64 0
		.amdhsa_float_denorm_mode_32 3
		.amdhsa_float_denorm_mode_16_64 3
		.amdhsa_dx10_clamp 1
		.amdhsa_ieee_mode 1
		.amdhsa_fp16_overflow 0
		.amdhsa_workgroup_processor_mode 1
		.amdhsa_memory_ordered 1
		.amdhsa_forward_progress 0
		.amdhsa_shared_vgpr_count 0
		.amdhsa_exception_fp_ieee_invalid_op 0
		.amdhsa_exception_fp_denorm_src 0
		.amdhsa_exception_fp_ieee_div_zero 0
		.amdhsa_exception_fp_ieee_overflow 0
		.amdhsa_exception_fp_ieee_underflow 0
		.amdhsa_exception_fp_ieee_inexact 0
		.amdhsa_exception_int_div_zero 0
	.end_amdhsa_kernel
	.section	.text._ZL15flash_attn_tileILi256ELi256ELi1ELi2ELb1EEvPKcS1_S1_S1_S1_PKiPfP15HIP_vector_typeIfLj2EEffffjfiS5_IjLj3EEiiiiiiiiiiiliiliiiiil,"axG",@progbits,_ZL15flash_attn_tileILi256ELi256ELi1ELi2ELb1EEvPKcS1_S1_S1_S1_PKiPfP15HIP_vector_typeIfLj2EEffffjfiS5_IjLj3EEiiiiiiiiiiiliiliiiiil,comdat
.Lfunc_end69:
	.size	_ZL15flash_attn_tileILi256ELi256ELi1ELi2ELb1EEvPKcS1_S1_S1_S1_PKiPfP15HIP_vector_typeIfLj2EEffffjfiS5_IjLj3EEiiiiiiiiiiiliiliiiiil, .Lfunc_end69-_ZL15flash_attn_tileILi256ELi256ELi1ELi2ELb1EEvPKcS1_S1_S1_S1_PKiPfP15HIP_vector_typeIfLj2EEffffjfiS5_IjLj3EEiiiiiiiiiiiliiliiiiil
                                        ; -- End function
	.section	.AMDGPU.csdata,"",@progbits
; Kernel info:
; codeLenInByte = 9636
; NumSgprs: 42
; NumVgprs: 155
; ScratchSize: 0
; MemoryBound: 0
; FloatMode: 240
; IeeeMode: 1
; LDSByteSize: 5760 bytes/workgroup (compile time only)
; SGPRBlocks: 5
; VGPRBlocks: 19
; NumSGPRsForWavesPerEU: 42
; NumVGPRsForWavesPerEU: 155
; Occupancy: 9
; WaveLimiterHint : 1
; COMPUTE_PGM_RSRC2:SCRATCH_EN: 0
; COMPUTE_PGM_RSRC2:USER_SGPR: 13
; COMPUTE_PGM_RSRC2:TRAP_HANDLER: 0
; COMPUTE_PGM_RSRC2:TGID_X_EN: 1
; COMPUTE_PGM_RSRC2:TGID_Y_EN: 1
; COMPUTE_PGM_RSRC2:TGID_Z_EN: 1
; COMPUTE_PGM_RSRC2:TIDIG_COMP_CNT: 1
	.section	.text._ZL15flash_attn_tileILi256ELi256ELi32ELi1ELb1EEvPKcS1_S1_S1_S1_PKiPfP15HIP_vector_typeIfLj2EEffffjfiS5_IjLj3EEiiiiiiiiiiiliiliiiiil,"axG",@progbits,_ZL15flash_attn_tileILi256ELi256ELi32ELi1ELb1EEvPKcS1_S1_S1_S1_PKiPfP15HIP_vector_typeIfLj2EEffffjfiS5_IjLj3EEiiiiiiiiiiiliiliiiiil,comdat
	.globl	_ZL15flash_attn_tileILi256ELi256ELi32ELi1ELb1EEvPKcS1_S1_S1_S1_PKiPfP15HIP_vector_typeIfLj2EEffffjfiS5_IjLj3EEiiiiiiiiiiiliiliiiiil ; -- Begin function _ZL15flash_attn_tileILi256ELi256ELi32ELi1ELb1EEvPKcS1_S1_S1_S1_PKiPfP15HIP_vector_typeIfLj2EEffffjfiS5_IjLj3EEiiiiiiiiiiiliiliiiiil
	.p2align	8
	.type	_ZL15flash_attn_tileILi256ELi256ELi32ELi1ELb1EEvPKcS1_S1_S1_S1_PKiPfP15HIP_vector_typeIfLj2EEffffjfiS5_IjLj3EEiiiiiiiiiiiliiliiiiil,@function
_ZL15flash_attn_tileILi256ELi256ELi32ELi1ELb1EEvPKcS1_S1_S1_S1_PKiPfP15HIP_vector_typeIfLj2EEffffjfiS5_IjLj3EEiiiiiiiiiiiliiliiiiil: ; @_ZL15flash_attn_tileILi256ELi256ELi32ELi1ELb1EEvPKcS1_S1_S1_S1_PKiPfP15HIP_vector_typeIfLj2EEffffjfiS5_IjLj3EEiiiiiiiiiiiliiliiiiil
; %bb.0:
	s_clause 0x3
	s_load_b128 s[36:39], s[2:3], 0x5c
	s_load_b64 s[42:43], s[2:3], 0x80
	s_load_b512 s[16:31], s[2:3], 0x0
	s_load_b64 s[44:45], s[2:3], 0xb8
	s_mov_b64 s[40:41], 0
	s_waitcnt lgkmcnt(0)
	v_cvt_f32_u32_e32 v1, s39
	s_sub_i32 s5, 0, s39
	s_delay_alu instid0(VALU_DEP_1) | instskip(SKIP_2) | instid1(VALU_DEP_1)
	v_rcp_iflag_f32_e32 v1, v1
	s_waitcnt_depctr 0xfff
	v_mul_f32_e32 v1, 0x4f7ffffe, v1
	v_cvt_u32_f32_e32 v1, v1
	s_delay_alu instid0(VALU_DEP_1) | instskip(NEXT) | instid1(VALU_DEP_1)
	v_readfirstlane_b32 s4, v1
	s_mul_i32 s5, s5, s4
	s_delay_alu instid0(SALU_CYCLE_1) | instskip(NEXT) | instid1(SALU_CYCLE_1)
	s_mul_hi_u32 s5, s4, s5
	s_add_i32 s4, s4, s5
	s_delay_alu instid0(SALU_CYCLE_1) | instskip(NEXT) | instid1(SALU_CYCLE_1)
	s_mul_hi_u32 s4, s15, s4
	s_mul_i32 s5, s4, s39
	s_add_i32 s6, s4, 1
	s_sub_i32 s5, s15, s5
	s_delay_alu instid0(SALU_CYCLE_1)
	s_sub_i32 s7, s5, s39
	s_cmp_ge_u32 s5, s39
	s_cselect_b32 s4, s6, s4
	s_cselect_b32 s5, s7, s5
	s_add_i32 s6, s4, 1
	s_cmp_ge_u32 s5, s39
	s_cselect_b32 s33, s6, s4
	s_abs_i32 s4, s43
	s_abs_i32 s8, s39
	v_cvt_f32_u32_e32 v1, s4
	s_sub_i32 s6, 0, s4
	s_mul_i32 s7, s33, s39
	s_delay_alu instid0(SALU_CYCLE_1) | instskip(NEXT) | instid1(VALU_DEP_1)
	s_sub_i32 s34, s15, s7
	v_rcp_iflag_f32_e32 v1, v1
	s_waitcnt_depctr 0xfff
	v_mul_f32_e32 v1, 0x4f7ffffe, v1
	s_delay_alu instid0(VALU_DEP_1) | instskip(NEXT) | instid1(VALU_DEP_1)
	v_cvt_u32_f32_e32 v1, v1
	v_readfirstlane_b32 s5, v1
	s_delay_alu instid0(VALU_DEP_1) | instskip(NEXT) | instid1(SALU_CYCLE_1)
	s_mul_i32 s6, s6, s5
	s_mul_hi_u32 s6, s5, s6
	s_delay_alu instid0(SALU_CYCLE_1) | instskip(SKIP_4) | instid1(SALU_CYCLE_1)
	s_add_i32 s5, s5, s6
	s_xor_b32 s6, s39, s43
	s_mul_hi_u32 s5, s8, s5
	s_ashr_i32 s6, s6, 31
	s_mul_i32 s7, s5, s4
	s_sub_i32 s7, s8, s7
	s_add_i32 s8, s5, 1
	s_sub_i32 s9, s7, s4
	s_cmp_ge_u32 s7, s4
	s_cselect_b32 s5, s8, s5
	s_cselect_b32 s7, s9, s7
	s_add_i32 s8, s5, 1
	s_cmp_ge_u32 s7, s4
	s_cselect_b32 s4, s8, s5
	s_abs_i32 s15, s34
	s_xor_b32 s4, s4, s6
	s_delay_alu instid0(SALU_CYCLE_1) | instskip(NEXT) | instid1(SALU_CYCLE_1)
	s_sub_i32 s43, s4, s6
	s_abs_i32 s12, s43
	s_delay_alu instid0(SALU_CYCLE_1) | instskip(SKIP_1) | instid1(VALU_DEP_1)
	v_cvt_f32_u32_e32 v1, s12
	s_sub_i32 s5, 0, s12
	v_rcp_iflag_f32_e32 v1, v1
	s_waitcnt_depctr 0xfff
	v_mul_f32_e32 v1, 0x4f7ffffe, v1
	s_delay_alu instid0(VALU_DEP_1) | instskip(NEXT) | instid1(VALU_DEP_1)
	v_cvt_u32_f32_e32 v1, v1
	v_readfirstlane_b32 s4, v1
	s_delay_alu instid0(VALU_DEP_1) | instskip(NEXT) | instid1(SALU_CYCLE_1)
	s_mul_i32 s5, s5, s4
	s_mul_hi_u32 s5, s4, s5
	s_delay_alu instid0(SALU_CYCLE_1)
	s_add_i32 s4, s4, s5
	s_cmp_eq_u64 s[22:23], 0
	s_cbranch_scc1 .LBB70_2
; %bb.1:
	s_abs_i32 s5, s44
	s_abs_i32 s8, s33
	v_cvt_f32_u32_e32 v1, s5
	s_sub_i32 s7, 0, s5
	s_delay_alu instid0(VALU_DEP_1) | instskip(SKIP_2) | instid1(VALU_DEP_1)
	v_rcp_iflag_f32_e32 v1, v1
	s_waitcnt_depctr 0xfff
	v_mul_f32_e32 v1, 0x4f7ffffe, v1
	v_cvt_u32_f32_e32 v1, v1
	s_delay_alu instid0(VALU_DEP_1) | instskip(NEXT) | instid1(VALU_DEP_1)
	v_readfirstlane_b32 s6, v1
	s_mul_i32 s7, s7, s6
	s_delay_alu instid0(SALU_CYCLE_1) | instskip(NEXT) | instid1(SALU_CYCLE_1)
	s_mul_hi_u32 s7, s6, s7
	s_add_i32 s9, s6, s7
	s_load_b64 s[6:7], s[2:3], 0xc8
	s_mul_hi_u32 s9, s8, s9
	s_delay_alu instid0(SALU_CYCLE_1) | instskip(NEXT) | instid1(SALU_CYCLE_1)
	s_mul_i32 s9, s9, s5
	s_sub_i32 s8, s8, s9
	s_ashr_i32 s9, s33, 31
	s_sub_i32 s10, s8, s5
	s_cmp_ge_u32 s8, s5
	s_cselect_b32 s8, s10, s8
	s_delay_alu instid0(SALU_CYCLE_1) | instskip(SKIP_2) | instid1(SALU_CYCLE_1)
	s_sub_i32 s10, s8, s5
	s_cmp_ge_u32 s8, s5
	s_cselect_b32 s5, s10, s8
	s_xor_b32 s5, s5, s9
	s_delay_alu instid0(SALU_CYCLE_1)
	s_sub_i32 s5, s5, s9
	s_waitcnt lgkmcnt(0)
	s_mul_i32 s7, s5, s7
	s_mul_hi_u32 s8, s5, s6
	s_ashr_i32 s9, s5, 31
	s_add_i32 s7, s8, s7
	s_mul_i32 s9, s9, s6
	s_mul_i32 s5, s5, s6
	s_add_i32 s7, s7, s9
	s_add_u32 s40, s22, s5
	s_addc_u32 s41, s23, s7
.LBB70_2:
	s_clause 0x1
	s_load_b128 s[8:11], s[2:3], 0x40
	s_load_b64 s[22:23], s[2:3], 0x50
	v_mov_b32_e32 v48, 1.0
	s_waitcnt lgkmcnt(0)
	v_cmp_le_f32_e64 s5, s9, 0
	s_mul_hi_u32 s9, s15, s4
	s_delay_alu instid0(VALU_DEP_1)
	s_and_b32 vcc_lo, exec_lo, s5
	s_cbranch_vccnz .LBB70_4
; %bb.3:
	s_sub_i32 s4, s34, s22
	s_add_i32 s5, s34, 1
	s_lshl_b32 s4, s4, 1
	v_mov_b32_e32 v1, s10
	s_or_b32 s4, s4, 1
	s_cmp_lt_u32 s34, s22
	s_cselect_b32 vcc_lo, -1, 0
	s_delay_alu instid0(VALU_DEP_1)
	v_cndmask_b32_e32 v3, s11, v1, vcc_lo
	s_and_b32 s6, vcc_lo, exec_lo
	s_cselect_b32 s4, s5, s4
	s_mov_b32 s5, 0x3e76c4e1
	v_cvt_f32_i32_e32 v1, s4
	v_cmp_neq_f32_e32 vcc_lo, 1.0, v3
	s_delay_alu instid0(VALU_DEP_2) | instskip(NEXT) | instid1(VALU_DEP_1)
	v_cndmask_b32_e32 v4, 1.0, v1, vcc_lo
	v_cmp_eq_f32_e32 vcc_lo, 0, v4
	v_cndmask_b32_e64 v5, |v3|, 1.0, vcc_lo
	s_delay_alu instid0(VALU_DEP_1) | instskip(NEXT) | instid1(VALU_DEP_1)
	v_frexp_mant_f32_e32 v1, v5
	v_cmp_gt_f32_e64 s4, 0x3f2aaaab, v1
	s_delay_alu instid0(VALU_DEP_1) | instskip(NEXT) | instid1(VALU_DEP_1)
	v_cndmask_b32_e64 v2, 1.0, 2.0, s4
	v_mul_f32_e32 v1, v1, v2
	s_delay_alu instid0(VALU_DEP_1) | instskip(SKIP_1) | instid1(VALU_DEP_2)
	v_add_f32_e32 v2, 1.0, v1
	v_add_f32_e32 v7, -1.0, v1
	v_rcp_f32_e32 v6, v2
	s_waitcnt_depctr 0xfff
	v_mul_f32_e32 v8, v7, v6
	s_delay_alu instid0(VALU_DEP_1) | instskip(NEXT) | instid1(VALU_DEP_1)
	v_dual_add_f32 v9, -1.0, v2 :: v_dual_mul_f32 v10, v2, v8
	v_sub_f32_e32 v1, v1, v9
	v_cndmask_b32_e64 v3, v3, 1.0, vcc_lo
	s_delay_alu instid0(VALU_DEP_3) | instskip(NEXT) | instid1(VALU_DEP_2)
	v_fma_f32 v2, v8, v2, -v10
	v_cmp_eq_f32_e64 s6, 0, v3
	s_delay_alu instid0(VALU_DEP_2) | instskip(NEXT) | instid1(VALU_DEP_1)
	v_fmac_f32_e32 v2, v8, v1
	v_add_f32_e32 v1, v10, v2
	s_delay_alu instid0(VALU_DEP_1) | instskip(NEXT) | instid1(VALU_DEP_1)
	v_dual_sub_f32 v10, v1, v10 :: v_dual_sub_f32 v9, v7, v1
	v_dual_sub_f32 v2, v10, v2 :: v_dual_sub_f32 v7, v7, v9
	s_delay_alu instid0(VALU_DEP_1) | instskip(NEXT) | instid1(VALU_DEP_1)
	v_sub_f32_e32 v1, v7, v1
	v_add_f32_e32 v1, v2, v1
	s_delay_alu instid0(VALU_DEP_1) | instskip(NEXT) | instid1(VALU_DEP_1)
	v_add_f32_e32 v1, v9, v1
	v_mul_f32_e32 v1, v6, v1
	s_delay_alu instid0(VALU_DEP_1) | instskip(NEXT) | instid1(VALU_DEP_1)
	v_add_f32_e32 v6, v8, v1
	v_sub_f32_e32 v2, v6, v8
	v_mul_f32_e32 v7, v6, v6
	s_delay_alu instid0(VALU_DEP_2) | instskip(NEXT) | instid1(VALU_DEP_2)
	v_sub_f32_e32 v8, v1, v2
	v_fma_f32 v9, v6, v6, -v7
	s_delay_alu instid0(VALU_DEP_2) | instskip(NEXT) | instid1(VALU_DEP_1)
	v_add_f32_e32 v1, v8, v8
	v_fmac_f32_e32 v9, v6, v1
	v_cvt_f64_f32_e32 v[1:2], v5
	s_delay_alu instid0(VALU_DEP_2) | instskip(NEXT) | instid1(VALU_DEP_1)
	v_add_f32_e32 v10, v7, v9
	v_fmaak_f32 v11, s5, v10, 0x3e91f4c4
	v_sub_f32_e32 v7, v10, v7
	v_mul_f32_e32 v14, v6, v10
	s_delay_alu instid0(VALU_DEP_3) | instskip(NEXT) | instid1(VALU_DEP_3)
	v_fmaak_f32 v11, v10, v11, 0x3ecccdef
	v_sub_f32_e32 v7, v9, v7
	s_delay_alu instid0(VALU_DEP_2) | instskip(NEXT) | instid1(VALU_DEP_1)
	v_mul_f32_e32 v12, v10, v11
	v_fma_f32 v9, v10, v11, -v12
	s_delay_alu instid0(VALU_DEP_1) | instskip(NEXT) | instid1(VALU_DEP_1)
	v_fmac_f32_e32 v9, v7, v11
	v_add_f32_e32 v11, v12, v9
	v_frexp_exp_i32_f64_e32 v1, v[1:2]
	s_delay_alu instid0(VALU_DEP_2) | instskip(NEXT) | instid1(VALU_DEP_1)
	v_sub_f32_e32 v12, v11, v12
	v_sub_f32_e32 v2, v9, v12
	v_fma_f32 v12, v10, v6, -v14
	s_delay_alu instid0(VALU_DEP_2) | instskip(NEXT) | instid1(VALU_DEP_2)
	v_add_f32_e32 v2, 0x31739010, v2
	v_dual_add_f32 v13, 0x3f2aaaaa, v11 :: v_dual_fmac_f32 v12, v10, v8
	v_ldexp_f32 v8, v8, 1
	s_delay_alu instid0(VALU_DEP_2) | instskip(NEXT) | instid1(VALU_DEP_1)
	v_dual_add_f32 v9, 0xbf2aaaaa, v13 :: v_dual_fmac_f32 v12, v7, v6
	v_sub_f32_e32 v9, v11, v9
	s_delay_alu instid0(VALU_DEP_1) | instskip(NEXT) | instid1(VALU_DEP_3)
	v_add_f32_e32 v2, v2, v9
	v_add_f32_e32 v9, v14, v12
	s_delay_alu instid0(VALU_DEP_2) | instskip(NEXT) | instid1(VALU_DEP_1)
	v_add_f32_e32 v7, v13, v2
	v_sub_f32_e32 v10, v13, v7
	s_delay_alu instid0(VALU_DEP_3) | instskip(SKIP_2) | instid1(VALU_DEP_4)
	v_mul_f32_e32 v11, v9, v7
	v_sub_f32_e32 v13, v9, v14
	v_subrev_co_ci_u32_e64 v1, s4, 0, v1, s4
	v_add_f32_e32 v2, v2, v10
	s_delay_alu instid0(VALU_DEP_4) | instskip(NEXT) | instid1(VALU_DEP_4)
	v_fma_f32 v10, v9, v7, -v11
	v_sub_f32_e32 v12, v12, v13
	s_delay_alu instid0(VALU_DEP_4) | instskip(NEXT) | instid1(VALU_DEP_3)
	v_cvt_f32_i32_e32 v1, v1
	v_fmac_f32_e32 v10, v9, v2
	v_ldexp_f32 v2, v6, 1
	s_delay_alu instid0(VALU_DEP_2) | instskip(NEXT) | instid1(VALU_DEP_1)
	v_fmac_f32_e32 v10, v12, v7
	v_add_f32_e32 v6, v11, v10
	s_delay_alu instid0(VALU_DEP_1) | instskip(NEXT) | instid1(VALU_DEP_1)
	v_add_f32_e32 v7, v2, v6
	v_dual_sub_f32 v2, v7, v2 :: v_dual_sub_f32 v9, v6, v11
	s_delay_alu instid0(VALU_DEP_1) | instskip(NEXT) | instid1(VALU_DEP_2)
	v_sub_f32_e32 v2, v6, v2
	v_sub_f32_e32 v9, v10, v9
	s_delay_alu instid0(VALU_DEP_1) | instskip(NEXT) | instid1(VALU_DEP_1)
	v_add_f32_e32 v6, v8, v9
	v_dual_mul_f32 v11, 0x3f317218, v1 :: v_dual_add_f32 v2, v6, v2
	s_delay_alu instid0(VALU_DEP_1) | instskip(NEXT) | instid1(VALU_DEP_2)
	v_fma_f32 v10, 0x3f317218, v1, -v11
	v_add_f32_e32 v8, v7, v2
	s_delay_alu instid0(VALU_DEP_1) | instskip(NEXT) | instid1(VALU_DEP_1)
	v_sub_f32_e32 v7, v8, v7
	v_dual_fmamk_f32 v1, v1, 0xb102e308, v10 :: v_dual_sub_f32 v2, v2, v7
	s_delay_alu instid0(VALU_DEP_1) | instskip(NEXT) | instid1(VALU_DEP_1)
	v_add_f32_e32 v6, v11, v1
	v_add_f32_e32 v9, v6, v8
	s_delay_alu instid0(VALU_DEP_1) | instskip(NEXT) | instid1(VALU_DEP_1)
	v_dual_sub_f32 v11, v6, v11 :: v_dual_sub_f32 v10, v9, v6
	v_sub_f32_e32 v12, v9, v10
	s_delay_alu instid0(VALU_DEP_2) | instskip(NEXT) | instid1(VALU_DEP_2)
	v_sub_f32_e32 v1, v1, v11
	v_dual_sub_f32 v7, v8, v10 :: v_dual_sub_f32 v6, v6, v12
	s_delay_alu instid0(VALU_DEP_2) | instskip(NEXT) | instid1(VALU_DEP_2)
	v_add_f32_e32 v8, v1, v2
	v_add_f32_e32 v6, v7, v6
	s_delay_alu instid0(VALU_DEP_1) | instskip(NEXT) | instid1(VALU_DEP_1)
	v_add_f32_e32 v6, v8, v6
	v_dual_sub_f32 v7, v8, v1 :: v_dual_add_f32 v10, v9, v6
	s_delay_alu instid0(VALU_DEP_1) | instskip(SKIP_1) | instid1(VALU_DEP_3)
	v_sub_f32_e32 v8, v8, v7
	v_sub_f32_e32 v2, v2, v7
	v_sub_f32_e32 v7, v10, v9
	s_delay_alu instid0(VALU_DEP_3) | instskip(NEXT) | instid1(VALU_DEP_1)
	v_sub_f32_e32 v1, v1, v8
	v_add_f32_e32 v1, v2, v1
	s_delay_alu instid0(VALU_DEP_3) | instskip(NEXT) | instid1(VALU_DEP_1)
	v_sub_f32_e32 v2, v6, v7
	v_add_f32_e32 v1, v1, v2
	s_delay_alu instid0(VALU_DEP_1) | instskip(NEXT) | instid1(VALU_DEP_1)
	v_add_f32_e32 v2, v10, v1
	v_mul_f32_e32 v7, v4, v2
	v_sub_f32_e32 v6, v2, v10
	s_delay_alu instid0(VALU_DEP_2) | instskip(NEXT) | instid1(VALU_DEP_2)
	v_fma_f32 v2, v4, v2, -v7
	v_sub_f32_e32 v1, v1, v6
	v_cmp_class_f32_e64 s4, v7, 0x204
	s_delay_alu instid0(VALU_DEP_2) | instskip(NEXT) | instid1(VALU_DEP_1)
	v_fmac_f32_e32 v2, v4, v1
	v_add_f32_e32 v1, v7, v2
	s_delay_alu instid0(VALU_DEP_1) | instskip(NEXT) | instid1(VALU_DEP_1)
	v_cndmask_b32_e64 v6, v1, v7, s4
	v_cmp_eq_f32_e64 s4, 0x42b17218, v6
	s_delay_alu instid0(VALU_DEP_1) | instskip(SKIP_1) | instid1(VALU_DEP_2)
	v_cndmask_b32_e64 v8, 0, 0x37000000, s4
	v_cmp_neq_f32_e64 s4, 0x7f800000, |v6|
	v_sub_f32_e32 v9, v6, v8
	v_trunc_f32_e32 v6, v4
	s_delay_alu instid0(VALU_DEP_2) | instskip(NEXT) | instid1(VALU_DEP_1)
	v_mul_f32_e32 v10, 0x3fb8aa3b, v9
	v_fma_f32 v11, 0x3fb8aa3b, v9, -v10
	v_rndne_f32_e32 v12, v10
	s_delay_alu instid0(VALU_DEP_1) | instskip(NEXT) | instid1(VALU_DEP_1)
	v_dual_fmamk_f32 v11, v9, 0x32a5705f, v11 :: v_dual_sub_f32 v10, v10, v12
	v_add_f32_e32 v10, v10, v11
	v_sub_f32_e32 v1, v1, v7
	v_cvt_i32_f32_e32 v7, v12
	s_delay_alu instid0(VALU_DEP_3) | instskip(NEXT) | instid1(VALU_DEP_2)
	v_exp_f32_e32 v10, v10
	v_sub_f32_e32 v1, v2, v1
	s_delay_alu instid0(VALU_DEP_1)
	v_cndmask_b32_e64 v1, 0, v1, s4
	v_cmp_ngt_f32_e64 s4, 0xc2ce8ed0, v9
	s_waitcnt_depctr 0xfff
	v_ldexp_f32 v2, v10, v7
	v_mul_f32_e32 v7, 0.5, v4
	v_add_f32_e32 v1, v8, v1
	s_delay_alu instid0(VALU_DEP_3) | instskip(NEXT) | instid1(VALU_DEP_3)
	v_cndmask_b32_e64 v2, 0, v2, s4
	v_trunc_f32_e32 v10, v7
	v_cmp_nlt_f32_e64 s4, 0x42b17218, v9
	s_delay_alu instid0(VALU_DEP_2) | instskip(NEXT) | instid1(VALU_DEP_2)
	v_cmp_neq_f32_e64 s5, v10, v7
	v_cndmask_b32_e64 v2, 0x7f800000, v2, s4
	v_cmp_eq_f32_e64 s4, v6, v4
	s_delay_alu instid0(VALU_DEP_2) | instskip(NEXT) | instid1(VALU_DEP_2)
	v_fma_f32 v1, v2, v1, v2
	s_and_b32 vcc_lo, s4, s5
	v_cmp_class_f32_e64 s5, v2, 0x204
	v_cndmask_b32_e32 v6, 1.0, v3, vcc_lo
	s_delay_alu instid0(VALU_DEP_2) | instskip(SKIP_1) | instid1(VALU_DEP_2)
	v_cndmask_b32_e64 v1, v1, v2, s5
	v_cmp_gt_f32_e64 s5, 0, v4
	v_bfi_b32 v1, 0x7fffffff, v1, v6
	s_delay_alu instid0(VALU_DEP_2)
	s_xor_b32 s5, s5, s6
	v_cndmask_b32_e32 v6, 0, v3, vcc_lo
	v_cndmask_b32_e64 v2, 0x7f800000, 0, s5
	v_cmp_eq_f32_e32 vcc_lo, 0x7f800000, v5
	v_cndmask_b32_e64 v4, 0x7fc00000, v1, s4
	v_cmp_gt_f32_e64 s4, 0, v3
	s_delay_alu instid0(VALU_DEP_4) | instskip(SKIP_1) | instid1(VALU_DEP_2)
	v_bfi_b32 v2, 0x7fffffff, v2, v6
	s_or_b32 vcc_lo, vcc_lo, s6
	v_cndmask_b32_e64 v1, v1, v4, s4
	s_delay_alu instid0(VALU_DEP_1) | instskip(SKIP_1) | instid1(VALU_DEP_2)
	v_cndmask_b32_e32 v1, v1, v2, vcc_lo
	v_cmp_o_f32_e32 vcc_lo, v3, v3
	v_cndmask_b32_e32 v48, 0x7fc00000, v1, vcc_lo
.LBB70_4:
	v_bfe_u32 v43, v0, 10, 10
	s_lshl_b32 s11, s13, 5
	s_load_b128 s[4:7], s[2:3], 0x70
	s_ashr_i32 s35, s34, 31
	s_ashr_i32 s22, s43, 31
	v_lshlrev_b32_e32 v37, 2, v43
	v_and_b32_e32 v40, 0x3ff, v0
	v_lshlrev_b32_e32 v41, 9, v43
	s_delay_alu instid0(VALU_DEP_3) | instskip(SKIP_2) | instid1(VALU_DEP_3)
	v_or_b32_e32 v31, 3, v37
	v_or_b32_e32 v34, 2, v37
	;; [unrolled: 1-line block ×3, first 2 shown]
	v_add_nc_u32_e32 v32, s11, v31
	s_delay_alu instid0(VALU_DEP_3) | instskip(NEXT) | instid1(VALU_DEP_3)
	v_lshlrev_b32_e32 v42, 7, v34
	v_add_nc_u32_e32 v38, s11, v36
	v_lshlrev_b32_e32 v33, 7, v36
	v_lshlrev_b32_e32 v49, 7, v31
	v_mul_hi_u32 v4, v32, s36
	s_waitcnt lgkmcnt(0)
	s_mul_i32 s6, s33, s6
	s_mul_i32 s5, s34, s5
	s_ashr_i32 s7, s6, 31
	s_add_u32 s6, s16, s6
	s_addc_u32 s7, s17, s7
	s_ashr_i32 s10, s5, 31
	v_add_nc_u32_e32 v4, v32, v4
	s_add_u32 s5, s6, s5
	s_addc_u32 s6, s7, s10
	s_ashr_i32 s7, s4, 31
	v_mul_hi_u32 v2, v38, s36
	v_lshrrev_b32_e32 v4, s37, v4
	v_alignbit_b32 v7, s7, s4, 2
	s_lshr_b32 s4, s7, 2
	s_cmp_eq_u64 s[26:27], 0
	s_delay_alu instid0(VALU_DEP_2) | instskip(NEXT) | instid1(VALU_DEP_4)
	v_mul_lo_u32 v4, v4, s38
	v_add_nc_u32_e32 v2, v38, v2
	s_delay_alu instid0(VALU_DEP_1) | instskip(NEXT) | instid1(VALU_DEP_3)
	v_lshrrev_b32_e32 v2, s37, v2
	v_sub_nc_u32_e32 v12, v32, v4
	s_delay_alu instid0(VALU_DEP_2) | instskip(NEXT) | instid1(VALU_DEP_2)
	v_mul_lo_u32 v5, v2, s38
	v_mad_u64_u32 v[17:18], null, v7, v12, 0
	v_add_nc_u32_e32 v35, s11, v34
	s_delay_alu instid0(VALU_DEP_3) | instskip(NEXT) | instid1(VALU_DEP_2)
	v_sub_nc_u32_e32 v10, v38, v5
	v_mul_hi_u32 v3, v35, s36
	s_delay_alu instid0(VALU_DEP_1) | instskip(NEXT) | instid1(VALU_DEP_1)
	v_add_nc_u32_e32 v3, v35, v3
	v_lshrrev_b32_e32 v3, s37, v3
	s_delay_alu instid0(VALU_DEP_1) | instskip(NEXT) | instid1(VALU_DEP_1)
	v_mul_lo_u32 v3, v3, s38
	v_sub_nc_u32_e32 v11, v35, v3
	v_mad_u64_u32 v[3:4], null, v7, v10, 0
	s_delay_alu instid0(VALU_DEP_2) | instskip(SKIP_1) | instid1(VALU_DEP_1)
	v_mad_u64_u32 v[5:6], null, v7, v11, 0
	v_add_nc_u32_e32 v39, s11, v37
	v_mul_hi_u32 v1, v39, s36
	s_delay_alu instid0(VALU_DEP_1) | instskip(NEXT) | instid1(VALU_DEP_1)
	v_add_nc_u32_e32 v1, v39, v1
	v_lshrrev_b32_e32 v1, s37, v1
	s_delay_alu instid0(VALU_DEP_1) | instskip(NEXT) | instid1(VALU_DEP_1)
	v_mul_lo_u32 v1, v1, s38
	v_sub_nc_u32_e32 v67, v39, v1
	s_delay_alu instid0(VALU_DEP_1) | instskip(NEXT) | instid1(VALU_DEP_1)
	v_mad_u64_u32 v[1:2], null, v7, v67, 0
	v_mad_u64_u32 v[7:8], null, s4, v67, v[2:3]
	v_mov_b32_e32 v2, v4
	v_mov_b32_e32 v4, v6
	v_dual_mov_b32 v6, v18 :: v_dual_lshlrev_b32 v13, 4, v40
	s_delay_alu instid0(VALU_DEP_3) | instskip(SKIP_1) | instid1(VALU_DEP_4)
	v_mad_u64_u32 v[8:9], null, s4, v10, v[2:3]
	v_mov_b32_e32 v2, v7
	v_mad_u64_u32 v[9:10], null, s4, v11, v[4:5]
	s_delay_alu instid0(VALU_DEP_4) | instskip(NEXT) | instid1(VALU_DEP_3)
	v_add_co_u32 v23, s5, s5, v13
	v_lshlrev_b64 v[1:2], 2, v[1:2]
	v_mov_b32_e32 v4, v8
	v_mad_u64_u32 v[7:8], null, s4, v12, v[6:7]
	v_mov_b32_e32 v6, v9
	v_add_co_ci_u32_e64 v24, null, s6, 0, s5
	s_delay_alu instid0(VALU_DEP_4)
	v_lshlrev_b64 v[3:4], 2, v[3:4]
	v_add_co_u32 v8, vcc_lo, v23, v1
	v_mov_b32_e32 v18, v7
	v_lshlrev_b64 v[19:20], 2, v[5:6]
	v_add_co_ci_u32_e32 v9, vcc_lo, v24, v2, vcc_lo
	v_add_co_u32 v13, vcc_lo, v23, v3
	s_delay_alu instid0(VALU_DEP_4) | instskip(SKIP_3) | instid1(VALU_DEP_4)
	v_lshlrev_b64 v[17:18], 2, v[17:18]
	v_add_co_ci_u32_e32 v14, vcc_lo, v24, v4, vcc_lo
	v_add_co_u32 v21, vcc_lo, v23, v19
	v_add_co_ci_u32_e32 v22, vcc_lo, v24, v20, vcc_lo
	v_add_co_u32 v29, vcc_lo, v23, v17
	s_clause 0x3
	global_load_b128 v[1:4], v[8:9], off
	global_load_b128 v[5:8], v[8:9], off offset:512
	global_load_b128 v[9:12], v[13:14], off
	global_load_b128 v[13:16], v[13:14], off offset:512
	v_add_co_ci_u32_e32 v30, vcc_lo, v24, v18, vcc_lo
	s_clause 0x3
	global_load_b128 v[17:20], v[21:22], off
	global_load_b128 v[21:24], v[21:22], off offset:512
	global_load_b128 v[25:28], v[29:30], off
	global_load_b128 v[44:47], v[29:30], off offset:512
	v_lshlrev_b32_e32 v29, 1, v40
	s_mov_b32 s5, 0
	s_delay_alu instid0(VALU_DEP_1)
	v_or_b32_e32 v30, v41, v29
	v_add_lshl_u32 v50, v33, v29, 2
	v_add_lshl_u32 v42, v42, v29, 2
	;; [unrolled: 1-line block ×3, first 2 shown]
	v_lshlrev_b32_e32 v33, 2, v40
	v_lshlrev_b32_e32 v30, 2, v30
	v_add_nc_u32_e32 v56, 0x4000, v50
	v_add_nc_u32_e32 v42, 0x4000, v42
	;; [unrolled: 1-line block ×3, first 2 shown]
	s_delay_alu instid0(VALU_DEP_4)
	v_add_nc_u32_e32 v55, 0x4000, v30
	s_waitcnt vmcnt(7)
	v_fma_mixlo_f16 v30, v3, s8, 0
	v_fma_mixlo_f16 v29, v1, s8, 0
	s_waitcnt vmcnt(6)
	v_fma_mixlo_f16 v50, v7, s8, 0
	v_fma_mixlo_f16 v49, v5, s8, 0
	s_waitcnt vmcnt(5)
	v_fma_mixlo_f16 v1, v9, s8, 0
	v_fma_mixhi_f16 v30, v4, s8, 0
	v_fma_mixhi_f16 v29, v2, s8, 0
	v_fma_mixlo_f16 v2, v11, s8, 0
	s_waitcnt vmcnt(4)
	v_fma_mixlo_f16 v3, v13, s8, 0
	v_fma_mixlo_f16 v4, v15, s8, 0
	v_fma_mixhi_f16 v50, v8, s8, 0
	v_fma_mixhi_f16 v49, v6, s8, 0
	s_waitcnt vmcnt(3)
	v_fma_mixlo_f16 v5, v17, s8, 0
	v_fma_mixlo_f16 v6, v19, s8, 0
	s_waitcnt vmcnt(2)
	v_fma_mixlo_f16 v7, v21, s8, 0
	v_fma_mixlo_f16 v8, v23, s8, 0
	s_waitcnt vmcnt(1)
	v_fma_mixlo_f16 v51, v25, s8, 0
	v_fma_mixlo_f16 v52, v27, s8, 0
	s_waitcnt vmcnt(0)
	v_fma_mixlo_f16 v53, v44, s8, 0
	v_fma_mixlo_f16 v54, v46, s8, 0
	v_fma_mixhi_f16 v2, v12, s8, 0
	v_fma_mixhi_f16 v1, v10, s8, 0
	;; [unrolled: 1-line block ×12, first 2 shown]
	ds_store_2addr_b64 v55, v[29:30], v[49:50] offset0:128 offset1:160
	ds_store_2addr_b64 v56, v[1:2], v[3:4] offset0:128 offset1:160
	;; [unrolled: 1-line block ×4, first 2 shown]
	s_waitcnt lgkmcnt(0)
	s_barrier
	buffer_gl0_inv
	s_cbranch_scc1 .LBB70_6
; %bb.5:
	s_load_b32 s4, s[2:3], 0xd0
	s_waitcnt lgkmcnt(0)
	s_mul_i32 s4, s4, s33
	s_delay_alu instid0(SALU_CYCLE_1) | instskip(NEXT) | instid1(SALU_CYCLE_1)
	s_add_i32 s4, s4, s13
	s_lshl_b64 s[4:5], s[4:5], 2
	s_delay_alu instid0(SALU_CYCLE_1)
	s_add_u32 s4, s26, s4
	s_addc_u32 s5, s27, s5
	s_load_b32 s42, s[4:5], 0x0
.LBB70_6:
	s_clause 0x2
	s_load_b64 s[26:27], s[2:3], 0x8c
	s_load_b128 s[4:7], s[2:3], 0x98
	s_load_b64 s[48:49], s[2:3], 0xa8
	s_ashr_i32 s8, s33, 31
	s_ashr_i32 s10, s45, 1
	s_mul_i32 s16, s9, s12
	v_dual_mov_b32 v72, 0 :: v_dual_mov_b32 v57, 0
	v_lshrrev_b32_e32 v74, 4, v40
	v_and_b32_e32 v73, 60, v33
	v_mul_u32_u24_e32 v68, 0x110, v40
	v_or_b32_e32 v66, 1, v39
	v_or_b32_e32 v65, 2, v39
	;; [unrolled: 1-line block ×3, first 2 shown]
	v_add_nc_u32_e32 v47, 0x8400, v41
	v_lshlrev_b32_e32 v44, 3, v40
	v_lshlrev_b32_e32 v45, 2, v33
	v_mbcnt_lo_u32_b32 v42, -1, 0
	s_mov_b32 s44, 0xfeffffff
	s_waitcnt lgkmcnt(0)
	s_ashr_i32 s17, s26, 2
	s_ashr_i32 s13, s6, 2
	s_mul_i32 s5, s33, s5
	s_mul_hi_u32 s6, s33, s4
	s_mul_i32 s26, s8, s4
	s_add_i32 s5, s6, s5
	s_mul_i32 s4, s33, s4
	s_add_i32 s5, s5, s26
	s_add_u32 s4, s18, s4
	s_addc_u32 s5, s19, s5
	s_sub_i32 s15, s15, s16
	s_xor_b32 s6, s35, s22
	s_add_i32 s16, s9, 1
	s_sub_i32 s18, s15, s12
	s_cmp_ge_u32 s15, s12
	v_mul_lo_u32 v13, s13, v43
	s_cselect_b32 s9, s16, s9
	s_cselect_b32 s15, s18, s15
	s_add_i32 s16, s9, 1
	s_cmp_ge_u32 s15, s12
	s_mul_i32 s12, s33, s49
	s_cselect_b32 s9, s16, s9
	s_mul_hi_u32 s15, s33, s48
	s_xor_b32 s9, s9, s6
	s_mul_i32 s8, s8, s48
	s_sub_i32 s9, s9, s6
	s_mul_i32 s16, s33, s48
	s_mul_i32 s6, s9, s27
	s_mul_i32 s9, s9, s7
	s_ashr_i32 s18, s6, 31
	s_add_u32 s6, s4, s6
	s_addc_u32 s18, s5, s18
	s_add_i32 s4, s15, s12
	v_ashrrev_i32_e32 v14, 31, v13
	s_add_i32 s4, s4, s8
	s_add_u32 s5, s20, s16
	s_addc_u32 s4, s21, s4
	s_ashr_i32 s7, s9, 31
	s_add_u32 s15, s5, s9
	s_addc_u32 s16, s4, s7
	s_lshl_b32 s12, s14, 6
	s_sub_i32 s7, s42, 64
	s_delay_alu instid0(SALU_CYCLE_1)
	s_cmp_ge_i32 s12, s7
	s_cbranch_scc1 .LBB70_62
; %bb.7:
	v_mul_hi_u32 v4, s36, v66
	v_lshl_add_u32 v2, v43, 1, v74
	v_dual_mov_b32 v50, 0 :: v_dual_lshlrev_b32 v3, 2, v73
	v_mul_hi_u32 v6, s36, v61
	v_mov_b32_e32 v49, 0
	s_delay_alu instid0(VALU_DEP_4) | instskip(NEXT) | instid1(VALU_DEP_4)
	v_mul_lo_u32 v1, s17, v2
	v_mad_u32_u24 v75, 0x110, v2, v3
	v_add_nc_u32_e32 v2, v66, v4
	v_mul_hi_u32 v5, s36, v65
	s_lshl_b32 s4, s17, 4
	v_dual_mov_b32 v51, 0 :: v_dual_add_nc_u32 v6, v61, v6
	s_delay_alu instid0(VALU_DEP_3) | instskip(SKIP_2) | instid1(VALU_DEP_4)
	v_lshrrev_b32_e32 v7, s37, v2
	v_dual_mov_b32 v52, 0 :: v_dual_add_nc_u32 v3, s4, v1
	s_cmp_lg_u64 s[40:41], 0
	v_dual_mov_b32 v91, 0xfeffffff :: v_dual_add_nc_u32 v4, v65, v5
	v_lshrrev_b32_e32 v6, s37, v6
	v_mul_lo_u32 v9, v7, s38
	v_dual_mov_b32 v56, 0 :: v_dual_add_nc_u32 v5, s4, v3
	s_delay_alu instid0(VALU_DEP_4) | instskip(NEXT) | instid1(VALU_DEP_4)
	v_lshrrev_b32_e32 v8, s37, v4
	v_mul_lo_u32 v11, v6, s38
	s_cselect_b32 s8, -1, 0
	s_delay_alu instid0(VALU_DEP_3)
	v_dual_mov_b32 v46, 0 :: v_dual_add_nc_u32 v7, s4, v5
	s_lshl_b32 s4, s13, 3
	v_sub_nc_u32_e32 v12, v66, v9
	v_dual_mov_b32 v58, 0 :: v_dual_add_nc_u32 v9, s4, v13
	v_mul_lo_u32 v10, v8, s38
	v_sub_nc_u32_e32 v15, v61, v11
	s_delay_alu instid0(VALU_DEP_3)
	v_dual_mov_b32 v60, 0 :: v_dual_add_nc_u32 v11, s4, v9
	v_ashrrev_i32_e32 v2, 31, v1
	v_ashrrev_i32_e32 v4, 31, v3
	;; [unrolled: 1-line block ×4, first 2 shown]
	v_sub_nc_u32_e32 v10, v65, v10
	v_dual_mov_b32 v64, 0 :: v_dual_add_nc_u32 v29, s4, v11
	v_mul_lo_u32 v81, v12, s10
	v_lshl_add_u32 v16, v43, 9, v45
	s_delay_alu instid0(VALU_DEP_4)
	v_mul_lo_u32 v82, v10, s10
	v_ashrrev_i32_e32 v10, 31, v9
	v_ashrrev_i32_e32 v12, 31, v11
	;; [unrolled: 1-line block ×3, first 2 shown]
	v_mul_lo_u32 v80, v67, s10
	v_mul_lo_u32 v83, v15, s10
	v_dual_mov_b32 v62, 0 :: v_dual_add_nc_u32 v85, 0x1000, v16
	v_dual_mov_b32 v63, 0 :: v_dual_add_nc_u32 v86, 0x2000, v16
	v_add_nc_u32_e32 v87, 0x3000, v16
	v_lshlrev_b64 v[15:16], 2, v[1:2]
	v_lshlrev_b64 v[17:18], 2, v[3:4]
	;; [unrolled: 1-line block ×7, first 2 shown]
	v_mov_b32_e32 v12, 0
	v_lshlrev_b64 v[29:30], 2, v[29:30]
	v_dual_mov_b32 v55, 0 :: v_dual_add_nc_u32 v76, 0x1100, v75
	v_dual_mov_b32 v54, 0 :: v_dual_add_nc_u32 v77, 0x2200, v75
	;; [unrolled: 1-line block ×3, first 2 shown]
	v_lshl_add_u32 v79, v43, 11, 0x4400
	v_dual_mov_b32 v53, 0 :: v_dual_add_nc_u32 v84, v41, v45
	s_add_u32 s4, s2, 0xd0
	v_dual_mov_b32 v57, 0 :: v_dual_lshlrev_b32 v88, 2, v73
	v_mbcnt_lo_u32_b32 v89, -1, 0
	v_dual_mov_b32 v92, 0xfeffffff :: v_dual_mov_b32 v93, 0xfeffffff
	v_dual_mov_b32 v90, 0xfeffffff :: v_dual_mov_b32 v11, 0
	;; [unrolled: 1-line block ×3, first 2 shown]
	s_addc_u32 s5, s3, 0
	s_add_u32 s9, s40, 64
	s_addc_u32 s19, s41, 0
	s_mov_b32 s20, 0xbbbac73d
.LBB70_8:                               ; =>This Inner Loop Header: Depth=1
	s_mul_hi_i32 s27, s12, s17
	s_mul_i32 s26, s12, s17
	s_delay_alu instid0(SALU_CYCLE_1) | instskip(NEXT) | instid1(SALU_CYCLE_1)
	s_lshl_b64 s[26:27], s[26:27], 2
	s_add_u32 s21, s6, s26
	s_addc_u32 s22, s18, s27
	v_add_co_u32 v1, vcc_lo, s21, v15
	v_add_co_ci_u32_e32 v2, vcc_lo, s22, v16, vcc_lo
	v_add_co_u32 v3, vcc_lo, s21, v17
	v_add_co_ci_u32_e32 v4, vcc_lo, s22, v18, vcc_lo
	s_delay_alu instid0(VALU_DEP_4) | instskip(NEXT) | instid1(VALU_DEP_4)
	v_add_co_u32 v1, vcc_lo, v1, v88
	v_add_co_ci_u32_e32 v2, vcc_lo, 0, v2, vcc_lo
	s_delay_alu instid0(VALU_DEP_4) | instskip(NEXT) | instid1(VALU_DEP_4)
	v_add_co_u32 v3, vcc_lo, v3, v88
	v_add_co_ci_u32_e32 v4, vcc_lo, 0, v4, vcc_lo
	v_add_co_u32 v5, vcc_lo, s21, v19
	v_add_co_ci_u32_e32 v6, vcc_lo, s22, v20, vcc_lo
	;; [unrolled: 2-line block ×3, first 2 shown]
	s_delay_alu instid0(VALU_DEP_4) | instskip(NEXT) | instid1(VALU_DEP_4)
	v_add_co_u32 v5, vcc_lo, v5, v88
	v_add_co_ci_u32_e32 v6, vcc_lo, 0, v6, vcc_lo
	s_delay_alu instid0(VALU_DEP_4) | instskip(NEXT) | instid1(VALU_DEP_4)
	v_add_co_u32 v7, vcc_lo, v7, v88
	v_add_co_ci_u32_e32 v8, vcc_lo, 0, v8, vcc_lo
	s_clause 0x3
	global_load_b128 v[69:72], v[1:2], off
	global_load_b128 v[94:97], v[3:4], off
	;; [unrolled: 1-line block ×4, first 2 shown]
	s_waitcnt vmcnt(3)
	ds_store_b128 v75, v[69:72]
	s_waitcnt vmcnt(2)
	ds_store_b128 v76, v[94:97]
	;; [unrolled: 2-line block ×4, first 2 shown]
	s_waitcnt lgkmcnt(0)
	s_barrier
	buffer_gl0_inv
	ds_load_b128 v[98:101], v68
	ds_load_b128 v[102:105], v79
	ds_load_b128 v[106:109], v79 offset:512
	ds_load_b128 v[110:113], v79 offset:1024
	v_dual_mov_b32 v96, 0 :: v_dual_mov_b32 v71, 0
	ds_load_b128 v[114:117], v79 offset:1536
	ds_load_b128 v[118:121], v68 offset:8704
	v_dual_mov_b32 v94, 0 :: v_dual_mov_b32 v69, 0
	s_waitcnt lgkmcnt(4)
	;;#ASMSTART
	v_dot2_f32_f16 v96, v98, v102, v96
	;;#ASMEND
	;;#ASMSTART
	v_dot2_f32_f16 v96, v99, v103, v96
	;;#ASMEND
	;;#ASMSTART
	v_dot2_f32_f16 v96, v100, v104, v96
	;;#ASMEND
	;;#ASMSTART
	v_dot2_f32_f16 v96, v101, v105, v96
	;;#ASMEND
	s_waitcnt lgkmcnt(3)
	;;#ASMSTART
	v_dot2_f32_f16 v94, v98, v106, v94
	;;#ASMEND
	;;#ASMSTART
	v_dot2_f32_f16 v94, v99, v107, v94
	;;#ASMEND
	;;#ASMSTART
	v_dot2_f32_f16 v94, v100, v108, v94
	;;#ASMEND
	;;#ASMSTART
	v_dot2_f32_f16 v94, v101, v109, v94
	;;#ASMEND
	;; [unrolled: 13-line block ×3, first 2 shown]
	s_waitcnt lgkmcnt(1)
	;;#ASMSTART
	v_dot2_f32_f16 v69, v98, v114, v69
	;;#ASMEND
	;;#ASMSTART
	v_dot2_f32_f16 v69, v99, v115, v69
	;;#ASMEND
	v_dual_mov_b32 v97, 0 :: v_dual_mov_b32 v72, 0
	;;#ASMSTART
	v_dot2_f32_f16 v69, v100, v116, v69
	;;#ASMEND
	;;#ASMSTART
	v_dot2_f32_f16 v69, v101, v117, v69
	;;#ASMEND
	s_waitcnt lgkmcnt(0)
	;;#ASMSTART
	v_dot2_f32_f16 v97, v118, v102, v97
	;;#ASMEND
	;;#ASMSTART
	v_dot2_f32_f16 v97, v119, v103, v97
	;;#ASMEND
	v_dual_mov_b32 v95, 0 :: v_dual_mov_b32 v70, 0
	;;#ASMSTART
	v_dot2_f32_f16 v97, v120, v104, v97
	;;#ASMEND
	;;#ASMSTART
	v_dot2_f32_f16 v97, v121, v105, v97
	;;#ASMEND
	;; [unrolled: 3-line block ×14, first 2 shown]
	ds_load_b128 v[98:101], v68 offset:16
	ds_load_b128 v[102:105], v79 offset:16
	;; [unrolled: 1-line block ×6, first 2 shown]
	s_waitcnt lgkmcnt(4)
	;;#ASMSTART
	v_dot2_f32_f16 v96, v98, v102, v96
	;;#ASMEND
	;;#ASMSTART
	v_dot2_f32_f16 v96, v99, v103, v96
	;;#ASMEND
	;;#ASMSTART
	v_dot2_f32_f16 v96, v100, v104, v96
	;;#ASMEND
	;;#ASMSTART
	v_dot2_f32_f16 v96, v101, v105, v96
	;;#ASMEND
	s_waitcnt lgkmcnt(3)
	;;#ASMSTART
	v_dot2_f32_f16 v94, v98, v106, v94
	;;#ASMEND
	;;#ASMSTART
	v_dot2_f32_f16 v94, v99, v107, v94
	;;#ASMEND
	;;#ASMSTART
	v_dot2_f32_f16 v94, v100, v108, v94
	;;#ASMEND
	;;#ASMSTART
	v_dot2_f32_f16 v94, v101, v109, v94
	;;#ASMEND
	;; [unrolled: 13-line block ×5, first 2 shown]
	;;#ASMSTART
	v_dot2_f32_f16 v95, v118, v106, v95
	;;#ASMEND
	;;#ASMSTART
	v_dot2_f32_f16 v95, v119, v107, v95
	;;#ASMEND
	;; [unrolled: 3-line block ×12, first 2 shown]
	ds_load_b128 v[98:101], v68 offset:32
	ds_load_b128 v[102:105], v79 offset:32
	;; [unrolled: 1-line block ×6, first 2 shown]
	s_waitcnt lgkmcnt(4)
	;;#ASMSTART
	v_dot2_f32_f16 v96, v98, v102, v96
	;;#ASMEND
	;;#ASMSTART
	v_dot2_f32_f16 v96, v99, v103, v96
	;;#ASMEND
	;;#ASMSTART
	v_dot2_f32_f16 v96, v100, v104, v96
	;;#ASMEND
	;;#ASMSTART
	v_dot2_f32_f16 v96, v101, v105, v96
	;;#ASMEND
	s_waitcnt lgkmcnt(3)
	;;#ASMSTART
	v_dot2_f32_f16 v94, v98, v106, v94
	;;#ASMEND
	;;#ASMSTART
	v_dot2_f32_f16 v94, v99, v107, v94
	;;#ASMEND
	;;#ASMSTART
	v_dot2_f32_f16 v94, v100, v108, v94
	;;#ASMEND
	;;#ASMSTART
	v_dot2_f32_f16 v94, v101, v109, v94
	;;#ASMEND
	s_waitcnt lgkmcnt(2)
	;;#ASMSTART
	v_dot2_f32_f16 v71, v98, v110, v71
	;;#ASMEND
	;;#ASMSTART
	v_dot2_f32_f16 v71, v99, v111, v71
	;;#ASMEND
	;;#ASMSTART
	v_dot2_f32_f16 v71, v100, v112, v71
	;;#ASMEND
	;;#ASMSTART
	v_dot2_f32_f16 v71, v101, v113, v71
	;;#ASMEND
	s_waitcnt lgkmcnt(1)
	;;#ASMSTART
	v_dot2_f32_f16 v69, v98, v114, v69
	;;#ASMEND
	;;#ASMSTART
	v_dot2_f32_f16 v69, v99, v115, v69
	;;#ASMEND
	;;#ASMSTART
	v_dot2_f32_f16 v69, v100, v116, v69
	;;#ASMEND
	;;#ASMSTART
	v_dot2_f32_f16 v69, v101, v117, v69
	;;#ASMEND
	s_waitcnt lgkmcnt(0)
	;;#ASMSTART
	v_dot2_f32_f16 v97, v118, v102, v97
	;;#ASMEND
	;;#ASMSTART
	v_dot2_f32_f16 v97, v119, v103, v97
	;;#ASMEND
	;;#ASMSTART
	v_dot2_f32_f16 v97, v120, v104, v97
	;;#ASMEND
	;;#ASMSTART
	v_dot2_f32_f16 v97, v121, v105, v97
	;;#ASMEND
	;;#ASMSTART
	v_dot2_f32_f16 v95, v118, v106, v95
	;;#ASMEND
	;;#ASMSTART
	v_dot2_f32_f16 v95, v119, v107, v95
	;;#ASMEND
	;; [unrolled: 3-line block ×12, first 2 shown]
	ds_load_b128 v[98:101], v68 offset:48
	ds_load_b128 v[102:105], v79 offset:48
	;; [unrolled: 1-line block ×6, first 2 shown]
	s_waitcnt lgkmcnt(4)
	;;#ASMSTART
	v_dot2_f32_f16 v96, v98, v102, v96
	;;#ASMEND
	;;#ASMSTART
	v_dot2_f32_f16 v96, v99, v103, v96
	;;#ASMEND
	;;#ASMSTART
	v_dot2_f32_f16 v96, v100, v104, v96
	;;#ASMEND
	;;#ASMSTART
	v_dot2_f32_f16 v96, v101, v105, v96
	;;#ASMEND
	s_waitcnt lgkmcnt(3)
	;;#ASMSTART
	v_dot2_f32_f16 v94, v98, v106, v94
	;;#ASMEND
	;;#ASMSTART
	v_dot2_f32_f16 v94, v99, v107, v94
	;;#ASMEND
	;;#ASMSTART
	v_dot2_f32_f16 v94, v100, v108, v94
	;;#ASMEND
	;;#ASMSTART
	v_dot2_f32_f16 v94, v101, v109, v94
	;;#ASMEND
	s_waitcnt lgkmcnt(2)
	;;#ASMSTART
	v_dot2_f32_f16 v71, v98, v110, v71
	;;#ASMEND
	;;#ASMSTART
	v_dot2_f32_f16 v71, v99, v111, v71
	;;#ASMEND
	;;#ASMSTART
	v_dot2_f32_f16 v71, v100, v112, v71
	;;#ASMEND
	;;#ASMSTART
	v_dot2_f32_f16 v71, v101, v113, v71
	;;#ASMEND
	s_waitcnt lgkmcnt(1)
	;;#ASMSTART
	v_dot2_f32_f16 v69, v98, v114, v69
	;;#ASMEND
	;;#ASMSTART
	v_dot2_f32_f16 v69, v99, v115, v69
	;;#ASMEND
	;;#ASMSTART
	v_dot2_f32_f16 v69, v100, v116, v69
	;;#ASMEND
	;;#ASMSTART
	v_dot2_f32_f16 v69, v101, v117, v69
	;;#ASMEND
	s_waitcnt lgkmcnt(0)
	;;#ASMSTART
	v_dot2_f32_f16 v97, v118, v102, v97
	;;#ASMEND
	;;#ASMSTART
	v_dot2_f32_f16 v97, v119, v103, v97
	;;#ASMEND
	;;#ASMSTART
	v_dot2_f32_f16 v97, v120, v104, v97
	;;#ASMEND
	;;#ASMSTART
	v_dot2_f32_f16 v97, v121, v105, v97
	;;#ASMEND
	;;#ASMSTART
	v_dot2_f32_f16 v95, v118, v106, v95
	;;#ASMEND
	;;#ASMSTART
	v_dot2_f32_f16 v95, v119, v107, v95
	;;#ASMEND
	;; [unrolled: 3-line block ×12, first 2 shown]
	ds_load_b128 v[98:101], v68 offset:64
	ds_load_b128 v[102:105], v79 offset:64
	;; [unrolled: 1-line block ×6, first 2 shown]
	s_waitcnt lgkmcnt(4)
	;;#ASMSTART
	v_dot2_f32_f16 v96, v98, v102, v96
	;;#ASMEND
	;;#ASMSTART
	v_dot2_f32_f16 v96, v99, v103, v96
	;;#ASMEND
	;;#ASMSTART
	v_dot2_f32_f16 v96, v100, v104, v96
	;;#ASMEND
	;;#ASMSTART
	v_dot2_f32_f16 v96, v101, v105, v96
	;;#ASMEND
	s_waitcnt lgkmcnt(3)
	;;#ASMSTART
	v_dot2_f32_f16 v94, v98, v106, v94
	;;#ASMEND
	;;#ASMSTART
	v_dot2_f32_f16 v94, v99, v107, v94
	;;#ASMEND
	;;#ASMSTART
	v_dot2_f32_f16 v94, v100, v108, v94
	;;#ASMEND
	;;#ASMSTART
	v_dot2_f32_f16 v94, v101, v109, v94
	;;#ASMEND
	s_waitcnt lgkmcnt(2)
	;;#ASMSTART
	v_dot2_f32_f16 v71, v98, v110, v71
	;;#ASMEND
	;;#ASMSTART
	v_dot2_f32_f16 v71, v99, v111, v71
	;;#ASMEND
	;;#ASMSTART
	v_dot2_f32_f16 v71, v100, v112, v71
	;;#ASMEND
	;;#ASMSTART
	v_dot2_f32_f16 v71, v101, v113, v71
	;;#ASMEND
	s_waitcnt lgkmcnt(1)
	;;#ASMSTART
	v_dot2_f32_f16 v69, v98, v114, v69
	;;#ASMEND
	;;#ASMSTART
	v_dot2_f32_f16 v69, v99, v115, v69
	;;#ASMEND
	;;#ASMSTART
	v_dot2_f32_f16 v69, v100, v116, v69
	;;#ASMEND
	;;#ASMSTART
	v_dot2_f32_f16 v69, v101, v117, v69
	;;#ASMEND
	s_waitcnt lgkmcnt(0)
	;;#ASMSTART
	v_dot2_f32_f16 v97, v118, v102, v97
	;;#ASMEND
	;;#ASMSTART
	v_dot2_f32_f16 v97, v119, v103, v97
	;;#ASMEND
	;;#ASMSTART
	v_dot2_f32_f16 v97, v120, v104, v97
	;;#ASMEND
	;;#ASMSTART
	v_dot2_f32_f16 v97, v121, v105, v97
	;;#ASMEND
	;;#ASMSTART
	v_dot2_f32_f16 v95, v118, v106, v95
	;;#ASMEND
	;;#ASMSTART
	v_dot2_f32_f16 v95, v119, v107, v95
	;;#ASMEND
	;; [unrolled: 3-line block ×12, first 2 shown]
	ds_load_b128 v[98:101], v68 offset:80
	ds_load_b128 v[102:105], v79 offset:80
	;; [unrolled: 1-line block ×6, first 2 shown]
	s_waitcnt lgkmcnt(4)
	;;#ASMSTART
	v_dot2_f32_f16 v96, v98, v102, v96
	;;#ASMEND
	;;#ASMSTART
	v_dot2_f32_f16 v96, v99, v103, v96
	;;#ASMEND
	;;#ASMSTART
	v_dot2_f32_f16 v96, v100, v104, v96
	;;#ASMEND
	;;#ASMSTART
	v_dot2_f32_f16 v96, v101, v105, v96
	;;#ASMEND
	s_waitcnt lgkmcnt(3)
	;;#ASMSTART
	v_dot2_f32_f16 v94, v98, v106, v94
	;;#ASMEND
	;;#ASMSTART
	v_dot2_f32_f16 v94, v99, v107, v94
	;;#ASMEND
	;;#ASMSTART
	v_dot2_f32_f16 v94, v100, v108, v94
	;;#ASMEND
	;;#ASMSTART
	v_dot2_f32_f16 v94, v101, v109, v94
	;;#ASMEND
	;; [unrolled: 13-line block ×5, first 2 shown]
	;;#ASMSTART
	v_dot2_f32_f16 v95, v118, v106, v95
	;;#ASMEND
	;;#ASMSTART
	v_dot2_f32_f16 v95, v119, v107, v95
	;;#ASMEND
	;; [unrolled: 3-line block ×12, first 2 shown]
	ds_load_b128 v[98:101], v68 offset:96
	ds_load_b128 v[102:105], v79 offset:96
	;; [unrolled: 1-line block ×6, first 2 shown]
	s_waitcnt lgkmcnt(4)
	;;#ASMSTART
	v_dot2_f32_f16 v96, v98, v102, v96
	;;#ASMEND
	;;#ASMSTART
	v_dot2_f32_f16 v96, v99, v103, v96
	;;#ASMEND
	;;#ASMSTART
	v_dot2_f32_f16 v96, v100, v104, v96
	;;#ASMEND
	;;#ASMSTART
	v_dot2_f32_f16 v96, v101, v105, v96
	;;#ASMEND
	s_waitcnt lgkmcnt(3)
	;;#ASMSTART
	v_dot2_f32_f16 v94, v98, v106, v94
	;;#ASMEND
	;;#ASMSTART
	v_dot2_f32_f16 v94, v99, v107, v94
	;;#ASMEND
	;;#ASMSTART
	v_dot2_f32_f16 v94, v100, v108, v94
	;;#ASMEND
	;;#ASMSTART
	v_dot2_f32_f16 v94, v101, v109, v94
	;;#ASMEND
	;; [unrolled: 13-line block ×5, first 2 shown]
	;;#ASMSTART
	v_dot2_f32_f16 v95, v118, v106, v95
	;;#ASMEND
	;;#ASMSTART
	v_dot2_f32_f16 v95, v119, v107, v95
	;;#ASMEND
	;; [unrolled: 3-line block ×12, first 2 shown]
	ds_load_b128 v[98:101], v68 offset:112
	ds_load_b128 v[102:105], v79 offset:112
	;; [unrolled: 1-line block ×6, first 2 shown]
	s_waitcnt lgkmcnt(4)
	;;#ASMSTART
	v_dot2_f32_f16 v96, v98, v102, v96
	;;#ASMEND
	;;#ASMSTART
	v_dot2_f32_f16 v96, v99, v103, v96
	;;#ASMEND
	;;#ASMSTART
	v_dot2_f32_f16 v96, v100, v104, v96
	;;#ASMEND
	;;#ASMSTART
	v_dot2_f32_f16 v96, v101, v105, v96
	;;#ASMEND
	s_waitcnt lgkmcnt(3)
	;;#ASMSTART
	v_dot2_f32_f16 v94, v98, v106, v94
	;;#ASMEND
	;;#ASMSTART
	v_dot2_f32_f16 v94, v99, v107, v94
	;;#ASMEND
	;;#ASMSTART
	v_dot2_f32_f16 v94, v100, v108, v94
	;;#ASMEND
	;;#ASMSTART
	v_dot2_f32_f16 v94, v101, v109, v94
	;;#ASMEND
	;; [unrolled: 13-line block ×5, first 2 shown]
	;;#ASMSTART
	v_dot2_f32_f16 v95, v118, v106, v95
	;;#ASMEND
	;;#ASMSTART
	v_dot2_f32_f16 v95, v119, v107, v95
	;;#ASMEND
	;; [unrolled: 3-line block ×12, first 2 shown]
	ds_load_b128 v[98:101], v68 offset:128
	ds_load_b128 v[102:105], v79 offset:128
	;; [unrolled: 1-line block ×6, first 2 shown]
	s_waitcnt lgkmcnt(4)
	;;#ASMSTART
	v_dot2_f32_f16 v96, v98, v102, v96
	;;#ASMEND
	;;#ASMSTART
	v_dot2_f32_f16 v96, v99, v103, v96
	;;#ASMEND
	;;#ASMSTART
	v_dot2_f32_f16 v96, v100, v104, v96
	;;#ASMEND
	;;#ASMSTART
	v_dot2_f32_f16 v96, v101, v105, v96
	;;#ASMEND
	s_waitcnt lgkmcnt(3)
	;;#ASMSTART
	v_dot2_f32_f16 v94, v98, v106, v94
	;;#ASMEND
	;;#ASMSTART
	v_dot2_f32_f16 v94, v99, v107, v94
	;;#ASMEND
	;;#ASMSTART
	v_dot2_f32_f16 v94, v100, v108, v94
	;;#ASMEND
	;;#ASMSTART
	v_dot2_f32_f16 v94, v101, v109, v94
	;;#ASMEND
	;; [unrolled: 13-line block ×5, first 2 shown]
	;;#ASMSTART
	v_dot2_f32_f16 v95, v118, v106, v95
	;;#ASMEND
	;;#ASMSTART
	v_dot2_f32_f16 v95, v119, v107, v95
	;;#ASMEND
	;; [unrolled: 3-line block ×12, first 2 shown]
	ds_load_b128 v[98:101], v68 offset:144
	ds_load_b128 v[102:105], v79 offset:144
	ds_load_b128 v[106:109], v79 offset:656
	ds_load_b128 v[110:113], v79 offset:1168
	ds_load_b128 v[114:117], v79 offset:1680
	ds_load_b128 v[118:121], v68 offset:8848
	s_waitcnt lgkmcnt(4)
	;;#ASMSTART
	v_dot2_f32_f16 v96, v98, v102, v96
	;;#ASMEND
	;;#ASMSTART
	v_dot2_f32_f16 v96, v99, v103, v96
	;;#ASMEND
	;;#ASMSTART
	v_dot2_f32_f16 v96, v100, v104, v96
	;;#ASMEND
	;;#ASMSTART
	v_dot2_f32_f16 v96, v101, v105, v96
	;;#ASMEND
	s_waitcnt lgkmcnt(3)
	;;#ASMSTART
	v_dot2_f32_f16 v94, v98, v106, v94
	;;#ASMEND
	;;#ASMSTART
	v_dot2_f32_f16 v94, v99, v107, v94
	;;#ASMEND
	;;#ASMSTART
	v_dot2_f32_f16 v94, v100, v108, v94
	;;#ASMEND
	;;#ASMSTART
	v_dot2_f32_f16 v94, v101, v109, v94
	;;#ASMEND
	;; [unrolled: 13-line block ×5, first 2 shown]
	;;#ASMSTART
	v_dot2_f32_f16 v95, v118, v106, v95
	;;#ASMEND
	;;#ASMSTART
	v_dot2_f32_f16 v95, v119, v107, v95
	;;#ASMEND
	;; [unrolled: 3-line block ×12, first 2 shown]
	ds_load_b128 v[98:101], v68 offset:160
	ds_load_b128 v[102:105], v79 offset:160
	;; [unrolled: 1-line block ×6, first 2 shown]
	s_waitcnt lgkmcnt(4)
	;;#ASMSTART
	v_dot2_f32_f16 v96, v98, v102, v96
	;;#ASMEND
	;;#ASMSTART
	v_dot2_f32_f16 v96, v99, v103, v96
	;;#ASMEND
	;;#ASMSTART
	v_dot2_f32_f16 v96, v100, v104, v96
	;;#ASMEND
	;;#ASMSTART
	v_dot2_f32_f16 v96, v101, v105, v96
	;;#ASMEND
	s_waitcnt lgkmcnt(3)
	;;#ASMSTART
	v_dot2_f32_f16 v94, v98, v106, v94
	;;#ASMEND
	;;#ASMSTART
	v_dot2_f32_f16 v94, v99, v107, v94
	;;#ASMEND
	;;#ASMSTART
	v_dot2_f32_f16 v94, v100, v108, v94
	;;#ASMEND
	;;#ASMSTART
	v_dot2_f32_f16 v94, v101, v109, v94
	;;#ASMEND
	;; [unrolled: 13-line block ×5, first 2 shown]
	;;#ASMSTART
	v_dot2_f32_f16 v95, v118, v106, v95
	;;#ASMEND
	;;#ASMSTART
	v_dot2_f32_f16 v95, v119, v107, v95
	;;#ASMEND
	;; [unrolled: 3-line block ×12, first 2 shown]
	ds_load_b128 v[98:101], v68 offset:176
	ds_load_b128 v[102:105], v79 offset:176
	;; [unrolled: 1-line block ×6, first 2 shown]
	s_waitcnt lgkmcnt(4)
	;;#ASMSTART
	v_dot2_f32_f16 v96, v98, v102, v96
	;;#ASMEND
	;;#ASMSTART
	v_dot2_f32_f16 v96, v99, v103, v96
	;;#ASMEND
	;;#ASMSTART
	v_dot2_f32_f16 v96, v100, v104, v96
	;;#ASMEND
	;;#ASMSTART
	v_dot2_f32_f16 v96, v101, v105, v96
	;;#ASMEND
	s_waitcnt lgkmcnt(3)
	;;#ASMSTART
	v_dot2_f32_f16 v94, v98, v106, v94
	;;#ASMEND
	;;#ASMSTART
	v_dot2_f32_f16 v94, v99, v107, v94
	;;#ASMEND
	;;#ASMSTART
	v_dot2_f32_f16 v94, v100, v108, v94
	;;#ASMEND
	;;#ASMSTART
	v_dot2_f32_f16 v94, v101, v109, v94
	;;#ASMEND
	s_waitcnt lgkmcnt(2)
	;;#ASMSTART
	v_dot2_f32_f16 v71, v98, v110, v71
	;;#ASMEND
	;;#ASMSTART
	v_dot2_f32_f16 v71, v99, v111, v71
	;;#ASMEND
	;;#ASMSTART
	v_dot2_f32_f16 v71, v100, v112, v71
	;;#ASMEND
	;;#ASMSTART
	v_dot2_f32_f16 v71, v101, v113, v71
	;;#ASMEND
	s_waitcnt lgkmcnt(1)
	;;#ASMSTART
	v_dot2_f32_f16 v69, v98, v114, v69
	;;#ASMEND
	;;#ASMSTART
	v_dot2_f32_f16 v69, v99, v115, v69
	;;#ASMEND
	;;#ASMSTART
	v_dot2_f32_f16 v69, v100, v116, v69
	;;#ASMEND
	;;#ASMSTART
	v_dot2_f32_f16 v69, v101, v117, v69
	;;#ASMEND
	s_waitcnt lgkmcnt(0)
	;;#ASMSTART
	v_dot2_f32_f16 v97, v118, v102, v97
	;;#ASMEND
	;;#ASMSTART
	v_dot2_f32_f16 v97, v119, v103, v97
	;;#ASMEND
	;;#ASMSTART
	v_dot2_f32_f16 v97, v120, v104, v97
	;;#ASMEND
	;;#ASMSTART
	v_dot2_f32_f16 v97, v121, v105, v97
	;;#ASMEND
	;;#ASMSTART
	v_dot2_f32_f16 v95, v118, v106, v95
	;;#ASMEND
	;;#ASMSTART
	v_dot2_f32_f16 v95, v119, v107, v95
	;;#ASMEND
	;; [unrolled: 3-line block ×12, first 2 shown]
	ds_load_b128 v[98:101], v68 offset:192
	ds_load_b128 v[102:105], v79 offset:192
	;; [unrolled: 1-line block ×6, first 2 shown]
	s_waitcnt lgkmcnt(4)
	;;#ASMSTART
	v_dot2_f32_f16 v96, v98, v102, v96
	;;#ASMEND
	;;#ASMSTART
	v_dot2_f32_f16 v96, v99, v103, v96
	;;#ASMEND
	;;#ASMSTART
	v_dot2_f32_f16 v96, v100, v104, v96
	;;#ASMEND
	;;#ASMSTART
	v_dot2_f32_f16 v96, v101, v105, v96
	;;#ASMEND
	s_waitcnt lgkmcnt(3)
	;;#ASMSTART
	v_dot2_f32_f16 v94, v98, v106, v94
	;;#ASMEND
	;;#ASMSTART
	v_dot2_f32_f16 v94, v99, v107, v94
	;;#ASMEND
	;;#ASMSTART
	v_dot2_f32_f16 v94, v100, v108, v94
	;;#ASMEND
	;;#ASMSTART
	v_dot2_f32_f16 v94, v101, v109, v94
	;;#ASMEND
	;; [unrolled: 13-line block ×5, first 2 shown]
	;;#ASMSTART
	v_dot2_f32_f16 v95, v118, v106, v95
	;;#ASMEND
	;;#ASMSTART
	v_dot2_f32_f16 v95, v119, v107, v95
	;;#ASMEND
	;; [unrolled: 3-line block ×12, first 2 shown]
	ds_load_b128 v[98:101], v68 offset:208
	ds_load_b128 v[102:105], v79 offset:208
	;; [unrolled: 1-line block ×6, first 2 shown]
	s_waitcnt lgkmcnt(4)
	;;#ASMSTART
	v_dot2_f32_f16 v96, v98, v102, v96
	;;#ASMEND
	;;#ASMSTART
	v_dot2_f32_f16 v96, v99, v103, v96
	;;#ASMEND
	;;#ASMSTART
	v_dot2_f32_f16 v96, v100, v104, v96
	;;#ASMEND
	;;#ASMSTART
	v_dot2_f32_f16 v96, v101, v105, v96
	;;#ASMEND
	s_waitcnt lgkmcnt(3)
	;;#ASMSTART
	v_dot2_f32_f16 v94, v98, v106, v94
	;;#ASMEND
	;;#ASMSTART
	v_dot2_f32_f16 v94, v99, v107, v94
	;;#ASMEND
	;;#ASMSTART
	v_dot2_f32_f16 v94, v100, v108, v94
	;;#ASMEND
	;;#ASMSTART
	v_dot2_f32_f16 v94, v101, v109, v94
	;;#ASMEND
	;; [unrolled: 13-line block ×5, first 2 shown]
	;;#ASMSTART
	v_dot2_f32_f16 v95, v118, v106, v95
	;;#ASMEND
	;;#ASMSTART
	v_dot2_f32_f16 v95, v119, v107, v95
	;;#ASMEND
	;; [unrolled: 3-line block ×12, first 2 shown]
	ds_load_b128 v[98:101], v68 offset:224
	ds_load_b128 v[102:105], v79 offset:224
	ds_load_b128 v[106:109], v79 offset:736
	ds_load_b128 v[110:113], v79 offset:1248
	ds_load_b128 v[114:117], v79 offset:1760
	ds_load_b128 v[118:121], v68 offset:8928
	s_waitcnt lgkmcnt(4)
	;;#ASMSTART
	v_dot2_f32_f16 v96, v98, v102, v96
	;;#ASMEND
	;;#ASMSTART
	v_dot2_f32_f16 v96, v99, v103, v96
	;;#ASMEND
	;;#ASMSTART
	v_dot2_f32_f16 v96, v100, v104, v96
	;;#ASMEND
	;;#ASMSTART
	v_dot2_f32_f16 v96, v101, v105, v96
	;;#ASMEND
	s_waitcnt lgkmcnt(3)
	;;#ASMSTART
	v_dot2_f32_f16 v94, v98, v106, v94
	;;#ASMEND
	;;#ASMSTART
	v_dot2_f32_f16 v94, v99, v107, v94
	;;#ASMEND
	;;#ASMSTART
	v_dot2_f32_f16 v94, v100, v108, v94
	;;#ASMEND
	;;#ASMSTART
	v_dot2_f32_f16 v94, v101, v109, v94
	;;#ASMEND
	;; [unrolled: 13-line block ×5, first 2 shown]
	;;#ASMSTART
	v_dot2_f32_f16 v95, v118, v106, v95
	;;#ASMEND
	;;#ASMSTART
	v_dot2_f32_f16 v95, v119, v107, v95
	;;#ASMEND
	;; [unrolled: 3-line block ×12, first 2 shown]
	ds_load_b128 v[98:101], v68 offset:240
	ds_load_b128 v[102:105], v79 offset:240
	;; [unrolled: 1-line block ×6, first 2 shown]
	s_waitcnt lgkmcnt(4)
	;;#ASMSTART
	v_dot2_f32_f16 v96, v98, v102, v96
	;;#ASMEND
	;;#ASMSTART
	v_dot2_f32_f16 v96, v99, v103, v96
	;;#ASMEND
	;;#ASMSTART
	v_dot2_f32_f16 v96, v100, v104, v96
	;;#ASMEND
	;;#ASMSTART
	v_dot2_f32_f16 v96, v101, v105, v96
	;;#ASMEND
	s_waitcnt lgkmcnt(3)
	;;#ASMSTART
	v_dot2_f32_f16 v94, v98, v106, v94
	;;#ASMEND
	;;#ASMSTART
	v_dot2_f32_f16 v94, v99, v107, v94
	;;#ASMEND
	;;#ASMSTART
	v_dot2_f32_f16 v94, v100, v108, v94
	;;#ASMEND
	;;#ASMSTART
	v_dot2_f32_f16 v94, v101, v109, v94
	;;#ASMEND
	;; [unrolled: 13-line block ×5, first 2 shown]
	;;#ASMSTART
	v_dot2_f32_f16 v95, v118, v106, v95
	;;#ASMEND
	;;#ASMSTART
	v_dot2_f32_f16 v95, v119, v107, v95
	;;#ASMEND
	;; [unrolled: 3-line block ×12, first 2 shown]
	s_barrier
	buffer_gl0_inv
	s_clause 0x3
	global_load_b128 v[98:101], v[1:2], off offset:256
	global_load_b128 v[1:4], v[3:4], off offset:256
	;; [unrolled: 1-line block ×4, first 2 shown]
	s_waitcnt vmcnt(3)
	ds_store_b128 v75, v[98:101]
	s_waitcnt vmcnt(2)
	ds_store_b128 v76, v[1:4]
	;; [unrolled: 2-line block ×4, first 2 shown]
	s_waitcnt lgkmcnt(0)
	s_barrier
	buffer_gl0_inv
	ds_load_b128 v[1:4], v68
	ds_load_b128 v[5:8], v79 offset:256
	ds_load_b128 v[98:101], v79 offset:768
	;; [unrolled: 1-line block ×5, first 2 shown]
	s_waitcnt lgkmcnt(4)
	;;#ASMSTART
	v_dot2_f32_f16 v96, v1, v5, v96
	;;#ASMEND
	;;#ASMSTART
	v_dot2_f32_f16 v96, v2, v6, v96
	;;#ASMEND
	;;#ASMSTART
	v_dot2_f32_f16 v96, v3, v7, v96
	;;#ASMEND
	;;#ASMSTART
	v_dot2_f32_f16 v96, v4, v8, v96
	;;#ASMEND
	s_waitcnt lgkmcnt(3)
	;;#ASMSTART
	v_dot2_f32_f16 v94, v1, v98, v94
	;;#ASMEND
	;;#ASMSTART
	v_dot2_f32_f16 v94, v2, v99, v94
	;;#ASMEND
	;;#ASMSTART
	v_dot2_f32_f16 v94, v3, v100, v94
	;;#ASMEND
	;;#ASMSTART
	v_dot2_f32_f16 v94, v4, v101, v94
	;;#ASMEND
	;; [unrolled: 13-line block ×5, first 2 shown]
	;;#ASMSTART
	v_dot2_f32_f16 v95, v110, v98, v95
	;;#ASMEND
	;;#ASMSTART
	v_dot2_f32_f16 v95, v111, v99, v95
	;;#ASMEND
	;; [unrolled: 3-line block ×12, first 2 shown]
	ds_load_b128 v[1:4], v68 offset:16
	ds_load_b128 v[5:8], v79 offset:272
	;; [unrolled: 1-line block ×6, first 2 shown]
	s_waitcnt lgkmcnt(4)
	;;#ASMSTART
	v_dot2_f32_f16 v96, v1, v5, v96
	;;#ASMEND
	;;#ASMSTART
	v_dot2_f32_f16 v96, v2, v6, v96
	;;#ASMEND
	;;#ASMSTART
	v_dot2_f32_f16 v96, v3, v7, v96
	;;#ASMEND
	;;#ASMSTART
	v_dot2_f32_f16 v96, v4, v8, v96
	;;#ASMEND
	s_waitcnt lgkmcnt(3)
	;;#ASMSTART
	v_dot2_f32_f16 v94, v1, v98, v94
	;;#ASMEND
	;;#ASMSTART
	v_dot2_f32_f16 v94, v2, v99, v94
	;;#ASMEND
	;;#ASMSTART
	v_dot2_f32_f16 v94, v3, v100, v94
	;;#ASMEND
	;;#ASMSTART
	v_dot2_f32_f16 v94, v4, v101, v94
	;;#ASMEND
	;; [unrolled: 13-line block ×5, first 2 shown]
	;;#ASMSTART
	v_dot2_f32_f16 v95, v110, v98, v95
	;;#ASMEND
	;;#ASMSTART
	v_dot2_f32_f16 v95, v111, v99, v95
	;;#ASMEND
	;; [unrolled: 3-line block ×12, first 2 shown]
	ds_load_b128 v[1:4], v68 offset:32
	ds_load_b128 v[5:8], v79 offset:288
	;; [unrolled: 1-line block ×6, first 2 shown]
	s_waitcnt lgkmcnt(4)
	;;#ASMSTART
	v_dot2_f32_f16 v96, v1, v5, v96
	;;#ASMEND
	;;#ASMSTART
	v_dot2_f32_f16 v96, v2, v6, v96
	;;#ASMEND
	;;#ASMSTART
	v_dot2_f32_f16 v96, v3, v7, v96
	;;#ASMEND
	;;#ASMSTART
	v_dot2_f32_f16 v96, v4, v8, v96
	;;#ASMEND
	s_waitcnt lgkmcnt(3)
	;;#ASMSTART
	v_dot2_f32_f16 v94, v1, v98, v94
	;;#ASMEND
	;;#ASMSTART
	v_dot2_f32_f16 v94, v2, v99, v94
	;;#ASMEND
	;;#ASMSTART
	v_dot2_f32_f16 v94, v3, v100, v94
	;;#ASMEND
	;;#ASMSTART
	v_dot2_f32_f16 v94, v4, v101, v94
	;;#ASMEND
	;; [unrolled: 13-line block ×5, first 2 shown]
	;;#ASMSTART
	v_dot2_f32_f16 v95, v110, v98, v95
	;;#ASMEND
	;;#ASMSTART
	v_dot2_f32_f16 v95, v111, v99, v95
	;;#ASMEND
	;; [unrolled: 3-line block ×12, first 2 shown]
	ds_load_b128 v[1:4], v68 offset:48
	ds_load_b128 v[5:8], v79 offset:304
	;; [unrolled: 1-line block ×6, first 2 shown]
	s_waitcnt lgkmcnt(4)
	;;#ASMSTART
	v_dot2_f32_f16 v96, v1, v5, v96
	;;#ASMEND
	;;#ASMSTART
	v_dot2_f32_f16 v96, v2, v6, v96
	;;#ASMEND
	;;#ASMSTART
	v_dot2_f32_f16 v96, v3, v7, v96
	;;#ASMEND
	;;#ASMSTART
	v_dot2_f32_f16 v96, v4, v8, v96
	;;#ASMEND
	s_waitcnt lgkmcnt(3)
	;;#ASMSTART
	v_dot2_f32_f16 v94, v1, v98, v94
	;;#ASMEND
	;;#ASMSTART
	v_dot2_f32_f16 v94, v2, v99, v94
	;;#ASMEND
	;;#ASMSTART
	v_dot2_f32_f16 v94, v3, v100, v94
	;;#ASMEND
	;;#ASMSTART
	v_dot2_f32_f16 v94, v4, v101, v94
	;;#ASMEND
	;; [unrolled: 13-line block ×5, first 2 shown]
	;;#ASMSTART
	v_dot2_f32_f16 v95, v110, v98, v95
	;;#ASMEND
	;;#ASMSTART
	v_dot2_f32_f16 v95, v111, v99, v95
	;;#ASMEND
	;; [unrolled: 3-line block ×12, first 2 shown]
	ds_load_b128 v[1:4], v68 offset:64
	ds_load_b128 v[5:8], v79 offset:320
	;; [unrolled: 1-line block ×6, first 2 shown]
	s_waitcnt lgkmcnt(4)
	;;#ASMSTART
	v_dot2_f32_f16 v96, v1, v5, v96
	;;#ASMEND
	;;#ASMSTART
	v_dot2_f32_f16 v96, v2, v6, v96
	;;#ASMEND
	;;#ASMSTART
	v_dot2_f32_f16 v96, v3, v7, v96
	;;#ASMEND
	;;#ASMSTART
	v_dot2_f32_f16 v96, v4, v8, v96
	;;#ASMEND
	s_waitcnt lgkmcnt(3)
	;;#ASMSTART
	v_dot2_f32_f16 v94, v1, v98, v94
	;;#ASMEND
	;;#ASMSTART
	v_dot2_f32_f16 v94, v2, v99, v94
	;;#ASMEND
	;;#ASMSTART
	v_dot2_f32_f16 v94, v3, v100, v94
	;;#ASMEND
	;;#ASMSTART
	v_dot2_f32_f16 v94, v4, v101, v94
	;;#ASMEND
	;; [unrolled: 13-line block ×5, first 2 shown]
	;;#ASMSTART
	v_dot2_f32_f16 v95, v110, v98, v95
	;;#ASMEND
	;;#ASMSTART
	v_dot2_f32_f16 v95, v111, v99, v95
	;;#ASMEND
	;; [unrolled: 3-line block ×12, first 2 shown]
	ds_load_b128 v[1:4], v68 offset:80
	ds_load_b128 v[5:8], v79 offset:336
	;; [unrolled: 1-line block ×6, first 2 shown]
	s_waitcnt lgkmcnt(4)
	;;#ASMSTART
	v_dot2_f32_f16 v96, v1, v5, v96
	;;#ASMEND
	;;#ASMSTART
	v_dot2_f32_f16 v96, v2, v6, v96
	;;#ASMEND
	;;#ASMSTART
	v_dot2_f32_f16 v96, v3, v7, v96
	;;#ASMEND
	;;#ASMSTART
	v_dot2_f32_f16 v96, v4, v8, v96
	;;#ASMEND
	s_waitcnt lgkmcnt(3)
	;;#ASMSTART
	v_dot2_f32_f16 v94, v1, v98, v94
	;;#ASMEND
	;;#ASMSTART
	v_dot2_f32_f16 v94, v2, v99, v94
	;;#ASMEND
	;;#ASMSTART
	v_dot2_f32_f16 v94, v3, v100, v94
	;;#ASMEND
	;;#ASMSTART
	v_dot2_f32_f16 v94, v4, v101, v94
	;;#ASMEND
	;; [unrolled: 13-line block ×5, first 2 shown]
	;;#ASMSTART
	v_dot2_f32_f16 v95, v110, v98, v95
	;;#ASMEND
	;;#ASMSTART
	v_dot2_f32_f16 v95, v111, v99, v95
	;;#ASMEND
	;; [unrolled: 3-line block ×12, first 2 shown]
	ds_load_b128 v[1:4], v68 offset:96
	ds_load_b128 v[5:8], v79 offset:352
	ds_load_b128 v[98:101], v79 offset:864
	ds_load_b128 v[102:105], v79 offset:1376
	ds_load_b128 v[106:109], v79 offset:1888
	ds_load_b128 v[110:113], v68 offset:8800
	s_waitcnt lgkmcnt(4)
	;;#ASMSTART
	v_dot2_f32_f16 v96, v1, v5, v96
	;;#ASMEND
	;;#ASMSTART
	v_dot2_f32_f16 v96, v2, v6, v96
	;;#ASMEND
	;;#ASMSTART
	v_dot2_f32_f16 v96, v3, v7, v96
	;;#ASMEND
	;;#ASMSTART
	v_dot2_f32_f16 v96, v4, v8, v96
	;;#ASMEND
	s_waitcnt lgkmcnt(3)
	;;#ASMSTART
	v_dot2_f32_f16 v94, v1, v98, v94
	;;#ASMEND
	;;#ASMSTART
	v_dot2_f32_f16 v94, v2, v99, v94
	;;#ASMEND
	;;#ASMSTART
	v_dot2_f32_f16 v94, v3, v100, v94
	;;#ASMEND
	;;#ASMSTART
	v_dot2_f32_f16 v94, v4, v101, v94
	;;#ASMEND
	;; [unrolled: 13-line block ×5, first 2 shown]
	;;#ASMSTART
	v_dot2_f32_f16 v95, v110, v98, v95
	;;#ASMEND
	;;#ASMSTART
	v_dot2_f32_f16 v95, v111, v99, v95
	;;#ASMEND
	;; [unrolled: 3-line block ×12, first 2 shown]
	ds_load_b128 v[1:4], v68 offset:112
	ds_load_b128 v[5:8], v79 offset:368
	;; [unrolled: 1-line block ×6, first 2 shown]
	s_waitcnt lgkmcnt(4)
	;;#ASMSTART
	v_dot2_f32_f16 v96, v1, v5, v96
	;;#ASMEND
	;;#ASMSTART
	v_dot2_f32_f16 v96, v2, v6, v96
	;;#ASMEND
	;;#ASMSTART
	v_dot2_f32_f16 v96, v3, v7, v96
	;;#ASMEND
	;;#ASMSTART
	v_dot2_f32_f16 v96, v4, v8, v96
	;;#ASMEND
	s_waitcnt lgkmcnt(3)
	;;#ASMSTART
	v_dot2_f32_f16 v94, v1, v98, v94
	;;#ASMEND
	;;#ASMSTART
	v_dot2_f32_f16 v94, v2, v99, v94
	;;#ASMEND
	;;#ASMSTART
	v_dot2_f32_f16 v94, v3, v100, v94
	;;#ASMEND
	;;#ASMSTART
	v_dot2_f32_f16 v94, v4, v101, v94
	;;#ASMEND
	;; [unrolled: 13-line block ×5, first 2 shown]
	;;#ASMSTART
	v_dot2_f32_f16 v95, v110, v98, v95
	;;#ASMEND
	;;#ASMSTART
	v_dot2_f32_f16 v95, v111, v99, v95
	;;#ASMEND
	;; [unrolled: 3-line block ×12, first 2 shown]
	ds_load_b128 v[1:4], v68 offset:128
	ds_load_b128 v[5:8], v79 offset:384
	;; [unrolled: 1-line block ×6, first 2 shown]
	s_waitcnt lgkmcnt(4)
	;;#ASMSTART
	v_dot2_f32_f16 v96, v1, v5, v96
	;;#ASMEND
	;;#ASMSTART
	v_dot2_f32_f16 v96, v2, v6, v96
	;;#ASMEND
	;;#ASMSTART
	v_dot2_f32_f16 v96, v3, v7, v96
	;;#ASMEND
	;;#ASMSTART
	v_dot2_f32_f16 v96, v4, v8, v96
	;;#ASMEND
	s_waitcnt lgkmcnt(3)
	;;#ASMSTART
	v_dot2_f32_f16 v94, v1, v98, v94
	;;#ASMEND
	;;#ASMSTART
	v_dot2_f32_f16 v94, v2, v99, v94
	;;#ASMEND
	;;#ASMSTART
	v_dot2_f32_f16 v94, v3, v100, v94
	;;#ASMEND
	;;#ASMSTART
	v_dot2_f32_f16 v94, v4, v101, v94
	;;#ASMEND
	;; [unrolled: 13-line block ×5, first 2 shown]
	;;#ASMSTART
	v_dot2_f32_f16 v95, v110, v98, v95
	;;#ASMEND
	;;#ASMSTART
	v_dot2_f32_f16 v95, v111, v99, v95
	;;#ASMEND
	;; [unrolled: 3-line block ×12, first 2 shown]
	ds_load_b128 v[1:4], v68 offset:144
	ds_load_b128 v[5:8], v79 offset:400
	;; [unrolled: 1-line block ×6, first 2 shown]
	s_waitcnt lgkmcnt(4)
	;;#ASMSTART
	v_dot2_f32_f16 v96, v1, v5, v96
	;;#ASMEND
	;;#ASMSTART
	v_dot2_f32_f16 v96, v2, v6, v96
	;;#ASMEND
	;;#ASMSTART
	v_dot2_f32_f16 v96, v3, v7, v96
	;;#ASMEND
	;;#ASMSTART
	v_dot2_f32_f16 v96, v4, v8, v96
	;;#ASMEND
	s_waitcnt lgkmcnt(3)
	;;#ASMSTART
	v_dot2_f32_f16 v94, v1, v98, v94
	;;#ASMEND
	;;#ASMSTART
	v_dot2_f32_f16 v94, v2, v99, v94
	;;#ASMEND
	;;#ASMSTART
	v_dot2_f32_f16 v94, v3, v100, v94
	;;#ASMEND
	;;#ASMSTART
	v_dot2_f32_f16 v94, v4, v101, v94
	;;#ASMEND
	;; [unrolled: 13-line block ×5, first 2 shown]
	;;#ASMSTART
	v_dot2_f32_f16 v95, v110, v98, v95
	;;#ASMEND
	;;#ASMSTART
	v_dot2_f32_f16 v95, v111, v99, v95
	;;#ASMEND
	;; [unrolled: 3-line block ×12, first 2 shown]
	ds_load_b128 v[1:4], v68 offset:160
	ds_load_b128 v[5:8], v79 offset:416
	ds_load_b128 v[98:101], v79 offset:928
	ds_load_b128 v[102:105], v79 offset:1440
	ds_load_b128 v[106:109], v79 offset:1952
	ds_load_b128 v[110:113], v68 offset:8864
	s_waitcnt lgkmcnt(4)
	;;#ASMSTART
	v_dot2_f32_f16 v96, v1, v5, v96
	;;#ASMEND
	;;#ASMSTART
	v_dot2_f32_f16 v96, v2, v6, v96
	;;#ASMEND
	;;#ASMSTART
	v_dot2_f32_f16 v96, v3, v7, v96
	;;#ASMEND
	;;#ASMSTART
	v_dot2_f32_f16 v96, v4, v8, v96
	;;#ASMEND
	s_waitcnt lgkmcnt(3)
	;;#ASMSTART
	v_dot2_f32_f16 v94, v1, v98, v94
	;;#ASMEND
	;;#ASMSTART
	v_dot2_f32_f16 v94, v2, v99, v94
	;;#ASMEND
	;;#ASMSTART
	v_dot2_f32_f16 v94, v3, v100, v94
	;;#ASMEND
	;;#ASMSTART
	v_dot2_f32_f16 v94, v4, v101, v94
	;;#ASMEND
	;; [unrolled: 13-line block ×5, first 2 shown]
	;;#ASMSTART
	v_dot2_f32_f16 v95, v110, v98, v95
	;;#ASMEND
	;;#ASMSTART
	v_dot2_f32_f16 v95, v111, v99, v95
	;;#ASMEND
	;;#ASMSTART
	v_dot2_f32_f16 v95, v112, v100, v95
	;;#ASMEND
	;;#ASMSTART
	v_dot2_f32_f16 v95, v113, v101, v95
	;;#ASMEND
	;;#ASMSTART
	v_dot2_f32_f16 v72, v110, v102, v72
	;;#ASMEND
	;;#ASMSTART
	v_dot2_f32_f16 v72, v111, v103, v72
	;;#ASMEND
	;;#ASMSTART
	v_dot2_f32_f16 v72, v112, v104, v72
	;;#ASMEND
	;;#ASMSTART
	v_dot2_f32_f16 v72, v113, v105, v72
	;;#ASMEND
	;;#ASMSTART
	v_dot2_f32_f16 v70, v110, v106, v70
	;;#ASMEND
	;;#ASMSTART
	v_dot2_f32_f16 v70, v111, v107, v70
	;;#ASMEND
	;;#ASMSTART
	v_dot2_f32_f16 v70, v112, v108, v70
	;;#ASMEND
	;;#ASMSTART
	v_dot2_f32_f16 v70, v113, v109, v70
	;;#ASMEND
	ds_load_b128 v[1:4], v68 offset:176
	ds_load_b128 v[5:8], v79 offset:432
	;; [unrolled: 1-line block ×6, first 2 shown]
	s_waitcnt lgkmcnt(4)
	;;#ASMSTART
	v_dot2_f32_f16 v96, v1, v5, v96
	;;#ASMEND
	;;#ASMSTART
	v_dot2_f32_f16 v96, v2, v6, v96
	;;#ASMEND
	;;#ASMSTART
	v_dot2_f32_f16 v96, v3, v7, v96
	;;#ASMEND
	;;#ASMSTART
	v_dot2_f32_f16 v96, v4, v8, v96
	;;#ASMEND
	s_waitcnt lgkmcnt(3)
	;;#ASMSTART
	v_dot2_f32_f16 v94, v1, v98, v94
	;;#ASMEND
	;;#ASMSTART
	v_dot2_f32_f16 v94, v2, v99, v94
	;;#ASMEND
	;;#ASMSTART
	v_dot2_f32_f16 v94, v3, v100, v94
	;;#ASMEND
	;;#ASMSTART
	v_dot2_f32_f16 v94, v4, v101, v94
	;;#ASMEND
	;; [unrolled: 13-line block ×5, first 2 shown]
	;;#ASMSTART
	v_dot2_f32_f16 v95, v110, v98, v95
	;;#ASMEND
	;;#ASMSTART
	v_dot2_f32_f16 v95, v111, v99, v95
	;;#ASMEND
	;; [unrolled: 3-line block ×12, first 2 shown]
	ds_load_b128 v[1:4], v68 offset:192
	ds_load_b128 v[5:8], v79 offset:448
	;; [unrolled: 1-line block ×6, first 2 shown]
	s_waitcnt lgkmcnt(4)
	;;#ASMSTART
	v_dot2_f32_f16 v96, v1, v5, v96
	;;#ASMEND
	;;#ASMSTART
	v_dot2_f32_f16 v96, v2, v6, v96
	;;#ASMEND
	;;#ASMSTART
	v_dot2_f32_f16 v96, v3, v7, v96
	;;#ASMEND
	;;#ASMSTART
	v_dot2_f32_f16 v96, v4, v8, v96
	;;#ASMEND
	s_waitcnt lgkmcnt(3)
	;;#ASMSTART
	v_dot2_f32_f16 v94, v1, v98, v94
	;;#ASMEND
	;;#ASMSTART
	v_dot2_f32_f16 v94, v2, v99, v94
	;;#ASMEND
	;;#ASMSTART
	v_dot2_f32_f16 v94, v3, v100, v94
	;;#ASMEND
	;;#ASMSTART
	v_dot2_f32_f16 v94, v4, v101, v94
	;;#ASMEND
	;; [unrolled: 13-line block ×5, first 2 shown]
	;;#ASMSTART
	v_dot2_f32_f16 v95, v110, v98, v95
	;;#ASMEND
	;;#ASMSTART
	v_dot2_f32_f16 v95, v111, v99, v95
	;;#ASMEND
	;; [unrolled: 3-line block ×12, first 2 shown]
	ds_load_b128 v[1:4], v68 offset:208
	ds_load_b128 v[5:8], v79 offset:464
	;; [unrolled: 1-line block ×6, first 2 shown]
	s_waitcnt lgkmcnt(4)
	;;#ASMSTART
	v_dot2_f32_f16 v96, v1, v5, v96
	;;#ASMEND
	;;#ASMSTART
	v_dot2_f32_f16 v96, v2, v6, v96
	;;#ASMEND
	;;#ASMSTART
	v_dot2_f32_f16 v96, v3, v7, v96
	;;#ASMEND
	;;#ASMSTART
	v_dot2_f32_f16 v96, v4, v8, v96
	;;#ASMEND
	s_waitcnt lgkmcnt(3)
	;;#ASMSTART
	v_dot2_f32_f16 v94, v1, v98, v94
	;;#ASMEND
	;;#ASMSTART
	v_dot2_f32_f16 v94, v2, v99, v94
	;;#ASMEND
	;;#ASMSTART
	v_dot2_f32_f16 v94, v3, v100, v94
	;;#ASMEND
	;;#ASMSTART
	v_dot2_f32_f16 v94, v4, v101, v94
	;;#ASMEND
	;; [unrolled: 13-line block ×5, first 2 shown]
	;;#ASMSTART
	v_dot2_f32_f16 v95, v110, v98, v95
	;;#ASMEND
	;;#ASMSTART
	v_dot2_f32_f16 v95, v111, v99, v95
	;;#ASMEND
	;; [unrolled: 3-line block ×12, first 2 shown]
	ds_load_b128 v[1:4], v68 offset:224
	ds_load_b128 v[5:8], v79 offset:480
	;; [unrolled: 1-line block ×6, first 2 shown]
	s_waitcnt lgkmcnt(4)
	;;#ASMSTART
	v_dot2_f32_f16 v96, v1, v5, v96
	;;#ASMEND
	;;#ASMSTART
	v_dot2_f32_f16 v96, v2, v6, v96
	;;#ASMEND
	;;#ASMSTART
	v_dot2_f32_f16 v96, v3, v7, v96
	;;#ASMEND
	;;#ASMSTART
	v_dot2_f32_f16 v96, v4, v8, v96
	;;#ASMEND
	s_waitcnt lgkmcnt(3)
	;;#ASMSTART
	v_dot2_f32_f16 v94, v1, v98, v94
	;;#ASMEND
	;;#ASMSTART
	v_dot2_f32_f16 v94, v2, v99, v94
	;;#ASMEND
	;;#ASMSTART
	v_dot2_f32_f16 v94, v3, v100, v94
	;;#ASMEND
	;;#ASMSTART
	v_dot2_f32_f16 v94, v4, v101, v94
	;;#ASMEND
	;; [unrolled: 13-line block ×5, first 2 shown]
	;;#ASMSTART
	v_dot2_f32_f16 v95, v110, v98, v95
	;;#ASMEND
	;;#ASMSTART
	v_dot2_f32_f16 v95, v111, v99, v95
	;;#ASMEND
	;;#ASMSTART
	v_dot2_f32_f16 v95, v112, v100, v95
	;;#ASMEND
	;;#ASMSTART
	v_dot2_f32_f16 v95, v113, v101, v95
	;;#ASMEND
	;;#ASMSTART
	v_dot2_f32_f16 v72, v110, v102, v72
	;;#ASMEND
	;;#ASMSTART
	v_dot2_f32_f16 v72, v111, v103, v72
	;;#ASMEND
	;;#ASMSTART
	v_dot2_f32_f16 v72, v112, v104, v72
	;;#ASMEND
	;;#ASMSTART
	v_dot2_f32_f16 v72, v113, v105, v72
	;;#ASMEND
	;;#ASMSTART
	v_dot2_f32_f16 v70, v110, v106, v70
	;;#ASMEND
	;;#ASMSTART
	v_dot2_f32_f16 v70, v111, v107, v70
	;;#ASMEND
	;;#ASMSTART
	v_dot2_f32_f16 v70, v112, v108, v70
	;;#ASMEND
	;;#ASMSTART
	v_dot2_f32_f16 v70, v113, v109, v70
	;;#ASMEND
	ds_load_b128 v[1:4], v68 offset:240
	ds_load_b128 v[5:8], v79 offset:496
	;; [unrolled: 1-line block ×6, first 2 shown]
	s_waitcnt lgkmcnt(4)
	;;#ASMSTART
	v_dot2_f32_f16 v96, v1, v5, v96
	;;#ASMEND
	;;#ASMSTART
	v_dot2_f32_f16 v96, v2, v6, v96
	;;#ASMEND
	;;#ASMSTART
	v_dot2_f32_f16 v96, v3, v7, v96
	;;#ASMEND
	;;#ASMSTART
	v_dot2_f32_f16 v96, v4, v8, v96
	;;#ASMEND
	s_waitcnt lgkmcnt(3)
	;;#ASMSTART
	v_dot2_f32_f16 v94, v1, v98, v94
	;;#ASMEND
	;;#ASMSTART
	v_dot2_f32_f16 v94, v2, v99, v94
	;;#ASMEND
	;;#ASMSTART
	v_dot2_f32_f16 v94, v3, v100, v94
	;;#ASMEND
	;;#ASMSTART
	v_dot2_f32_f16 v94, v4, v101, v94
	;;#ASMEND
	;; [unrolled: 13-line block ×5, first 2 shown]
	;;#ASMSTART
	v_dot2_f32_f16 v95, v110, v98, v95
	;;#ASMEND
	;;#ASMSTART
	v_dot2_f32_f16 v95, v111, v99, v95
	;;#ASMEND
	;;#ASMSTART
	v_dot2_f32_f16 v95, v112, v100, v95
	;;#ASMEND
	;;#ASMSTART
	v_dot2_f32_f16 v95, v113, v101, v95
	;;#ASMEND
	;;#ASMSTART
	v_dot2_f32_f16 v72, v110, v102, v72
	;;#ASMEND
	v_cmp_ngt_f32_e64 s21, 0x3f200000, |v96|
	;;#ASMSTART
	v_dot2_f32_f16 v72, v111, v103, v72
	;;#ASMEND
	;;#ASMSTART
	v_dot2_f32_f16 v72, v112, v104, v72
	;;#ASMEND
	;; [unrolled: 3-line block ×7, first 2 shown]
                                        ; implicit-def: $vgpr3
	s_and_saveexec_b32 s22, s21
	s_delay_alu instid0(SALU_CYCLE_1)
	s_xor_b32 s21, exec_lo, s22
	s_cbranch_execz .LBB70_10
; %bb.9:                                ;   in Loop: Header=BB70_8 Depth=1
	v_add_f32_e64 v1, |v96|, |v96|
	s_delay_alu instid0(VALU_DEP_1) | instskip(SKIP_1) | instid1(VALU_DEP_2)
	v_mul_f32_e32 v2, 0x3fb8aa3b, v1
	v_cmp_ngt_f32_e32 vcc_lo, 0xc2ce8ed0, v1
	v_rndne_f32_e32 v3, v2
	v_fma_f32 v4, 0x3fb8aa3b, v1, -v2
	s_delay_alu instid0(VALU_DEP_2) | instskip(NEXT) | instid1(VALU_DEP_2)
	v_sub_f32_e32 v2, v2, v3
	v_fmac_f32_e32 v4, 0x32a5705f, v1
	v_cvt_i32_f32_e32 v3, v3
	s_delay_alu instid0(VALU_DEP_2) | instskip(NEXT) | instid1(VALU_DEP_1)
	v_add_f32_e32 v2, v2, v4
	v_exp_f32_e32 v2, v2
	s_waitcnt_depctr 0xfff
	v_ldexp_f32 v2, v2, v3
	s_delay_alu instid0(VALU_DEP_1) | instskip(SKIP_1) | instid1(VALU_DEP_2)
	v_cndmask_b32_e32 v2, 0, v2, vcc_lo
	v_cmp_nlt_f32_e32 vcc_lo, 0x42b17218, v1
	v_cndmask_b32_e32 v1, 0x7f800000, v2, vcc_lo
	s_delay_alu instid0(VALU_DEP_1) | instskip(NEXT) | instid1(VALU_DEP_1)
	v_add_f32_e32 v1, 1.0, v1
	v_rcp_f32_e32 v1, v1
	s_waitcnt_depctr 0xfff
	v_fma_f32 v3, v1, -2.0, 1.0
.LBB70_10:                              ;   in Loop: Header=BB70_8 Depth=1
	s_and_not1_saveexec_b32 s21, s21
; %bb.11:                               ;   in Loop: Header=BB70_8 Depth=1
	v_mul_f32_e32 v1, v96, v96
	s_delay_alu instid0(VALU_DEP_1) | instskip(NEXT) | instid1(VALU_DEP_1)
	v_fmaak_f32 v2, s20, v1, 0x3ca908c9
	v_fmaak_f32 v2, v1, v2, 0xbd5c1c4e
	s_delay_alu instid0(VALU_DEP_1) | instskip(NEXT) | instid1(VALU_DEP_1)
	v_fmaak_f32 v2, v1, v2, 0x3e088382
	v_fmaak_f32 v2, v1, v2, 0xbeaaaa99
	s_delay_alu instid0(VALU_DEP_1) | instskip(NEXT) | instid1(VALU_DEP_1)
	v_mul_f32_e64 v2, |v96|, v2
	v_fma_f32 v3, v1, v2, |v96|
; %bb.12:                               ;   in Loop: Header=BB70_8 Depth=1
	s_or_b32 exec_lo, exec_lo, s21
	v_add_nc_u32_e32 v103, s12, v40
	s_and_not1_b32 vcc_lo, exec_lo, s8
	s_delay_alu instid0(VALU_DEP_1) | instskip(NEXT) | instid1(VALU_DEP_1)
	v_add_nc_u32_e32 v1, v103, v80
	v_ashrrev_i32_e32 v2, 31, v1
	s_cbranch_vccnz .LBB70_58
; %bb.13:                               ;   in Loop: Header=BB70_8 Depth=1
	s_delay_alu instid0(VALU_DEP_1) | instskip(NEXT) | instid1(VALU_DEP_1)
	v_lshlrev_b64 v[4:5], 1, v[1:2]
	v_add_co_u32 v4, vcc_lo, s40, v4
	s_delay_alu instid0(VALU_DEP_2) | instskip(SKIP_3) | instid1(VALU_DEP_1)
	v_add_co_ci_u32_e32 v5, vcc_lo, s41, v5, vcc_lo
	flat_load_u16 v4, v[4:5]
	s_waitcnt vmcnt(0) lgkmcnt(0)
	v_cvt_f32_f16_e32 v4, v4
	v_mul_f32_e32 v4, v48, v4
	v_cmp_ngt_f32_e64 s21, 0x3f200000, |v97|
                                        ; implicit-def: $vgpr5
	s_delay_alu instid0(VALU_DEP_1) | instskip(NEXT) | instid1(SALU_CYCLE_1)
	s_and_saveexec_b32 s22, s21
	s_xor_b32 s21, exec_lo, s22
	s_cbranch_execz .LBB70_15
.LBB70_14:                              ;   in Loop: Header=BB70_8 Depth=1
	v_add_f32_e64 v5, |v97|, |v97|
	s_delay_alu instid0(VALU_DEP_1) | instskip(SKIP_1) | instid1(VALU_DEP_2)
	v_mul_f32_e32 v6, 0x3fb8aa3b, v5
	v_cmp_ngt_f32_e32 vcc_lo, 0xc2ce8ed0, v5
	v_rndne_f32_e32 v7, v6
	v_fma_f32 v8, 0x3fb8aa3b, v5, -v6
	s_delay_alu instid0(VALU_DEP_2) | instskip(NEXT) | instid1(VALU_DEP_2)
	v_sub_f32_e32 v6, v6, v7
	v_fmac_f32_e32 v8, 0x32a5705f, v5
	v_cvt_i32_f32_e32 v7, v7
	s_delay_alu instid0(VALU_DEP_2) | instskip(NEXT) | instid1(VALU_DEP_1)
	v_add_f32_e32 v6, v6, v8
	v_exp_f32_e32 v6, v6
	s_waitcnt_depctr 0xfff
	v_ldexp_f32 v6, v6, v7
	s_delay_alu instid0(VALU_DEP_1) | instskip(SKIP_1) | instid1(VALU_DEP_2)
	v_cndmask_b32_e32 v6, 0, v6, vcc_lo
	v_cmp_nlt_f32_e32 vcc_lo, 0x42b17218, v5
	v_cndmask_b32_e32 v5, 0x7f800000, v6, vcc_lo
	s_delay_alu instid0(VALU_DEP_1) | instskip(NEXT) | instid1(VALU_DEP_1)
	v_add_f32_e32 v5, 1.0, v5
	v_rcp_f32_e32 v5, v5
	s_waitcnt_depctr 0xfff
	v_fma_f32 v5, v5, -2.0, 1.0
.LBB70_15:                              ;   in Loop: Header=BB70_8 Depth=1
	s_and_not1_saveexec_b32 s21, s21
	s_cbranch_execz .LBB70_18
; %bb.16:                               ;   in Loop: Header=BB70_8 Depth=1
	v_mul_f32_e32 v5, v97, v97
	s_delay_alu instid0(VALU_DEP_1) | instskip(NEXT) | instid1(VALU_DEP_1)
	v_fmaak_f32 v6, s20, v5, 0x3ca908c9
	v_fmaak_f32 v6, v5, v6, 0xbd5c1c4e
	s_delay_alu instid0(VALU_DEP_1) | instskip(NEXT) | instid1(VALU_DEP_1)
	v_fmaak_f32 v6, v5, v6, 0x3e088382
	v_fmaak_f32 v6, v5, v6, 0xbeaaaa99
	s_delay_alu instid0(VALU_DEP_1) | instskip(NEXT) | instid1(VALU_DEP_1)
	v_mul_f32_e64 v6, |v97|, v6
	v_fma_f32 v5, v5, v6, |v97|
	s_or_b32 exec_lo, exec_lo, s21
	s_delay_alu instid0(SALU_CYCLE_1)
	s_and_not1_b32 vcc_lo, exec_lo, s8
	s_cbranch_vccz .LBB70_19
.LBB70_17:                              ;   in Loop: Header=BB70_8 Depth=1
	v_mov_b32_e32 v8, 0
	s_branch .LBB70_20
.LBB70_18:                              ;   in Loop: Header=BB70_8 Depth=1
	s_or_b32 exec_lo, exec_lo, s21
	s_delay_alu instid0(SALU_CYCLE_1)
	s_and_not1_b32 vcc_lo, exec_lo, s8
	s_cbranch_vccnz .LBB70_17
.LBB70_19:                              ;   in Loop: Header=BB70_8 Depth=1
	v_lshlrev_b64 v[1:2], 1, v[1:2]
	s_delay_alu instid0(VALU_DEP_1) | instskip(NEXT) | instid1(VALU_DEP_2)
	v_add_co_u32 v1, vcc_lo, s9, v1
	v_add_co_ci_u32_e32 v2, vcc_lo, s19, v2, vcc_lo
	flat_load_u16 v1, v[1:2]
	s_waitcnt vmcnt(0) lgkmcnt(0)
	v_cvt_f32_f16_e32 v1, v1
	s_delay_alu instid0(VALU_DEP_1)
	v_mul_f32_e32 v8, v48, v1
.LBB70_20:                              ;   in Loop: Header=BB70_8 Depth=1
	v_bfi_b32 v1, 0x7fffffff, v3, v96
	v_xor_b32_e32 v3, 16, v89
	v_bfi_b32 v2, 0x7fffffff, v5, v97
	v_cmp_ngt_f32_e64 s21, 0x3f200000, |v94|
                                        ; implicit-def: $vgpr101
	s_delay_alu instid0(VALU_DEP_3) | instskip(SKIP_1) | instid1(VALU_DEP_4)
	v_cmp_gt_i32_e32 vcc_lo, 32, v3
	v_dual_fmac_f32 v4, s23, v1 :: v_dual_cndmask_b32 v1, v89, v3
	v_fmac_f32_e32 v8, s23, v2
	s_delay_alu instid0(VALU_DEP_2) | instskip(NEXT) | instid1(VALU_DEP_2)
	v_dual_add_f32 v2, 0x40051340, v4 :: v_dual_lshlrev_b32 v3, 2, v1
	v_add_f32_e32 v5, 0x40051340, v8
	s_delay_alu instid0(VALU_DEP_1)
	v_max3_f32 v1, v91, v2, v5
	v_xor_b32_e32 v5, 8, v89
	ds_bpermute_b32 v2, v3, v1
	v_cmp_gt_i32_e32 vcc_lo, 32, v5
	s_waitcnt lgkmcnt(0)
	v_dual_cndmask_b32 v5, v89, v5 :: v_dual_max_f32 v2, v2, v2
	s_delay_alu instid0(VALU_DEP_1) | instskip(SKIP_1) | instid1(VALU_DEP_3)
	v_lshlrev_b32_e32 v96, 2, v5
	v_xor_b32_e32 v5, 4, v89
	v_max_f32_e32 v1, v1, v2
	s_delay_alu instid0(VALU_DEP_2) | instskip(SKIP_3) | instid1(VALU_DEP_1)
	v_cmp_gt_i32_e32 vcc_lo, 32, v5
	ds_bpermute_b32 v2, v96, v1
	s_waitcnt lgkmcnt(0)
	v_dual_cndmask_b32 v5, v89, v5 :: v_dual_max_f32 v2, v2, v2
	v_lshlrev_b32_e32 v7, 2, v5
	v_xor_b32_e32 v5, 2, v89
	s_delay_alu instid0(VALU_DEP_1) | instskip(SKIP_1) | instid1(VALU_DEP_1)
	v_cmp_gt_i32_e32 vcc_lo, 32, v5
	v_cndmask_b32_e32 v5, v89, v5, vcc_lo
	v_dual_max_f32 v1, v1, v2 :: v_dual_lshlrev_b32 v6, 2, v5
	ds_bpermute_b32 v2, v7, v1
	v_xor_b32_e32 v5, 1, v89
	s_delay_alu instid0(VALU_DEP_1) | instskip(SKIP_2) | instid1(VALU_DEP_1)
	v_cmp_gt_i32_e32 vcc_lo, 32, v5
	s_waitcnt lgkmcnt(0)
	v_dual_cndmask_b32 v5, v89, v5 :: v_dual_max_f32 v2, v2, v2
	v_max_f32_e32 v1, v1, v2
	ds_bpermute_b32 v2, v6, v1
	s_waitcnt lgkmcnt(0)
	v_dual_max_f32 v2, v2, v2 :: v_dual_lshlrev_b32 v5, 2, v5
	s_delay_alu instid0(VALU_DEP_1) | instskip(SKIP_2) | instid1(SALU_CYCLE_1)
	v_max_f32_e32 v98, v1, v2
	ds_bpermute_b32 v99, v5, v98
	s_and_saveexec_b32 s22, s21
	s_xor_b32 s21, exec_lo, s22
	s_cbranch_execz .LBB70_22
; %bb.21:                               ;   in Loop: Header=BB70_8 Depth=1
	v_add_f32_e64 v1, |v94|, |v94|
	s_delay_alu instid0(VALU_DEP_1) | instskip(SKIP_1) | instid1(VALU_DEP_2)
	v_mul_f32_e32 v2, 0x3fb8aa3b, v1
	v_cmp_ngt_f32_e32 vcc_lo, 0xc2ce8ed0, v1
	v_rndne_f32_e32 v97, v2
	v_fma_f32 v100, 0x3fb8aa3b, v1, -v2
	s_delay_alu instid0(VALU_DEP_2) | instskip(NEXT) | instid1(VALU_DEP_2)
	v_sub_f32_e32 v2, v2, v97
	v_fmac_f32_e32 v100, 0x32a5705f, v1
	v_cvt_i32_f32_e32 v97, v97
	s_delay_alu instid0(VALU_DEP_2) | instskip(NEXT) | instid1(VALU_DEP_1)
	v_add_f32_e32 v2, v2, v100
	v_exp_f32_e32 v2, v2
	s_waitcnt_depctr 0xfff
	v_ldexp_f32 v2, v2, v97
	s_delay_alu instid0(VALU_DEP_1) | instskip(SKIP_1) | instid1(VALU_DEP_2)
	v_cndmask_b32_e32 v2, 0, v2, vcc_lo
	v_cmp_nlt_f32_e32 vcc_lo, 0x42b17218, v1
	v_cndmask_b32_e32 v1, 0x7f800000, v2, vcc_lo
	s_delay_alu instid0(VALU_DEP_1) | instskip(NEXT) | instid1(VALU_DEP_1)
	v_add_f32_e32 v1, 1.0, v1
	v_rcp_f32_e32 v1, v1
	s_waitcnt_depctr 0xfff
	v_fma_f32 v101, v1, -2.0, 1.0
.LBB70_22:                              ;   in Loop: Header=BB70_8 Depth=1
	s_and_not1_saveexec_b32 s21, s21
; %bb.23:                               ;   in Loop: Header=BB70_8 Depth=1
	v_mul_f32_e32 v1, v94, v94
	s_delay_alu instid0(VALU_DEP_1) | instskip(NEXT) | instid1(VALU_DEP_1)
	v_fmaak_f32 v2, s20, v1, 0x3ca908c9
	v_fmaak_f32 v2, v1, v2, 0xbd5c1c4e
	s_delay_alu instid0(VALU_DEP_1) | instskip(NEXT) | instid1(VALU_DEP_1)
	v_fmaak_f32 v2, v1, v2, 0x3e088382
	v_fmaak_f32 v2, v1, v2, 0xbeaaaa99
	s_delay_alu instid0(VALU_DEP_1) | instskip(NEXT) | instid1(VALU_DEP_1)
	v_mul_f32_e64 v2, |v94|, v2
	v_fma_f32 v101, v1, v2, |v94|
; %bb.24:                               ;   in Loop: Header=BB70_8 Depth=1
	s_or_b32 exec_lo, exec_lo, s21
	v_add_nc_u32_e32 v1, v103, v81
	s_and_not1_b32 vcc_lo, exec_lo, s8
	s_delay_alu instid0(VALU_DEP_1)
	v_ashrrev_i32_e32 v2, 31, v1
	s_cbranch_vccnz .LBB70_59
; %bb.25:                               ;   in Loop: Header=BB70_8 Depth=1
	s_delay_alu instid0(VALU_DEP_1) | instskip(NEXT) | instid1(VALU_DEP_1)
	v_lshlrev_b64 v[104:105], 1, v[1:2]
	v_add_co_u32 v104, vcc_lo, s40, v104
	s_delay_alu instid0(VALU_DEP_2) | instskip(SKIP_3) | instid1(VALU_DEP_1)
	v_add_co_ci_u32_e32 v105, vcc_lo, s41, v105, vcc_lo
	flat_load_u16 v97, v[104:105]
	s_waitcnt vmcnt(0) lgkmcnt(0)
	v_cvt_f32_f16_e32 v97, v97
	v_mul_f32_e32 v97, v48, v97
	v_cmp_ngt_f32_e64 s21, 0x3f200000, |v95|
                                        ; implicit-def: $vgpr102
	s_delay_alu instid0(VALU_DEP_1) | instskip(NEXT) | instid1(SALU_CYCLE_1)
	s_and_saveexec_b32 s22, s21
	s_xor_b32 s21, exec_lo, s22
	s_cbranch_execz .LBB70_27
.LBB70_26:                              ;   in Loop: Header=BB70_8 Depth=1
	v_add_f32_e64 v100, |v95|, |v95|
	s_delay_alu instid0(VALU_DEP_1) | instskip(SKIP_1) | instid1(VALU_DEP_2)
	v_mul_f32_e32 v102, 0x3fb8aa3b, v100
	v_cmp_ngt_f32_e32 vcc_lo, 0xc2ce8ed0, v100
	v_rndne_f32_e32 v104, v102
	v_fma_f32 v105, 0x3fb8aa3b, v100, -v102
	s_delay_alu instid0(VALU_DEP_2) | instskip(NEXT) | instid1(VALU_DEP_2)
	v_sub_f32_e32 v102, v102, v104
	v_fmac_f32_e32 v105, 0x32a5705f, v100
	v_cvt_i32_f32_e32 v104, v104
	s_delay_alu instid0(VALU_DEP_2) | instskip(NEXT) | instid1(VALU_DEP_1)
	v_add_f32_e32 v102, v102, v105
	v_exp_f32_e32 v102, v102
	s_waitcnt_depctr 0xfff
	v_ldexp_f32 v102, v102, v104
	s_delay_alu instid0(VALU_DEP_1) | instskip(SKIP_1) | instid1(VALU_DEP_2)
	v_cndmask_b32_e32 v102, 0, v102, vcc_lo
	v_cmp_nlt_f32_e32 vcc_lo, 0x42b17218, v100
	v_cndmask_b32_e32 v100, 0x7f800000, v102, vcc_lo
	s_delay_alu instid0(VALU_DEP_1) | instskip(NEXT) | instid1(VALU_DEP_1)
	v_add_f32_e32 v100, 1.0, v100
	v_rcp_f32_e32 v100, v100
	s_waitcnt_depctr 0xfff
	v_fma_f32 v102, v100, -2.0, 1.0
.LBB70_27:                              ;   in Loop: Header=BB70_8 Depth=1
	s_and_not1_saveexec_b32 s21, s21
	s_cbranch_execz .LBB70_30
; %bb.28:                               ;   in Loop: Header=BB70_8 Depth=1
	v_mul_f32_e32 v100, v95, v95
	s_delay_alu instid0(VALU_DEP_1) | instskip(NEXT) | instid1(VALU_DEP_1)
	v_fmaak_f32 v102, s20, v100, 0x3ca908c9
	v_fmaak_f32 v102, v100, v102, 0xbd5c1c4e
	s_delay_alu instid0(VALU_DEP_1) | instskip(NEXT) | instid1(VALU_DEP_1)
	v_fmaak_f32 v102, v100, v102, 0x3e088382
	v_fmaak_f32 v102, v100, v102, 0xbeaaaa99
	s_delay_alu instid0(VALU_DEP_1) | instskip(NEXT) | instid1(VALU_DEP_1)
	v_mul_f32_e64 v102, |v95|, v102
	v_fma_f32 v102, v100, v102, |v95|
	s_or_b32 exec_lo, exec_lo, s21
	s_delay_alu instid0(SALU_CYCLE_1)
	s_and_not1_b32 vcc_lo, exec_lo, s8
	s_cbranch_vccz .LBB70_31
.LBB70_29:                              ;   in Loop: Header=BB70_8 Depth=1
	v_mov_b32_e32 v100, 0
	s_branch .LBB70_32
.LBB70_30:                              ;   in Loop: Header=BB70_8 Depth=1
	s_or_b32 exec_lo, exec_lo, s21
	s_delay_alu instid0(SALU_CYCLE_1)
	s_and_not1_b32 vcc_lo, exec_lo, s8
	s_cbranch_vccnz .LBB70_29
.LBB70_31:                              ;   in Loop: Header=BB70_8 Depth=1
	v_lshlrev_b64 v[1:2], 1, v[1:2]
	s_delay_alu instid0(VALU_DEP_1) | instskip(NEXT) | instid1(VALU_DEP_2)
	v_add_co_u32 v1, vcc_lo, s9, v1
	v_add_co_ci_u32_e32 v2, vcc_lo, s19, v2, vcc_lo
	flat_load_u16 v1, v[1:2]
	s_waitcnt vmcnt(0) lgkmcnt(0)
	v_cvt_f32_f16_e32 v1, v1
	s_delay_alu instid0(VALU_DEP_1)
	v_mul_f32_e32 v100, v48, v1
.LBB70_32:                              ;   in Loop: Header=BB70_8 Depth=1
	v_bfi_b32 v1, 0x7fffffff, v101, v94
	v_bfi_b32 v2, 0x7fffffff, v102, v95
	v_cmp_ngt_f32_e64 s21, 0x3f200000, |v71|
                                        ; implicit-def: $vgpr104
	s_delay_alu instid0(VALU_DEP_2) | instskip(NEXT) | instid1(VALU_DEP_1)
	v_dual_fmac_f32 v97, s23, v1 :: v_dual_fmac_f32 v100, s23, v2
	v_dual_add_f32 v1, 0x40051340, v97 :: v_dual_add_f32 v2, 0x40051340, v100
	s_delay_alu instid0(VALU_DEP_1) | instskip(SKIP_3) | instid1(VALU_DEP_1)
	v_max3_f32 v1, v92, v1, v2
	ds_bpermute_b32 v2, v3, v1
	s_waitcnt lgkmcnt(0)
	v_max_f32_e32 v2, v2, v2
	v_max_f32_e32 v1, v1, v2
	ds_bpermute_b32 v2, v96, v1
	s_waitcnt lgkmcnt(0)
	v_max_f32_e32 v2, v2, v2
	s_delay_alu instid0(VALU_DEP_1) | instskip(SKIP_3) | instid1(VALU_DEP_1)
	v_max_f32_e32 v1, v1, v2
	ds_bpermute_b32 v2, v7, v1
	s_waitcnt lgkmcnt(0)
	v_max_f32_e32 v2, v2, v2
	v_max_f32_e32 v1, v1, v2
	ds_bpermute_b32 v2, v6, v1
	s_waitcnt lgkmcnt(0)
	v_max_f32_e32 v2, v2, v2
	s_delay_alu instid0(VALU_DEP_1) | instskip(SKIP_2) | instid1(SALU_CYCLE_1)
	v_max_f32_e32 v94, v1, v2
	ds_bpermute_b32 v101, v5, v94
	s_and_saveexec_b32 s22, s21
	s_xor_b32 s21, exec_lo, s22
	s_cbranch_execz .LBB70_34
; %bb.33:                               ;   in Loop: Header=BB70_8 Depth=1
	v_add_f32_e64 v1, |v71|, |v71|
	s_delay_alu instid0(VALU_DEP_1) | instskip(SKIP_1) | instid1(VALU_DEP_2)
	v_mul_f32_e32 v2, 0x3fb8aa3b, v1
	v_cmp_ngt_f32_e32 vcc_lo, 0xc2ce8ed0, v1
	v_rndne_f32_e32 v95, v2
	v_fma_f32 v102, 0x3fb8aa3b, v1, -v2
	s_delay_alu instid0(VALU_DEP_2) | instskip(NEXT) | instid1(VALU_DEP_2)
	v_sub_f32_e32 v2, v2, v95
	v_fmac_f32_e32 v102, 0x32a5705f, v1
	v_cvt_i32_f32_e32 v95, v95
	s_delay_alu instid0(VALU_DEP_2) | instskip(NEXT) | instid1(VALU_DEP_1)
	v_add_f32_e32 v2, v2, v102
	v_exp_f32_e32 v2, v2
	s_waitcnt_depctr 0xfff
	v_ldexp_f32 v2, v2, v95
	s_delay_alu instid0(VALU_DEP_1) | instskip(SKIP_1) | instid1(VALU_DEP_2)
	v_cndmask_b32_e32 v2, 0, v2, vcc_lo
	v_cmp_nlt_f32_e32 vcc_lo, 0x42b17218, v1
	v_cndmask_b32_e32 v1, 0x7f800000, v2, vcc_lo
	s_delay_alu instid0(VALU_DEP_1) | instskip(NEXT) | instid1(VALU_DEP_1)
	v_add_f32_e32 v1, 1.0, v1
	v_rcp_f32_e32 v1, v1
	s_waitcnt_depctr 0xfff
	v_fma_f32 v104, v1, -2.0, 1.0
.LBB70_34:                              ;   in Loop: Header=BB70_8 Depth=1
	s_and_not1_saveexec_b32 s21, s21
; %bb.35:                               ;   in Loop: Header=BB70_8 Depth=1
	v_mul_f32_e32 v1, v71, v71
	s_delay_alu instid0(VALU_DEP_1) | instskip(NEXT) | instid1(VALU_DEP_1)
	v_fmaak_f32 v2, s20, v1, 0x3ca908c9
	v_fmaak_f32 v2, v1, v2, 0xbd5c1c4e
	s_delay_alu instid0(VALU_DEP_1) | instskip(NEXT) | instid1(VALU_DEP_1)
	v_fmaak_f32 v2, v1, v2, 0x3e088382
	v_fmaak_f32 v2, v1, v2, 0xbeaaaa99
	s_delay_alu instid0(VALU_DEP_1) | instskip(NEXT) | instid1(VALU_DEP_1)
	v_mul_f32_e64 v2, |v71|, v2
	v_fma_f32 v104, v1, v2, |v71|
; %bb.36:                               ;   in Loop: Header=BB70_8 Depth=1
	s_or_b32 exec_lo, exec_lo, s21
	v_add_nc_u32_e32 v1, v103, v82
	s_and_not1_b32 vcc_lo, exec_lo, s8
	s_delay_alu instid0(VALU_DEP_1)
	v_ashrrev_i32_e32 v2, 31, v1
	s_cbranch_vccnz .LBB70_60
; %bb.37:                               ;   in Loop: Header=BB70_8 Depth=1
	s_delay_alu instid0(VALU_DEP_1) | instskip(NEXT) | instid1(VALU_DEP_1)
	v_lshlrev_b64 v[105:106], 1, v[1:2]
	v_add_co_u32 v105, vcc_lo, s40, v105
	s_delay_alu instid0(VALU_DEP_2) | instskip(SKIP_3) | instid1(VALU_DEP_1)
	v_add_co_ci_u32_e32 v106, vcc_lo, s41, v106, vcc_lo
	flat_load_u16 v95, v[105:106]
	s_waitcnt vmcnt(0) lgkmcnt(0)
	v_cvt_f32_f16_e32 v95, v95
	v_mul_f32_e32 v95, v48, v95
	v_cmp_ngt_f32_e64 s21, 0x3f200000, |v72|
                                        ; implicit-def: $vgpr105
	s_delay_alu instid0(VALU_DEP_1) | instskip(NEXT) | instid1(SALU_CYCLE_1)
	s_and_saveexec_b32 s22, s21
	s_xor_b32 s21, exec_lo, s22
	s_cbranch_execz .LBB70_39
.LBB70_38:                              ;   in Loop: Header=BB70_8 Depth=1
	v_add_f32_e64 v102, |v72|, |v72|
	s_delay_alu instid0(VALU_DEP_1) | instskip(SKIP_1) | instid1(VALU_DEP_2)
	v_mul_f32_e32 v105, 0x3fb8aa3b, v102
	v_cmp_ngt_f32_e32 vcc_lo, 0xc2ce8ed0, v102
	v_rndne_f32_e32 v106, v105
	v_fma_f32 v107, 0x3fb8aa3b, v102, -v105
	s_delay_alu instid0(VALU_DEP_2) | instskip(NEXT) | instid1(VALU_DEP_2)
	v_sub_f32_e32 v105, v105, v106
	v_fmac_f32_e32 v107, 0x32a5705f, v102
	v_cvt_i32_f32_e32 v106, v106
	s_delay_alu instid0(VALU_DEP_2) | instskip(NEXT) | instid1(VALU_DEP_1)
	v_add_f32_e32 v105, v105, v107
	v_exp_f32_e32 v105, v105
	s_waitcnt_depctr 0xfff
	v_ldexp_f32 v105, v105, v106
	s_delay_alu instid0(VALU_DEP_1) | instskip(SKIP_1) | instid1(VALU_DEP_2)
	v_cndmask_b32_e32 v105, 0, v105, vcc_lo
	v_cmp_nlt_f32_e32 vcc_lo, 0x42b17218, v102
	v_cndmask_b32_e32 v102, 0x7f800000, v105, vcc_lo
	s_delay_alu instid0(VALU_DEP_1) | instskip(NEXT) | instid1(VALU_DEP_1)
	v_add_f32_e32 v102, 1.0, v102
	v_rcp_f32_e32 v102, v102
	s_waitcnt_depctr 0xfff
	v_fma_f32 v105, v102, -2.0, 1.0
.LBB70_39:                              ;   in Loop: Header=BB70_8 Depth=1
	s_and_not1_saveexec_b32 s21, s21
	s_cbranch_execz .LBB70_42
; %bb.40:                               ;   in Loop: Header=BB70_8 Depth=1
	v_mul_f32_e32 v102, v72, v72
	s_delay_alu instid0(VALU_DEP_1) | instskip(NEXT) | instid1(VALU_DEP_1)
	v_fmaak_f32 v105, s20, v102, 0x3ca908c9
	v_fmaak_f32 v105, v102, v105, 0xbd5c1c4e
	s_delay_alu instid0(VALU_DEP_1) | instskip(NEXT) | instid1(VALU_DEP_1)
	v_fmaak_f32 v105, v102, v105, 0x3e088382
	v_fmaak_f32 v105, v102, v105, 0xbeaaaa99
	s_delay_alu instid0(VALU_DEP_1) | instskip(NEXT) | instid1(VALU_DEP_1)
	v_mul_f32_e64 v105, |v72|, v105
	v_fma_f32 v105, v102, v105, |v72|
	s_or_b32 exec_lo, exec_lo, s21
	s_delay_alu instid0(SALU_CYCLE_1)
	s_and_not1_b32 vcc_lo, exec_lo, s8
	s_cbranch_vccz .LBB70_43
.LBB70_41:                              ;   in Loop: Header=BB70_8 Depth=1
	v_mov_b32_e32 v102, 0
	s_branch .LBB70_44
.LBB70_42:                              ;   in Loop: Header=BB70_8 Depth=1
	s_or_b32 exec_lo, exec_lo, s21
	s_delay_alu instid0(SALU_CYCLE_1)
	s_and_not1_b32 vcc_lo, exec_lo, s8
	s_cbranch_vccnz .LBB70_41
.LBB70_43:                              ;   in Loop: Header=BB70_8 Depth=1
	v_lshlrev_b64 v[1:2], 1, v[1:2]
	s_delay_alu instid0(VALU_DEP_1) | instskip(NEXT) | instid1(VALU_DEP_2)
	v_add_co_u32 v1, vcc_lo, s9, v1
	v_add_co_ci_u32_e32 v2, vcc_lo, s19, v2, vcc_lo
	flat_load_u16 v1, v[1:2]
	s_waitcnt vmcnt(0) lgkmcnt(0)
	v_cvt_f32_f16_e32 v1, v1
	s_delay_alu instid0(VALU_DEP_1)
	v_mul_f32_e32 v102, v48, v1
.LBB70_44:                              ;   in Loop: Header=BB70_8 Depth=1
	v_bfi_b32 v1, 0x7fffffff, v104, v71
	v_bfi_b32 v2, 0x7fffffff, v105, v72
	v_cmp_ngt_f32_e64 s21, 0x3f200000, |v69|
                                        ; implicit-def: $vgpr105
	s_delay_alu instid0(VALU_DEP_2) | instskip(NEXT) | instid1(VALU_DEP_1)
	v_dual_fmac_f32 v95, s23, v1 :: v_dual_fmac_f32 v102, s23, v2
	v_dual_add_f32 v1, 0x40051340, v95 :: v_dual_add_f32 v2, 0x40051340, v102
	s_delay_alu instid0(VALU_DEP_1) | instskip(SKIP_3) | instid1(VALU_DEP_1)
	v_max3_f32 v1, v93, v1, v2
	ds_bpermute_b32 v2, v3, v1
	s_waitcnt lgkmcnt(0)
	v_max_f32_e32 v2, v2, v2
	v_max_f32_e32 v1, v1, v2
	ds_bpermute_b32 v2, v96, v1
	s_waitcnt lgkmcnt(0)
	v_max_f32_e32 v2, v2, v2
	s_delay_alu instid0(VALU_DEP_1) | instskip(SKIP_3) | instid1(VALU_DEP_1)
	v_max_f32_e32 v1, v1, v2
	ds_bpermute_b32 v2, v7, v1
	s_waitcnt lgkmcnt(0)
	v_max_f32_e32 v2, v2, v2
	v_max_f32_e32 v1, v1, v2
	ds_bpermute_b32 v2, v6, v1
	s_waitcnt lgkmcnt(0)
	v_max_f32_e32 v2, v2, v2
	s_delay_alu instid0(VALU_DEP_1) | instskip(SKIP_2) | instid1(SALU_CYCLE_1)
	v_max_f32_e32 v71, v1, v2
	ds_bpermute_b32 v104, v5, v71
	s_and_saveexec_b32 s22, s21
	s_xor_b32 s21, exec_lo, s22
	s_cbranch_execz .LBB70_46
; %bb.45:                               ;   in Loop: Header=BB70_8 Depth=1
	v_add_f32_e64 v1, |v69|, |v69|
	s_delay_alu instid0(VALU_DEP_1) | instskip(SKIP_1) | instid1(VALU_DEP_2)
	v_mul_f32_e32 v2, 0x3fb8aa3b, v1
	v_cmp_ngt_f32_e32 vcc_lo, 0xc2ce8ed0, v1
	v_rndne_f32_e32 v72, v2
	v_fma_f32 v105, 0x3fb8aa3b, v1, -v2
	s_delay_alu instid0(VALU_DEP_1) | instskip(SKIP_1) | instid1(VALU_DEP_2)
	v_dual_sub_f32 v2, v2, v72 :: v_dual_fmac_f32 v105, 0x32a5705f, v1
	v_cvt_i32_f32_e32 v72, v72
	v_add_f32_e32 v2, v2, v105
	s_delay_alu instid0(VALU_DEP_1) | instskip(SKIP_2) | instid1(VALU_DEP_1)
	v_exp_f32_e32 v2, v2
	s_waitcnt_depctr 0xfff
	v_ldexp_f32 v2, v2, v72
	v_cndmask_b32_e32 v2, 0, v2, vcc_lo
	v_cmp_nlt_f32_e32 vcc_lo, 0x42b17218, v1
	s_delay_alu instid0(VALU_DEP_2) | instskip(NEXT) | instid1(VALU_DEP_1)
	v_cndmask_b32_e32 v1, 0x7f800000, v2, vcc_lo
	v_add_f32_e32 v1, 1.0, v1
	s_delay_alu instid0(VALU_DEP_1)
	v_rcp_f32_e32 v1, v1
	s_waitcnt_depctr 0xfff
	v_fma_f32 v105, v1, -2.0, 1.0
.LBB70_46:                              ;   in Loop: Header=BB70_8 Depth=1
	s_and_not1_saveexec_b32 s21, s21
; %bb.47:                               ;   in Loop: Header=BB70_8 Depth=1
	v_mul_f32_e32 v1, v69, v69
	s_delay_alu instid0(VALU_DEP_1) | instskip(NEXT) | instid1(VALU_DEP_1)
	v_fmaak_f32 v2, s20, v1, 0x3ca908c9
	v_fmaak_f32 v2, v1, v2, 0xbd5c1c4e
	s_delay_alu instid0(VALU_DEP_1) | instskip(NEXT) | instid1(VALU_DEP_1)
	v_fmaak_f32 v2, v1, v2, 0x3e088382
	v_fmaak_f32 v2, v1, v2, 0xbeaaaa99
	s_delay_alu instid0(VALU_DEP_1) | instskip(NEXT) | instid1(VALU_DEP_1)
	v_mul_f32_e64 v2, |v69|, v2
	v_fma_f32 v105, v1, v2, |v69|
; %bb.48:                               ;   in Loop: Header=BB70_8 Depth=1
	s_or_b32 exec_lo, exec_lo, s21
	v_add_nc_u32_e32 v1, v103, v83
	s_and_not1_b32 vcc_lo, exec_lo, s8
	s_delay_alu instid0(VALU_DEP_1)
	v_ashrrev_i32_e32 v2, 31, v1
	s_cbranch_vccnz .LBB70_61
; %bb.49:                               ;   in Loop: Header=BB70_8 Depth=1
	s_delay_alu instid0(VALU_DEP_1) | instskip(NEXT) | instid1(VALU_DEP_1)
	v_lshlrev_b64 v[106:107], 1, v[1:2]
	v_add_co_u32 v106, vcc_lo, s40, v106
	s_delay_alu instid0(VALU_DEP_2) | instskip(SKIP_3) | instid1(VALU_DEP_1)
	v_add_co_ci_u32_e32 v107, vcc_lo, s41, v107, vcc_lo
	flat_load_u16 v72, v[106:107]
	s_waitcnt vmcnt(0) lgkmcnt(0)
	v_cvt_f32_f16_e32 v72, v72
	v_mul_f32_e32 v72, v48, v72
	v_cmp_ngt_f32_e64 s21, 0x3f200000, |v70|
                                        ; implicit-def: $vgpr106
	s_delay_alu instid0(VALU_DEP_1) | instskip(NEXT) | instid1(SALU_CYCLE_1)
	s_and_saveexec_b32 s22, s21
	s_xor_b32 s21, exec_lo, s22
	s_cbranch_execz .LBB70_51
.LBB70_50:                              ;   in Loop: Header=BB70_8 Depth=1
	v_add_f32_e64 v103, |v70|, |v70|
	s_delay_alu instid0(VALU_DEP_1) | instskip(SKIP_1) | instid1(VALU_DEP_2)
	v_mul_f32_e32 v106, 0x3fb8aa3b, v103
	v_cmp_ngt_f32_e32 vcc_lo, 0xc2ce8ed0, v103
	v_rndne_f32_e32 v107, v106
	v_fma_f32 v108, 0x3fb8aa3b, v103, -v106
	s_delay_alu instid0(VALU_DEP_2) | instskip(NEXT) | instid1(VALU_DEP_2)
	v_sub_f32_e32 v106, v106, v107
	v_fmac_f32_e32 v108, 0x32a5705f, v103
	v_cvt_i32_f32_e32 v107, v107
	s_delay_alu instid0(VALU_DEP_2) | instskip(NEXT) | instid1(VALU_DEP_1)
	v_add_f32_e32 v106, v106, v108
	v_exp_f32_e32 v106, v106
	s_waitcnt_depctr 0xfff
	v_ldexp_f32 v106, v106, v107
	s_delay_alu instid0(VALU_DEP_1) | instskip(SKIP_1) | instid1(VALU_DEP_2)
	v_cndmask_b32_e32 v106, 0, v106, vcc_lo
	v_cmp_nlt_f32_e32 vcc_lo, 0x42b17218, v103
	v_cndmask_b32_e32 v103, 0x7f800000, v106, vcc_lo
	s_delay_alu instid0(VALU_DEP_1) | instskip(NEXT) | instid1(VALU_DEP_1)
	v_add_f32_e32 v103, 1.0, v103
	v_rcp_f32_e32 v103, v103
	s_waitcnt_depctr 0xfff
	v_fma_f32 v106, v103, -2.0, 1.0
.LBB70_51:                              ;   in Loop: Header=BB70_8 Depth=1
	s_and_not1_saveexec_b32 s21, s21
	s_cbranch_execz .LBB70_54
; %bb.52:                               ;   in Loop: Header=BB70_8 Depth=1
	v_mul_f32_e32 v103, v70, v70
	s_delay_alu instid0(VALU_DEP_1) | instskip(NEXT) | instid1(VALU_DEP_1)
	v_fmaak_f32 v106, s20, v103, 0x3ca908c9
	v_fmaak_f32 v106, v103, v106, 0xbd5c1c4e
	s_delay_alu instid0(VALU_DEP_1) | instskip(NEXT) | instid1(VALU_DEP_1)
	v_fmaak_f32 v106, v103, v106, 0x3e088382
	v_fmaak_f32 v106, v103, v106, 0xbeaaaa99
	s_delay_alu instid0(VALU_DEP_1) | instskip(NEXT) | instid1(VALU_DEP_1)
	v_mul_f32_e64 v106, |v70|, v106
	v_fma_f32 v106, v103, v106, |v70|
	s_or_b32 exec_lo, exec_lo, s21
	s_delay_alu instid0(SALU_CYCLE_1)
	s_and_not1_b32 vcc_lo, exec_lo, s8
	s_cbranch_vccz .LBB70_55
.LBB70_53:                              ;   in Loop: Header=BB70_8 Depth=1
	v_mov_b32_e32 v103, 0
	s_branch .LBB70_56
.LBB70_54:                              ;   in Loop: Header=BB70_8 Depth=1
	s_or_b32 exec_lo, exec_lo, s21
	s_delay_alu instid0(SALU_CYCLE_1)
	s_and_not1_b32 vcc_lo, exec_lo, s8
	s_cbranch_vccnz .LBB70_53
.LBB70_55:                              ;   in Loop: Header=BB70_8 Depth=1
	v_lshlrev_b64 v[1:2], 1, v[1:2]
	s_delay_alu instid0(VALU_DEP_1) | instskip(NEXT) | instid1(VALU_DEP_2)
	v_add_co_u32 v1, vcc_lo, s9, v1
	v_add_co_ci_u32_e32 v2, vcc_lo, s19, v2, vcc_lo
	flat_load_u16 v1, v[1:2]
	s_waitcnt vmcnt(0) lgkmcnt(0)
	v_cvt_f32_f16_e32 v1, v1
	s_delay_alu instid0(VALU_DEP_1)
	v_mul_f32_e32 v103, v48, v1
.LBB70_56:                              ;   in Loop: Header=BB70_8 Depth=1
	s_mul_hi_i32 s27, s12, s13
	s_mul_i32 s26, s12, s13
	s_waitcnt lgkmcnt(0)
	s_lshl_b64 s[26:27], s[26:27], 2
	s_barrier
	s_add_u32 s21, s15, s26
	s_addc_u32 s22, s16, s27
	v_add_co_u32 v1, vcc_lo, s21, v23
	v_add_co_ci_u32_e32 v2, vcc_lo, s22, v24, vcc_lo
	v_add_co_u32 v107, vcc_lo, s21, v25
	v_add_co_ci_u32_e32 v108, vcc_lo, s22, v26, vcc_lo
	s_delay_alu instid0(VALU_DEP_4) | instskip(NEXT) | instid1(VALU_DEP_4)
	v_add_co_u32 v1, vcc_lo, v1, v45
	v_add_co_ci_u32_e32 v2, vcc_lo, 0, v2, vcc_lo
	s_delay_alu instid0(VALU_DEP_4) | instskip(NEXT) | instid1(VALU_DEP_4)
	v_add_co_u32 v111, vcc_lo, v107, v45
	v_add_co_ci_u32_e32 v112, vcc_lo, 0, v108, vcc_lo
	v_add_co_u32 v107, vcc_lo, s21, v27
	v_add_co_ci_u32_e32 v108, vcc_lo, s22, v28, vcc_lo
	;; [unrolled: 2-line block ×3, first 2 shown]
	s_delay_alu instid0(VALU_DEP_4) | instskip(NEXT) | instid1(VALU_DEP_4)
	v_add_co_u32 v115, vcc_lo, v107, v45
	v_add_co_ci_u32_e32 v116, vcc_lo, 0, v108, vcc_lo
	s_delay_alu instid0(VALU_DEP_4) | instskip(NEXT) | instid1(VALU_DEP_4)
	v_add_co_u32 v119, vcc_lo, v109, v45
	v_add_co_ci_u32_e32 v120, vcc_lo, 0, v110, vcc_lo
	buffer_gl0_inv
	s_clause 0x3
	global_load_b128 v[107:110], v[1:2], off
	global_load_b128 v[111:114], v[111:112], off
	;; [unrolled: 1-line block ×4, first 2 shown]
	v_bfi_b32 v1, 0x7fffffff, v105, v69
	v_bfi_b32 v2, 0x7fffffff, v106, v70
	v_dual_max_f32 v69, v101, v101 :: v_dual_max_f32 v70, v99, v99
	v_dual_max_f32 v98, v98, v98 :: v_dual_max_f32 v101, v104, v104
	s_delay_alu instid0(VALU_DEP_3) | instskip(SKIP_2) | instid1(VALU_DEP_2)
	v_dual_fmac_f32 v72, s23, v1 :: v_dual_fmac_f32 v103, s23, v2
	v_max_f32_e32 v71, v71, v71
	s_or_b32 s21, s12, 32
	v_dual_add_f32 v1, 0x40051340, v72 :: v_dual_add_f32 v2, 0x40051340, v103
	s_mul_hi_i32 s27, s21, s13
	s_mul_i32 s26, s21, s13
	s_delay_alu instid0(SALU_CYCLE_1) | instskip(NEXT) | instid1(VALU_DEP_1)
	s_lshl_b64 s[26:27], s[26:27], 2
	v_max3_f32 v99, v90, v1, v2
	v_dual_max_f32 v1, v98, v70 :: v_dual_add_nc_u32 v98, v47, v44
	v_max_f32_e32 v2, v94, v94
	v_add_nc_u32_e32 v94, 0x800, v44
	ds_bpermute_b32 v70, v3, v99
	v_max_f32_e32 v3, v71, v101
	v_sub_f32_e32 v4, v4, v1
	v_max_f32_e32 v2, v2, v69
	s_add_u32 s21, s15, s26
	s_addc_u32 s22, s16, s27
	v_dual_sub_f32 v93, v93, v3 :: v_dual_sub_f32 v8, v8, v1
	s_delay_alu instid0(VALU_DEP_2) | instskip(SKIP_4) | instid1(VALU_DEP_4)
	v_sub_f32_e32 v71, v97, v2
	v_sub_f32_e32 v69, v91, v1
	;; [unrolled: 1-line block ×4, first 2 shown]
	v_dual_mul_f32 v100, 0x3fb8aa3b, v8 :: v_dual_sub_f32 v97, v102, v3
	v_dual_mul_f32 v101, 0x3fb8aa3b, v71 :: v_dual_mul_f32 v104, 0x3fb8aa3b, v69
	s_delay_alu instid0(VALU_DEP_3) | instskip(NEXT) | instid1(VALU_DEP_3)
	v_dual_mul_f32 v105, 0x3fb8aa3b, v92 :: v_dual_mul_f32 v106, 0x3fb8aa3b, v91
	v_mul_f32_e32 v123, 0x3fb8aa3b, v97
	s_delay_alu instid0(VALU_DEP_3)
	v_fma_f32 v127, 0x3fb8aa3b, v71, -v101
	s_waitcnt lgkmcnt(0)
	v_max_f32_e32 v70, v70, v70
	v_fma_f32 v126, 0x3fb8aa3b, v8, -v100
	v_rndne_f32_e32 v128, v101
	v_fma_f32 v131, 0x3fb8aa3b, v69, -v104
	s_delay_alu instid0(VALU_DEP_4) | instskip(SKIP_2) | instid1(VALU_DEP_4)
	v_dual_fmac_f32 v127, 0x32a5705f, v71 :: v_dual_max_f32 v70, v99, v70
	v_rndne_f32_e32 v99, v100
	v_fma_f32 v133, 0x3fb8aa3b, v92, -v105
	v_dual_fmac_f32 v126, 0x32a5705f, v8 :: v_dual_fmac_f32 v131, 0x32a5705f, v69
	ds_bpermute_b32 v96, v96, v70
	v_dual_sub_f32 v100, v100, v99 :: v_dual_sub_f32 v101, v101, v128
	v_fmac_f32_e32 v133, 0x32a5705f, v92
	v_rndne_f32_e32 v134, v105
	v_cvt_i32_f32_e32 v99, v99
	s_delay_alu instid0(VALU_DEP_4) | instskip(SKIP_3) | instid1(VALU_DEP_4)
	v_dual_add_f32 v100, v100, v126 :: v_dual_sub_f32 v95, v95, v3
	v_mul_f32_e32 v102, 0x3fb8aa3b, v4
	v_fma_f32 v135, 0x3fb8aa3b, v91, -v106
	v_sub_f32_e32 v105, v105, v134
	v_exp_f32_e32 v100, v100
	v_cmp_ngt_f32_e32 vcc_lo, 0xc2ce8ed0, v8
	v_dual_mul_f32 v124, 0x3fb8aa3b, v95 :: v_dual_mul_f32 v125, 0x3fb8aa3b, v93
	v_rndne_f32_e32 v132, v104
	v_fmac_f32_e32 v135, 0x32a5705f, v91
	v_fma_f32 v137, 0x3fb8aa3b, v97, -v123
	v_fma_f32 v129, 0x3fb8aa3b, v4, -v102
	;; [unrolled: 1-line block ×3, first 2 shown]
	s_waitcnt lgkmcnt(0)
	v_max_f32_e32 v96, v96, v96
	v_ldexp_f32 v99, v100, v99
	v_rndne_f32_e32 v130, v102
	v_cvt_i32_f32_e32 v128, v128
	s_delay_alu instid0(VALU_DEP_4) | instskip(NEXT) | instid1(VALU_DEP_4)
	v_dual_fmac_f32 v137, 0x32a5705f, v97 :: v_dual_max_f32 v70, v70, v96
	v_cndmask_b32_e32 v99, 0, v99, vcc_lo
	v_cmp_ngt_f32_e32 vcc_lo, 0xc2ce8ed0, v71
	v_dual_add_f32 v101, v101, v127 :: v_dual_sub_f32 v96, v104, v132
	ds_bpermute_b32 v7, v7, v70
	v_fmac_f32_e32 v141, 0x32a5705f, v93
	v_rndne_f32_e32 v142, v125
	v_exp_f32_e32 v101, v101
	v_dual_add_f32 v96, v96, v131 :: v_dual_fmac_f32 v129, 0x32a5705f, v4
	v_sub_f32_e32 v102, v102, v130
	v_cvt_i32_f32_e32 v104, v132
	v_sub_f32_e32 v125, v125, v142
	s_delay_alu instid0(VALU_DEP_4) | instskip(SKIP_3) | instid1(TRANS32_DEP_2)
	v_exp_f32_e32 v96, v96
	v_cvt_i32_f32_e32 v130, v130
	v_add_f32_e32 v102, v102, v129
	v_rndne_f32_e32 v136, v106
	v_ldexp_f32 v100, v101, v128
	v_rndne_f32_e32 v138, v123
	v_fma_f32 v139, 0x3fb8aa3b, v95, -v124
	v_rndne_f32_e32 v140, v124
	v_sub_f32_e32 v106, v106, v136
	s_delay_alu instid0(VALU_DEP_4)
	v_dual_cndmask_b32 v100, 0, v100 :: v_dual_sub_f32 v123, v123, v138
	v_cmp_ngt_f32_e32 vcc_lo, 0xc2ce8ed0, v4
	s_waitcnt lgkmcnt(0)
	v_max_f32_e32 v7, v7, v7
	v_ldexp_f32 v96, v96, v104
	v_dual_add_f32 v105, v105, v133 :: v_dual_add_f32 v106, v106, v135
	v_dual_fmac_f32 v139, 0x32a5705f, v95 :: v_dual_sub_f32 v124, v124, v140
	s_delay_alu instid0(VALU_DEP_4)
	v_max_f32_e32 v7, v70, v7
	v_exp_f32_e32 v70, v102
	v_add_f32_e32 v123, v123, v137
	v_exp_f32_e32 v102, v105
	v_add_f32_e32 v124, v124, v139
	v_cvt_i32_f32_e32 v132, v134
	v_exp_f32_e32 v105, v106
	v_exp_f32_e32 v106, v123
	v_cvt_i32_f32_e32 v134, v136
	v_cvt_i32_f32_e32 v136, v138
	v_exp_f32_e32 v123, v124
	v_ldexp_f32 v70, v70, v130
	v_cvt_i32_f32_e32 v138, v140
	v_ldexp_f32 v101, v102, v132
	s_delay_alu instid0(VALU_DEP_3) | instskip(SKIP_3) | instid1(TRANS32_DEP_1)
	v_cndmask_b32_e32 v70, 0, v70, vcc_lo
	v_cmp_ngt_f32_e32 vcc_lo, 0xc2ce8ed0, v69
	v_ldexp_f32 v102, v105, v134
	v_ldexp_f32 v104, v106, v136
	;; [unrolled: 1-line block ×3, first 2 shown]
	v_cndmask_b32_e32 v96, 0, v96, vcc_lo
	ds_bpermute_b32 v6, v6, v7
	v_cmp_ngt_f32_e32 vcc_lo, 0xc2ce8ed0, v92
	v_add_f32_e32 v125, v125, v141
	v_cndmask_b32_e32 v101, 0, v101, vcc_lo
	v_cmp_ngt_f32_e32 vcc_lo, 0xc2ce8ed0, v91
	s_waitcnt lgkmcnt(0)
	v_max_f32_e32 v6, v6, v6
	v_exp_f32_e32 v124, v125
	v_cvt_i32_f32_e32 v125, v142
	s_delay_alu instid0(VALU_DEP_2)
	v_max_f32_e32 v6, v7, v6
	v_cndmask_b32_e32 v7, 0, v102, vcc_lo
	v_cmp_ngt_f32_e32 vcc_lo, 0xc2ce8ed0, v97
	ds_bpermute_b32 v5, v5, v6
	v_ldexp_f32 v106, v124, v125
	v_cndmask_b32_e32 v102, 0, v104, vcc_lo
	v_cmp_ngt_f32_e32 vcc_lo, 0xc2ce8ed0, v95
	v_cndmask_b32_e32 v104, 0, v105, vcc_lo
	v_cmp_ngt_f32_e32 vcc_lo, 0xc2ce8ed0, v93
	v_cndmask_b32_e32 v105, 0, v106, vcc_lo
	v_cmp_nlt_f32_e32 vcc_lo, 0x42b17218, v8
	v_cndmask_b32_e32 v8, 0x7f800000, v99, vcc_lo
	v_cmp_nlt_f32_e32 vcc_lo, 0x42b17218, v71
	;; [unrolled: 2-line block ×3, first 2 shown]
	s_waitcnt lgkmcnt(0)
	v_max_f32_e32 v4, v5, v5
	v_cndmask_b32_e32 v70, 0x7f800000, v70, vcc_lo
	v_cmp_nlt_f32_e32 vcc_lo, 0x42b17218, v69
	s_delay_alu instid0(VALU_DEP_3) | instskip(NEXT) | instid1(VALU_DEP_3)
	v_max_f32_e32 v4, v6, v4
	v_cvt_f16_f32_e32 v6, v70
	v_cndmask_b32_e32 v96, 0x7f800000, v96, vcc_lo
	v_cmp_nlt_f32_e32 vcc_lo, 0x42b17218, v92
	s_delay_alu instid0(VALU_DEP_4)
	v_sub_f32_e32 v72, v72, v4
	v_dual_sub_f32 v90, v90, v4 :: v_dual_cndmask_b32 v69, 0x7f800000, v101
	v_cmp_nlt_f32_e32 vcc_lo, 0x42b17218, v91
	v_cndmask_b32_e32 v7, 0x7f800000, v7, vcc_lo
	v_cmp_nlt_f32_e32 vcc_lo, 0x42b17218, v97
	v_sub_f32_e32 v97, v103, v4
	v_dual_add_f32 v71, v70, v8 :: v_dual_add_f32 v70, v99, v69
	s_delay_alu instid0(VALU_DEP_4) | instskip(SKIP_1) | instid1(VALU_DEP_4)
	v_cvt_f16_f32_e32 v124, v7
	v_cndmask_b32_e32 v91, 0x7f800000, v102, vcc_lo
	v_mul_f32_e32 v100, 0x3fb8aa3b, v97
	v_cmp_nlt_f32_e32 vcc_lo, 0x42b17218, v95
	v_fmac_f32_e32 v70, v11, v7
	v_cvt_f16_f32_e32 v5, v99
	v_mul_f32_e32 v99, 0x3fb8aa3b, v72
	v_fma_f32 v103, 0x3fb8aa3b, v97, -v100
	v_cvt_f16_f32_e32 v8, v8
	v_cvt_f16_f32_e32 v95, v69
	v_pack_b32_f16 v5, v6, v5
	v_fma_f32 v101, 0x3fb8aa3b, v72, -v99
	v_fmac_f32_e32 v103, 0x32a5705f, v97
	v_cndmask_b32_e32 v92, 0x7f800000, v104, vcc_lo
	v_cmp_nlt_f32_e32 vcc_lo, 0x42b17218, v93
	v_rndne_f32_e32 v102, v99
	v_rndne_f32_e32 v104, v100
	v_pk_mul_f16 v60, v124, v60 op_sel_hi:[0,1]
	v_pk_mul_f16 v58, v124, v58 op_sel_hi:[0,1]
	v_cndmask_b32_e32 v93, 0x7f800000, v105, vcc_lo
	s_delay_alu instid0(VALU_DEP_4) | instskip(SKIP_3) | instid1(VALU_DEP_4)
	v_dual_mul_f32 v105, 0x3fb8aa3b, v90 :: v_dual_sub_f32 v100, v100, v104
	v_sub_f32_e32 v99, v99, v102
	v_cvt_f16_f32_e32 v123, v96
	v_fmac_f32_e32 v71, v12, v96
	v_fma_f32 v96, 0x3fb8aa3b, v90, -v105
	v_fmac_f32_e32 v101, 0x32a5705f, v72
	v_cvt_i32_f32_e32 v102, v102
	v_cmp_ngt_f32_e32 vcc_lo, 0xc2ce8ed0, v72
	v_cvt_f16_f32_e32 v125, v93
	v_fmac_f32_e32 v96, 0x32a5705f, v90
	v_dual_add_f32 v12, v99, v101 :: v_dual_add_f32 v99, v100, v103
	v_cvt_i32_f32_e32 v103, v104
	v_rndne_f32_e32 v100, v105
	v_add_f32_e32 v69, v92, v91
	s_delay_alu instid0(VALU_DEP_4)
	v_exp_f32_e32 v12, v12
	v_exp_f32_e32 v99, v99
	v_cvt_f16_f32_e32 v91, v91
	v_cvt_f16_f32_e32 v92, v92
	v_pk_mul_f16 v64, v123, v64 op_sel_hi:[0,1]
	v_pk_mul_f16 v62, v123, v62 op_sel_hi:[0,1]
	;; [unrolled: 1-line block ×6, first 2 shown]
	v_ldexp_f32 v7, v12, v102
	v_ldexp_f32 v11, v99, v103
	v_pk_mul_f16 v55, v125, v55 op_sel_hi:[0,1]
	s_delay_alu instid0(VALU_DEP_3) | instskip(SKIP_1) | instid1(VALU_DEP_4)
	v_cndmask_b32_e32 v7, 0, v7, vcc_lo
	v_cmp_ngt_f32_e32 vcc_lo, 0xc2ce8ed0, v97
	v_cndmask_b32_e32 v11, 0, v11, vcc_lo
	v_cmp_nlt_f32_e32 vcc_lo, 0x42b17218, v72
	s_delay_alu instid0(VALU_DEP_4) | instskip(NEXT) | instid1(VALU_DEP_1)
	v_dual_sub_f32 v101, v105, v100 :: v_dual_cndmask_b32 v72, 0x7f800000, v7
	v_add_f32_e32 v96, v101, v96
	v_cmp_nlt_f32_e32 vcc_lo, 0x42b17218, v97
	v_pack_b32_f16 v7, v8, v95
	s_delay_alu instid0(VALU_DEP_3)
	v_exp_f32_e32 v12, v96
	v_cvt_i32_f32_e32 v96, v100
	v_cndmask_b32_e32 v11, 0x7f800000, v11, vcc_lo
	v_cmp_ngt_f32_e32 vcc_lo, 0xc2ce8ed0, v90
	s_waitcnt_depctr 0xfff
	v_ldexp_f32 v6, v12, v96
	v_cvt_f16_f32_e32 v12, v72
	v_cvt_f16_f32_e32 v96, v11
	s_delay_alu instid0(VALU_DEP_3) | instskip(NEXT) | instid1(VALU_DEP_3)
	v_dual_add_f32 v72, v72, v11 :: v_dual_cndmask_b32 v95, 0, v6
	v_pack_b32_f16 v6, v92, v12
	s_delay_alu instid0(VALU_DEP_3)
	v_pack_b32_f16 v8, v91, v96
	v_cmp_nlt_f32_e32 vcc_lo, 0x42b17218, v90
	v_fmac_f32_e32 v69, v10, v93
	ds_store_2addr_b64 v98, v[5:6], v[7:8] offset1:32
	s_waitcnt vmcnt(3)
	ds_store_b128 v84, v[107:110]
	s_waitcnt vmcnt(2)
	ds_store_b128 v85, v[111:114]
	;; [unrolled: 2-line block ×4, first 2 shown]
	v_cndmask_b32_e32 v10, 0x7f800000, v95, vcc_lo
	s_waitcnt lgkmcnt(0)
	s_barrier
	buffer_gl0_inv
	ds_load_2addr_b64 v[5:8], v44 offset1:32
	ds_load_b128 v[90:93], v47
	v_cvt_f16_f32_e32 v11, v10
	v_fmac_f32_e32 v72, v9, v10
	s_delay_alu instid0(VALU_DEP_2)
	v_pk_mul_f16 v126, v11, v51 op_sel_hi:[0,1]
	v_pk_mul_f16 v127, v11, v52 op_sel_hi:[0,1]
	;; [unrolled: 1-line block ×4, first 2 shown]
	ds_load_b128 v[9:12], v47 offset:16
	ds_load_b128 v[49:52], v47 offset:32
	;; [unrolled: 1-line block ×3, first 2 shown]
	ds_load_2addr_b64 v[99:102], v44 offset0:64 offset1:96
	ds_load_2addr_b64 v[103:106], v44 offset0:128 offset1:160
	;; [unrolled: 1-line block ×3, first 2 shown]
	ds_load_2addr_b64 v[111:114], v94 offset1:32
	ds_load_2addr_b64 v[115:118], v94 offset0:64 offset1:96
	ds_load_2addr_b64 v[119:122], v94 offset0:128 offset1:160
	s_waitcnt lgkmcnt(9)
	v_pk_mul_f16 v130, v5, v90 op_sel_hi:[1,0]
	v_pk_mul_f16 v131, v5, v90 op_sel:[0,1]
	v_pk_mul_f16 v132, v5, v91 op_sel_hi:[1,0]
	v_pk_fma_f16 v5, v5, v91, v126 op_sel:[0,1,0]
	v_pk_fma_f16 v64, v6, v90, v64 op_sel_hi:[1,0,1]
	v_pk_fma_f16 v60, v6, v90, v60 op_sel:[0,1,0]
	v_pk_fma_f16 v56, v6, v91, v56 op_sel_hi:[1,0,1]
	v_pk_fma_f16 v6, v6, v91, v127 op_sel:[0,1,0]
	v_pk_fma_f16 v62, v7, v90, v62 op_sel_hi:[1,0,1]
	v_pk_fma_f16 v58, v7, v90, v58 op_sel:[0,1,0]
	v_pk_fma_f16 v54, v7, v91, v54 op_sel_hi:[1,0,1]
	v_pk_fma_f16 v7, v7, v91, v128 op_sel:[0,1,0]
	v_pk_fma_f16 v63, v8, v90, v63 op_sel_hi:[1,0,1]
	v_pk_fma_f16 v59, v8, v90, v59 op_sel:[0,1,0]
	v_pk_fma_f16 v55, v8, v91, v55 op_sel_hi:[1,0,1]
	v_pk_fma_f16 v8, v8, v91, v129 op_sel:[0,1,0]
	v_pk_fma_f16 v57, v123, v57, v130 op_sel_hi:[0,1,1]
	v_pk_fma_f16 v53, v124, v53, v131 op_sel_hi:[0,1,1]
	v_pk_fma_f16 v46, v125, v46, v132 op_sel_hi:[0,1,1]
	s_waitcnt lgkmcnt(5)
	v_pk_fma_f16 v5, v99, v93, v5 op_sel:[0,1,0]
	v_pk_fma_f16 v64, v100, v92, v64 op_sel_hi:[1,0,1]
	v_pk_fma_f16 v60, v100, v92, v60 op_sel:[0,1,0]
	v_pk_fma_f16 v56, v100, v93, v56 op_sel_hi:[1,0,1]
	v_pk_fma_f16 v6, v100, v93, v6 op_sel:[0,1,0]
	v_pk_fma_f16 v62, v101, v92, v62 op_sel_hi:[1,0,1]
	v_pk_fma_f16 v58, v101, v92, v58 op_sel:[0,1,0]
	v_pk_fma_f16 v7, v101, v93, v7 op_sel:[0,1,0]
	v_pk_fma_f16 v63, v102, v92, v63 op_sel_hi:[1,0,1]
	v_pk_fma_f16 v59, v102, v92, v59 op_sel:[0,1,0]
	v_pk_fma_f16 v8, v102, v93, v8 op_sel:[0,1,0]
	v_pk_fma_f16 v57, v99, v92, v57 op_sel_hi:[1,0,1]
	v_pk_fma_f16 v53, v99, v92, v53 op_sel:[0,1,0]
	v_pk_fma_f16 v54, v101, v93, v54 op_sel_hi:[1,0,1]
	v_pk_fma_f16 v55, v102, v93, v55 op_sel_hi:[1,0,1]
	v_pk_fma_f16 v46, v99, v93, v46 op_sel_hi:[1,0,1]
	s_waitcnt lgkmcnt(4)
	v_pk_fma_f16 v5, v103, v10, v5 op_sel:[0,1,0]
	v_pk_fma_f16 v64, v104, v9, v64 op_sel_hi:[1,0,1]
	v_pk_fma_f16 v60, v104, v9, v60 op_sel:[0,1,0]
	v_pk_fma_f16 v56, v104, v10, v56 op_sel_hi:[1,0,1]
	v_pk_fma_f16 v6, v104, v10, v6 op_sel:[0,1,0]
	v_pk_fma_f16 v62, v105, v9, v62 op_sel_hi:[1,0,1]
	v_pk_fma_f16 v58, v105, v9, v58 op_sel:[0,1,0]
	v_pk_fma_f16 v7, v105, v10, v7 op_sel:[0,1,0]
	v_pk_fma_f16 v63, v106, v9, v63 op_sel_hi:[1,0,1]
	v_pk_fma_f16 v59, v106, v9, v59 op_sel:[0,1,0]
	v_pk_fma_f16 v8, v106, v10, v8 op_sel:[0,1,0]
	v_pk_fma_f16 v57, v103, v9, v57 op_sel_hi:[1,0,1]
	v_pk_fma_f16 v9, v103, v9, v53 op_sel:[0,1,0]
	v_pk_fma_f16 v54, v105, v10, v54 op_sel_hi:[1,0,1]
	;; [unrolled: 17-line block ×3, first 2 shown]
	v_pk_fma_f16 v55, v110, v12, v55 op_sel_hi:[1,0,1]
	v_pk_fma_f16 v10, v107, v12, v10 op_sel_hi:[1,0,1]
	s_waitcnt lgkmcnt(2)
	v_pk_fma_f16 v5, v111, v50, v5 op_sel:[0,1,0]
	v_pk_fma_f16 v11, v112, v49, v46 op_sel_hi:[1,0,1]
	v_pk_fma_f16 v12, v112, v49, v53 op_sel:[0,1,0]
	v_pk_fma_f16 v46, v112, v50, v56 op_sel_hi:[1,0,1]
	;; [unrolled: 2-line block ×3, first 2 shown]
	v_pk_fma_f16 v56, v113, v49, v58 op_sel:[0,1,0]
	v_pk_fma_f16 v7, v113, v50, v7 op_sel:[0,1,0]
	v_pk_fma_f16 v58, v114, v49, v62 op_sel_hi:[1,0,1]
	v_pk_fma_f16 v59, v114, v49, v59 op_sel:[0,1,0]
	v_pk_fma_f16 v57, v111, v49, v57 op_sel_hi:[1,0,1]
	v_pk_fma_f16 v9, v111, v49, v9 op_sel:[0,1,0]
	v_pk_fma_f16 v8, v114, v50, v8 op_sel:[0,1,0]
	v_pk_fma_f16 v54, v113, v50, v54 op_sel_hi:[1,0,1]
	v_pk_fma_f16 v55, v114, v50, v55 op_sel_hi:[1,0,1]
	;; [unrolled: 1-line block ×3, first 2 shown]
	s_waitcnt lgkmcnt(1)
	v_pk_fma_f16 v49, v115, v52, v5 op_sel:[0,1,0]
	v_pk_fma_f16 v50, v115, v51, v57 op_sel_hi:[1,0,1]
	v_pk_fma_f16 v9, v115, v51, v9 op_sel:[0,1,0]
	v_pk_fma_f16 v11, v116, v51, v11 op_sel_hi:[1,0,1]
	v_pk_fma_f16 v12, v116, v51, v12 op_sel:[0,1,0]
	v_pk_fma_f16 v57, v116, v52, v6 op_sel:[0,1,0]
	v_pk_fma_f16 v53, v117, v51, v53 op_sel_hi:[1,0,1]
	v_pk_fma_f16 v56, v117, v51, v56 op_sel:[0,1,0]
	;; [unrolled: 3-line block ×3, first 2 shown]
	v_pk_fma_f16 v59, v118, v52, v8 op_sel:[0,1,0]
	ds_load_2addr_b64 v[5:8], v94 offset0:192 offset1:224
	v_pk_fma_f16 v10, v115, v52, v10 op_sel_hi:[1,0,1]
	v_pk_fma_f16 v54, v117, v52, v54 op_sel_hi:[1,0,1]
	;; [unrolled: 1-line block ×3, first 2 shown]
	s_waitcnt lgkmcnt(1)
	v_pk_fma_f16 v90, v119, v96, v49 op_sel:[0,1,0]
	v_add_nc_u32_e32 v49, 0x1000, v44
	v_pk_fma_f16 v46, v116, v52, v46 op_sel_hi:[1,0,1]
	v_pk_fma_f16 v62, v119, v95, v50 op_sel_hi:[1,0,1]
	v_pk_fma_f16 v63, v119, v95, v9 op_sel:[0,1,0]
	v_pk_fma_f16 v64, v119, v96, v10 op_sel_hi:[1,0,1]
	v_pk_fma_f16 v91, v120, v95, v11 op_sel_hi:[1,0,1]
	v_pk_fma_f16 v92, v120, v95, v12 op_sel:[0,1,0]
	v_pk_fma_f16 v57, v120, v96, v57 op_sel:[0,1,0]
	v_pk_fma_f16 v93, v121, v95, v53 op_sel_hi:[1,0,1]
	v_pk_fma_f16 v56, v121, v95, v56 op_sel:[0,1,0]
	v_pk_fma_f16 v54, v121, v96, v54 op_sel_hi:[1,0,1]
	v_pk_fma_f16 v58, v122, v95, v58 op_sel_hi:[1,0,1]
	v_pk_fma_f16 v95, v122, v95, v51 op_sel:[0,1,0]
	v_pk_fma_f16 v55, v122, v96, v55 op_sel_hi:[1,0,1]
	ds_load_2addr_b64 v[9:12], v49 offset1:32
	ds_load_b128 v[50:53], v47 offset:64
	v_pk_fma_f16 v46, v120, v96, v46 op_sel_hi:[1,0,1]
	v_pk_fma_f16 v60, v121, v96, v60 op_sel:[0,1,0]
	v_pk_fma_f16 v59, v122, v96, v59 op_sel:[0,1,0]
	s_waitcnt lgkmcnt(2)
	v_pk_fma_f16 v62, v5, v97, v62 op_sel_hi:[1,0,1]
	v_pk_fma_f16 v63, v5, v97, v63 op_sel:[0,1,0]
	v_pk_fma_f16 v91, v6, v97, v91 op_sel_hi:[1,0,1]
	v_pk_fma_f16 v92, v6, v97, v92 op_sel:[0,1,0]
	v_pk_fma_f16 v96, v6, v98, v57 op_sel:[0,1,0]
	v_pk_fma_f16 v93, v7, v97, v93 op_sel_hi:[1,0,1]
	v_pk_fma_f16 v99, v7, v97, v56 op_sel:[0,1,0]
	v_pk_fma_f16 v100, v7, v98, v54 op_sel_hi:[1,0,1]
	v_pk_fma_f16 v58, v8, v97, v58 op_sel_hi:[1,0,1]
	v_pk_fma_f16 v95, v8, v97, v95 op_sel:[0,1,0]
	v_pk_fma_f16 v97, v8, v98, v55 op_sel_hi:[1,0,1]
	ds_load_2addr_b64 v[54:57], v49 offset0:64 offset1:96
	v_pk_fma_f16 v64, v5, v98, v64 op_sel_hi:[1,0,1]
	v_pk_fma_f16 v90, v5, v98, v90 op_sel:[0,1,0]
	v_pk_fma_f16 v46, v6, v98, v46 op_sel_hi:[1,0,1]
	v_pk_fma_f16 v60, v7, v98, v60 op_sel:[0,1,0]
	v_pk_fma_f16 v59, v8, v98, v59 op_sel:[0,1,0]
	ds_load_b128 v[5:8], v47 offset:80
	s_waitcnt lgkmcnt(2)
	v_pk_fma_f16 v62, v9, v50, v62 op_sel_hi:[1,0,1]
	v_pk_fma_f16 v63, v9, v50, v63 op_sel:[0,1,0]
	v_pk_fma_f16 v64, v9, v51, v64 op_sel_hi:[1,0,1]
	v_pk_fma_f16 v9, v9, v51, v90 op_sel:[0,1,0]
	;; [unrolled: 2-line block ×6, first 2 shown]
	ds_load_2addr_b64 v[90:93], v49 offset0:128 offset1:160
	v_pk_fma_f16 v58, v12, v50, v58 op_sel_hi:[1,0,1]
	v_pk_fma_f16 v50, v12, v50, v95 op_sel:[0,1,0]
	v_pk_fma_f16 v60, v12, v51, v97 op_sel_hi:[1,0,1]
	v_pk_fma_f16 v51, v12, v51, v59 op_sel:[0,1,0]
	s_waitcnt lgkmcnt(2)
	v_pk_fma_f16 v59, v54, v52, v62 op_sel_hi:[1,0,1]
	v_pk_fma_f16 v62, v54, v52, v63 op_sel:[0,1,0]
	v_pk_fma_f16 v63, v54, v53, v64 op_sel_hi:[1,0,1]
	v_pk_fma_f16 v54, v54, v53, v9 op_sel:[0,1,0]
	;; [unrolled: 2-line block ×6, first 2 shown]
	ds_load_2addr_b64 v[9:12], v49 offset0:192 offset1:224
	v_pk_fma_f16 v58, v57, v52, v58 op_sel_hi:[1,0,1]
	v_pk_fma_f16 v50, v57, v52, v50 op_sel:[0,1,0]
	v_pk_fma_f16 v52, v57, v53, v60 op_sel_hi:[1,0,1]
	v_pk_fma_f16 v51, v57, v53, v51 op_sel:[0,1,0]
	s_waitcnt lgkmcnt(1)
	v_pk_fma_f16 v53, v90, v5, v59 op_sel_hi:[1,0,1]
	v_pk_fma_f16 v59, v90, v6, v63 op_sel_hi:[1,0,1]
	;; [unrolled: 1-line block ×3, first 2 shown]
	v_pk_fma_f16 v57, v90, v5, v62 op_sel:[0,1,0]
	v_pk_fma_f16 v54, v90, v6, v54 op_sel:[0,1,0]
	;; [unrolled: 1-line block ×3, first 2 shown]
	v_pk_fma_f16 v219, v91, v6, v46 op_sel_hi:[1,0,1]
	v_pk_fma_f16 v220, v91, v6, v55 op_sel:[0,1,0]
	v_pk_fma_f16 v221, v92, v5, v96 op_sel_hi:[1,0,1]
	v_pk_fma_f16 v222, v92, v5, v97 op_sel:[0,1,0]
	;; [unrolled: 2-line block ×4, first 2 shown]
	v_pk_fma_f16 v227, v93, v6, v52 op_sel_hi:[1,0,1]
	s_waitcnt lgkmcnt(0)
	v_pk_fma_f16 v231, v9, v8, v59 op_sel_hi:[1,0,1]
	v_add_co_u32 v59, vcc_lo, s21, v23
	v_pk_fma_f16 v233, v10, v7, v60 op_sel_hi:[1,0,1]
	v_add_co_ci_u32_e32 v60, vcc_lo, s22, v24, vcc_lo
	v_add_co_u32 v62, vcc_lo, s21, v25
	v_add_co_ci_u32_e32 v63, vcc_lo, s22, v26, vcc_lo
	v_add_co_u32 v59, vcc_lo, v59, v45
	s_delay_alu instid0(VALU_DEP_4) | instskip(NEXT) | instid1(VALU_DEP_4)
	v_add_co_ci_u32_e32 v60, vcc_lo, 0, v60, vcc_lo
	v_add_co_u32 v62, vcc_lo, v62, v45
	s_delay_alu instid0(VALU_DEP_4) | instskip(SKIP_4) | instid1(VALU_DEP_4)
	v_add_co_ci_u32_e32 v63, vcc_lo, 0, v63, vcc_lo
	v_add_co_u32 v203, vcc_lo, s21, v27
	v_add_co_ci_u32_e32 v204, vcc_lo, s22, v28, vcc_lo
	v_add_co_u32 v205, vcc_lo, s21, v29
	;; [unrolled: 2-line block ×3, first 2 shown]
	v_pk_fma_f16 v228, v93, v6, v51 op_sel:[0,1,0]
	v_pk_fma_f16 v229, v9, v7, v53 op_sel_hi:[1,0,1]
	v_add_nc_u32_e32 v50, 0x1800, v44
	v_pk_fma_f16 v230, v9, v7, v57 op_sel:[0,1,0]
	v_pk_fma_f16 v232, v9, v8, v54 op_sel:[0,1,0]
	v_add_nc_u32_e32 v46, 0x2000, v44
	v_add_nc_u32_e32 v9, 0x2800, v44
	v_add_nc_u32_e32 v6, 0x3000, v44
	v_add_nc_u32_e32 v5, 0x3800, v44
	v_add_co_ci_u32_e32 v212, vcc_lo, 0, v204, vcc_lo
	v_add_co_u32 v215, vcc_lo, v205, v45
	v_add_co_ci_u32_e32 v216, vcc_lo, 0, v206, vcc_lo
	ds_load_2addr_b64 v[51:54], v50 offset1:32
	ds_load_2addr_b64 v[55:58], v50 offset0:64 offset1:96
	ds_load_2addr_b64 v[90:93], v50 offset0:128 offset1:160
	ds_load_b128 v[95:98], v47 offset:96
	ds_load_b128 v[99:102], v47 offset:112
	ds_load_2addr_b64 v[103:106], v50 offset0:192 offset1:224
	ds_load_2addr_b64 v[107:110], v46 offset1:32
	ds_load_2addr_b64 v[111:114], v46 offset0:64 offset1:96
	ds_load_2addr_b64 v[115:118], v46 offset0:128 offset1:160
	ds_load_b128 v[119:122], v47 offset:128
	ds_load_b128 v[123:126], v47 offset:144
	ds_load_2addr_b64 v[127:130], v46 offset0:192 offset1:224
	;; [unrolled: 6-line block ×5, first 2 shown]
	s_waitcnt lgkmcnt(0)
	s_barrier
	buffer_gl0_inv
	s_clause 0x3
	global_load_b128 v[203:206], v[59:60], off
	global_load_b128 v[207:210], v[62:63], off
	;; [unrolled: 1-line block ×4, first 2 shown]
	v_pk_fma_f16 v59, v10, v7, v64 op_sel:[0,1,0]
	v_pk_fma_f16 v60, v10, v8, v219 op_sel_hi:[1,0,1]
	v_pk_fma_f16 v10, v10, v8, v220 op_sel:[0,1,0]
	v_pk_fma_f16 v62, v11, v7, v221 op_sel_hi:[1,0,1]
	;; [unrolled: 2-line block ×4, first 2 shown]
	v_pk_fma_f16 v220, v12, v8, v227 op_sel_hi:[1,0,1]
	v_pk_fma_f16 v7, v12, v7, v226 op_sel:[0,1,0]
	v_pk_fma_f16 v8, v12, v8, v228 op_sel:[0,1,0]
	v_pk_fma_f16 v12, v51, v95, v229 op_sel_hi:[1,0,1]
	v_pk_fma_f16 v221, v51, v95, v230 op_sel:[0,1,0]
	v_pk_fma_f16 v222, v51, v96, v231 op_sel_hi:[1,0,1]
	;; [unrolled: 2-line block ×7, first 2 shown]
	v_pk_fma_f16 v64, v54, v96, v220 op_sel_hi:[1,0,1]
	v_pk_fma_f16 v7, v54, v95, v7 op_sel:[0,1,0]
	v_pk_fma_f16 v8, v54, v96, v8 op_sel:[0,1,0]
	v_pk_fma_f16 v12, v55, v97, v12 op_sel_hi:[1,0,1]
	v_pk_fma_f16 v54, v55, v97, v221 op_sel:[0,1,0]
	v_pk_fma_f16 v95, v55, v98, v222 op_sel_hi:[1,0,1]
	;; [unrolled: 2-line block ×7, first 2 shown]
	v_pk_fma_f16 v57, v58, v98, v64 op_sel_hi:[1,0,1]
	v_pk_fma_f16 v7, v58, v97, v7 op_sel:[0,1,0]
	v_pk_fma_f16 v8, v58, v98, v8 op_sel:[0,1,0]
	;; [unrolled: 1-line block ×3, first 2 shown]
	v_pk_fma_f16 v58, v90, v100, v95 op_sel_hi:[1,0,1]
	v_pk_fma_f16 v51, v90, v100, v51 op_sel:[0,1,0]
	v_pk_fma_f16 v55, v91, v99, v55 op_sel_hi:[1,0,1]
	v_pk_fma_f16 v52, v92, v99, v52 op_sel_hi:[1,0,1]
	v_pk_fma_f16 v56, v92, v99, v56 op_sel:[0,1,0]
	v_pk_fma_f16 v53, v93, v99, v53 op_sel_hi:[1,0,1]
	;; [unrolled: 3-line block ×3, first 2 shown]
	v_pk_fma_f16 v51, v103, v102, v51 op_sel:[0,1,0]
	v_pk_fma_f16 v55, v104, v101, v55 op_sel_hi:[1,0,1]
	v_pk_fma_f16 v52, v105, v101, v52 op_sel_hi:[1,0,1]
	v_pk_fma_f16 v56, v105, v101, v56 op_sel:[0,1,0]
	v_pk_fma_f16 v53, v106, v101, v53 op_sel_hi:[1,0,1]
	v_pk_fma_f16 v57, v106, v102, v57 op_sel_hi:[1,0,1]
	;; [unrolled: 1-line block ×3, first 2 shown]
	v_pk_fma_f16 v59, v91, v99, v59 op_sel:[0,1,0]
	v_pk_fma_f16 v60, v91, v100, v60 op_sel_hi:[1,0,1]
	v_pk_fma_f16 v10, v91, v100, v10 op_sel:[0,1,0]
	v_pk_fma_f16 v62, v92, v100, v62 op_sel_hi:[1,0,1]
	v_pk_fma_f16 v11, v92, v100, v11 op_sel:[0,1,0]
	v_pk_fma_f16 v54, v107, v119, v54 op_sel:[0,1,0]
	v_pk_fma_f16 v58, v107, v120, v58 op_sel_hi:[1,0,1]
	v_pk_fma_f16 v51, v107, v120, v51 op_sel:[0,1,0]
	v_pk_fma_f16 v55, v108, v119, v55 op_sel_hi:[1,0,1]
	v_pk_fma_f16 v52, v109, v119, v52 op_sel_hi:[1,0,1]
	v_pk_fma_f16 v56, v109, v119, v56 op_sel:[0,1,0]
	v_pk_fma_f16 v53, v110, v119, v53 op_sel_hi:[1,0,1]
	v_pk_fma_f16 v57, v110, v120, v57 op_sel_hi:[1,0,1]
	v_pk_fma_f16 v7, v93, v99, v7 op_sel:[0,1,0]
	v_pk_fma_f16 v8, v93, v100, v8 op_sel:[0,1,0]
	v_pk_fma_f16 v12, v103, v101, v12 op_sel_hi:[1,0,1]
	v_pk_fma_f16 v59, v104, v101, v59 op_sel:[0,1,0]
	v_pk_fma_f16 v60, v104, v102, v60 op_sel_hi:[1,0,1]
	v_pk_fma_f16 v10, v104, v102, v10 op_sel:[0,1,0]
	v_pk_fma_f16 v62, v105, v102, v62 op_sel_hi:[1,0,1]
	v_pk_fma_f16 v11, v105, v102, v11 op_sel:[0,1,0]
	v_pk_fma_f16 v54, v111, v121, v54 op_sel:[0,1,0]
	v_pk_fma_f16 v58, v111, v122, v58 op_sel_hi:[1,0,1]
	v_pk_fma_f16 v51, v111, v122, v51 op_sel:[0,1,0]
	v_pk_fma_f16 v55, v112, v121, v55 op_sel_hi:[1,0,1]
	v_pk_fma_f16 v52, v113, v121, v52 op_sel_hi:[1,0,1]
	v_pk_fma_f16 v56, v113, v121, v56 op_sel:[0,1,0]
	v_pk_fma_f16 v53, v114, v121, v53 op_sel_hi:[1,0,1]
	v_pk_fma_f16 v57, v114, v122, v57 op_sel_hi:[1,0,1]
	v_pk_fma_f16 v7, v106, v101, v7 op_sel:[0,1,0]
	v_pk_fma_f16 v8, v106, v102, v8 op_sel:[0,1,0]
	v_pk_fma_f16 v12, v107, v119, v12 op_sel_hi:[1,0,1]
	;; [unrolled: 16-line block ×14, first 2 shown]
	v_pk_fma_f16 v59, v180, v191, v59 op_sel:[0,1,0]
	v_pk_fma_f16 v60, v180, v192, v60 op_sel_hi:[1,0,1]
	v_pk_fma_f16 v10, v180, v192, v10 op_sel:[0,1,0]
	v_pk_fma_f16 v62, v181, v192, v62 op_sel_hi:[1,0,1]
	v_pk_fma_f16 v11, v181, v192, v11 op_sel:[0,1,0]
	v_pk_fma_f16 v63, v187, v195, v54 op_sel:[0,1,0]
	v_pk_fma_f16 v64, v187, v196, v58 op_sel_hi:[1,0,1]
	v_pk_fma_f16 v90, v187, v196, v51 op_sel:[0,1,0]
	v_pk_fma_f16 v91, v188, v195, v55 op_sel_hi:[1,0,1]
	v_pk_fma_f16 v92, v189, v195, v52 op_sel_hi:[1,0,1]
	v_pk_fma_f16 v93, v189, v195, v56 op_sel:[0,1,0]
	v_pk_fma_f16 v95, v190, v195, v53 op_sel_hi:[1,0,1]
	v_pk_fma_f16 v96, v190, v196, v57 op_sel_hi:[1,0,1]
	s_waitcnt vmcnt(3)
	ds_store_b128 v84, v[203:206]
	s_waitcnt vmcnt(2)
	ds_store_b128 v85, v[207:210]
	;; [unrolled: 2-line block ×4, first 2 shown]
	s_waitcnt lgkmcnt(0)
	s_barrier
	buffer_gl0_inv
	ds_load_2addr_b64 v[51:54], v44 offset1:32
	ds_load_b128 v[55:58], v47 offset:256
	v_pk_fma_f16 v7, v182, v191, v7 op_sel:[0,1,0]
	v_pk_fma_f16 v8, v182, v192, v8 op_sel:[0,1,0]
	v_pk_fma_f16 v12, v183, v193, v12 op_sel_hi:[1,0,1]
	v_pk_fma_f16 v59, v184, v193, v59 op_sel:[0,1,0]
	v_pk_fma_f16 v60, v184, v194, v60 op_sel_hi:[1,0,1]
	;; [unrolled: 2-line block ×3, first 2 shown]
	v_pk_fma_f16 v11, v185, v194, v11 op_sel:[0,1,0]
	v_pk_fma_f16 v107, v199, v198, v90 op_sel:[0,1,0]
	v_pk_fma_f16 v108, v200, v197, v91 op_sel_hi:[1,0,1]
	v_pk_fma_f16 v109, v201, v197, v92 op_sel_hi:[1,0,1]
	v_pk_fma_f16 v110, v201, v197, v93 op_sel:[0,1,0]
	v_pk_fma_f16 v111, v202, v197, v95 op_sel_hi:[1,0,1]
	v_pk_fma_f16 v112, v202, v198, v96 op_sel_hi:[1,0,1]
	ds_load_b128 v[90:93], v47 offset:272
	ds_load_2addr_b64 v[95:98], v44 offset0:64 offset1:96
	ds_load_b128 v[99:102], v47 offset:288
	ds_load_b128 v[103:106], v47 offset:304
	v_pk_fma_f16 v7, v186, v193, v7 op_sel:[0,1,0]
	v_pk_fma_f16 v8, v186, v194, v8 op_sel:[0,1,0]
	v_pk_fma_f16 v12, v187, v195, v12 op_sel_hi:[1,0,1]
	v_pk_fma_f16 v59, v188, v195, v59 op_sel:[0,1,0]
	v_pk_fma_f16 v60, v188, v196, v60 op_sel_hi:[1,0,1]
	;; [unrolled: 2-line block ×3, first 2 shown]
	v_pk_fma_f16 v11, v189, v196, v11 op_sel:[0,1,0]
	v_pk_fma_f16 v7, v190, v195, v7 op_sel:[0,1,0]
	;; [unrolled: 1-line block ×3, first 2 shown]
	v_pk_fma_f16 v12, v199, v197, v12 op_sel_hi:[1,0,1]
	v_pk_fma_f16 v63, v199, v197, v63 op_sel:[0,1,0]
	v_pk_fma_f16 v64, v199, v198, v64 op_sel_hi:[1,0,1]
	v_pk_fma_f16 v59, v200, v197, v59 op_sel:[0,1,0]
	;; [unrolled: 2-line block ×4, first 2 shown]
	v_pk_fma_f16 v7, v202, v197, v7 op_sel:[0,1,0]
	v_pk_fma_f16 v8, v202, v198, v8 op_sel:[0,1,0]
	s_waitcnt lgkmcnt(4)
	v_pk_fma_f16 v12, v51, v55, v12 op_sel_hi:[1,0,1]
	v_pk_fma_f16 v63, v51, v55, v63 op_sel:[0,1,0]
	v_pk_fma_f16 v64, v51, v56, v64 op_sel_hi:[1,0,1]
	v_pk_fma_f16 v51, v51, v56, v107 op_sel:[0,1,0]
	;; [unrolled: 2-line block ×6, first 2 shown]
	v_pk_fma_f16 v53, v54, v55, v111 op_sel_hi:[1,0,1]
	ds_load_2addr_b64 v[107:110], v44 offset0:128 offset1:160
	v_pk_fma_f16 v7, v54, v55, v7 op_sel:[0,1,0]
	v_pk_fma_f16 v55, v54, v56, v112 op_sel_hi:[1,0,1]
	v_pk_fma_f16 v8, v54, v56, v8 op_sel:[0,1,0]
	s_waitcnt lgkmcnt(3)
	v_pk_fma_f16 v12, v95, v57, v12 op_sel_hi:[1,0,1]
	v_pk_fma_f16 v56, v95, v57, v63 op_sel:[0,1,0]
	v_pk_fma_f16 v63, v95, v58, v64 op_sel_hi:[1,0,1]
	v_pk_fma_f16 v64, v95, v58, v51 op_sel:[0,1,0]
	v_pk_fma_f16 v95, v96, v57, v113 op_sel_hi:[1,0,1]
	v_pk_fma_f16 v59, v96, v57, v59 op_sel:[0,1,0]
	v_pk_fma_f16 v60, v96, v58, v60 op_sel_hi:[1,0,1]
	v_pk_fma_f16 v10, v96, v58, v10 op_sel:[0,1,0]
	v_pk_fma_f16 v96, v97, v57, v52 op_sel_hi:[1,0,1]
	v_pk_fma_f16 v111, v97, v57, v114 op_sel:[0,1,0]
	v_pk_fma_f16 v62, v97, v58, v62 op_sel_hi:[1,0,1]
	v_pk_fma_f16 v11, v97, v58, v11 op_sel:[0,1,0]
	v_pk_fma_f16 v97, v98, v57, v53 op_sel_hi:[1,0,1]
	ds_load_2addr_b64 v[51:54], v44 offset0:192 offset1:224
	v_pk_fma_f16 v7, v98, v57, v7 op_sel:[0,1,0]
	v_pk_fma_f16 v112, v98, v58, v55 op_sel_hi:[1,0,1]
	v_pk_fma_f16 v8, v98, v58, v8 op_sel:[0,1,0]
	s_waitcnt lgkmcnt(1)
	v_pk_fma_f16 v12, v107, v90, v12 op_sel_hi:[1,0,1]
	v_pk_fma_f16 v98, v107, v90, v56 op_sel:[0,1,0]
	v_pk_fma_f16 v63, v107, v91, v63 op_sel_hi:[1,0,1]
	v_pk_fma_f16 v64, v107, v91, v64 op_sel:[0,1,0]
	;; [unrolled: 2-line block ×6, first 2 shown]
	v_pk_fma_f16 v97, v110, v90, v97 op_sel_hi:[1,0,1]
	ds_load_2addr_b64 v[55:58], v94 offset1:32
	v_pk_fma_f16 v7, v110, v90, v7 op_sel:[0,1,0]
	v_pk_fma_f16 v90, v110, v91, v112 op_sel_hi:[1,0,1]
	v_pk_fma_f16 v8, v110, v91, v8 op_sel:[0,1,0]
	s_waitcnt lgkmcnt(1)
	v_pk_fma_f16 v12, v51, v92, v12 op_sel_hi:[1,0,1]
	v_pk_fma_f16 v91, v51, v92, v98 op_sel:[0,1,0]
	v_pk_fma_f16 v63, v51, v93, v63 op_sel_hi:[1,0,1]
	v_pk_fma_f16 v51, v51, v93, v64 op_sel:[0,1,0]
	;; [unrolled: 2-line block ×6, first 2 shown]
	v_pk_fma_f16 v53, v54, v92, v97 op_sel_hi:[1,0,1]
	ds_load_2addr_b64 v[95:98], v94 offset0:64 offset1:96
	v_pk_fma_f16 v7, v54, v92, v7 op_sel:[0,1,0]
	v_pk_fma_f16 v90, v54, v93, v90 op_sel_hi:[1,0,1]
	v_pk_fma_f16 v8, v54, v93, v8 op_sel:[0,1,0]
	s_waitcnt lgkmcnt(1)
	v_pk_fma_f16 v12, v55, v99, v12 op_sel_hi:[1,0,1]
	v_pk_fma_f16 v91, v55, v99, v91 op_sel:[0,1,0]
	v_pk_fma_f16 v63, v55, v100, v63 op_sel_hi:[1,0,1]
	v_pk_fma_f16 v55, v55, v100, v51 op_sel:[0,1,0]
	;; [unrolled: 2-line block ×6, first 2 shown]
	v_pk_fma_f16 v57, v58, v99, v53 op_sel_hi:[1,0,1]
	ds_load_2addr_b64 v[51:54], v94 offset0:128 offset1:160
	v_pk_fma_f16 v7, v58, v99, v7 op_sel:[0,1,0]
	v_pk_fma_f16 v90, v58, v100, v90 op_sel_hi:[1,0,1]
	v_pk_fma_f16 v8, v58, v100, v8 op_sel:[0,1,0]
	s_waitcnt lgkmcnt(1)
	v_pk_fma_f16 v12, v95, v101, v12 op_sel_hi:[1,0,1]
	v_pk_fma_f16 v91, v95, v101, v91 op_sel:[0,1,0]
	v_pk_fma_f16 v63, v95, v102, v63 op_sel_hi:[1,0,1]
	v_pk_fma_f16 v93, v95, v102, v55 op_sel:[0,1,0]
	;; [unrolled: 2-line block ×4, first 2 shown]
	v_pk_fma_f16 v95, v97, v101, v56 op_sel_hi:[1,0,1]
	v_pk_fma_f16 v96, v98, v101, v57 op_sel_hi:[1,0,1]
	ds_load_2addr_b64 v[55:58], v94 offset0:192 offset1:224
	v_pk_fma_f16 v92, v97, v101, v92 op_sel:[0,1,0]
	v_pk_fma_f16 v62, v97, v102, v62 op_sel_hi:[1,0,1]
	v_pk_fma_f16 v11, v97, v102, v11 op_sel:[0,1,0]
	v_pk_fma_f16 v90, v98, v102, v90 op_sel_hi:[1,0,1]
	v_pk_fma_f16 v7, v98, v101, v7 op_sel:[0,1,0]
	v_pk_fma_f16 v8, v98, v102, v8 op_sel:[0,1,0]
	s_waitcnt lgkmcnt(1)
	v_pk_fma_f16 v12, v51, v103, v12 op_sel_hi:[1,0,1]
	v_pk_fma_f16 v98, v51, v103, v91 op_sel:[0,1,0]
	v_pk_fma_f16 v63, v51, v104, v63 op_sel_hi:[1,0,1]
	v_pk_fma_f16 v51, v51, v104, v93 op_sel:[0,1,0]
	;; [unrolled: 2-line block ×6, first 2 shown]
	v_pk_fma_f16 v53, v54, v103, v96 op_sel_hi:[1,0,1]
	v_pk_fma_f16 v100, v54, v104, v90 op_sel_hi:[1,0,1]
	ds_load_2addr_b64 v[90:93], v49 offset1:32
	ds_load_b128 v[94:97], v47 offset:320
	v_pk_fma_f16 v7, v54, v103, v7 op_sel:[0,1,0]
	v_pk_fma_f16 v8, v54, v104, v8 op_sel:[0,1,0]
	s_waitcnt lgkmcnt(2)
	v_pk_fma_f16 v101, v55, v106, v51 op_sel:[0,1,0]
	v_pk_fma_f16 v102, v57, v105, v52 op_sel_hi:[1,0,1]
	v_pk_fma_f16 v103, v58, v105, v53 op_sel_hi:[1,0,1]
	ds_load_2addr_b64 v[51:54], v49 offset0:64 offset1:96
	v_pk_fma_f16 v12, v55, v105, v12 op_sel_hi:[1,0,1]
	v_pk_fma_f16 v98, v55, v105, v98 op_sel:[0,1,0]
	v_pk_fma_f16 v63, v55, v106, v63 op_sel_hi:[1,0,1]
	v_pk_fma_f16 v64, v56, v105, v64 op_sel_hi:[1,0,1]
	v_pk_fma_f16 v59, v56, v105, v59 op_sel:[0,1,0]
	v_pk_fma_f16 v60, v56, v106, v60 op_sel_hi:[1,0,1]
	v_pk_fma_f16 v10, v56, v106, v10 op_sel:[0,1,0]
	v_pk_fma_f16 v99, v57, v105, v99 op_sel:[0,1,0]
	v_pk_fma_f16 v62, v57, v106, v62 op_sel_hi:[1,0,1]
	v_pk_fma_f16 v11, v57, v106, v11 op_sel:[0,1,0]
	v_pk_fma_f16 v7, v58, v105, v7 op_sel:[0,1,0]
	v_pk_fma_f16 v104, v58, v106, v100 op_sel_hi:[1,0,1]
	v_pk_fma_f16 v8, v58, v106, v8 op_sel:[0,1,0]
	ds_load_b128 v[55:58], v47 offset:336
	s_waitcnt lgkmcnt(2)
	v_pk_fma_f16 v12, v90, v94, v12 op_sel_hi:[1,0,1]
	v_pk_fma_f16 v105, v90, v94, v98 op_sel:[0,1,0]
	v_pk_fma_f16 v63, v90, v95, v63 op_sel_hi:[1,0,1]
	v_pk_fma_f16 v90, v90, v95, v101 op_sel:[0,1,0]
	;; [unrolled: 2-line block ×6, first 2 shown]
	v_pk_fma_f16 v92, v93, v94, v103 op_sel_hi:[1,0,1]
	ds_load_2addr_b64 v[98:101], v49 offset0:128 offset1:160
	v_pk_fma_f16 v7, v93, v94, v7 op_sel:[0,1,0]
	v_pk_fma_f16 v94, v93, v95, v104 op_sel_hi:[1,0,1]
	v_pk_fma_f16 v8, v93, v95, v8 op_sel:[0,1,0]
	s_waitcnt lgkmcnt(2)
	v_pk_fma_f16 v12, v51, v96, v12 op_sel_hi:[1,0,1]
	v_pk_fma_f16 v95, v51, v96, v105 op_sel:[0,1,0]
	v_pk_fma_f16 v63, v51, v97, v63 op_sel_hi:[1,0,1]
	v_pk_fma_f16 v51, v51, v97, v90 op_sel:[0,1,0]
	;; [unrolled: 2-line block ×6, first 2 shown]
	v_pk_fma_f16 v53, v54, v96, v92 op_sel_hi:[1,0,1]
	ds_load_2addr_b64 v[90:93], v49 offset0:192 offset1:224
	v_pk_fma_f16 v7, v54, v96, v7 op_sel:[0,1,0]
	v_pk_fma_f16 v94, v54, v97, v94 op_sel_hi:[1,0,1]
	v_pk_fma_f16 v8, v54, v97, v8 op_sel:[0,1,0]
	s_waitcnt lgkmcnt(1)
	v_pk_fma_f16 v12, v98, v55, v12 op_sel_hi:[1,0,1]
	v_pk_fma_f16 v49, v98, v55, v95 op_sel:[0,1,0]
	v_pk_fma_f16 v63, v98, v56, v63 op_sel_hi:[1,0,1]
	v_pk_fma_f16 v98, v98, v56, v51 op_sel:[0,1,0]
	;; [unrolled: 2-line block ×7, first 2 shown]
	v_pk_fma_f16 v55, v101, v56, v94 op_sel_hi:[1,0,1]
	ds_load_2addr_b64 v[51:54], v50 offset1:32
	ds_load_b128 v[94:97], v47 offset:352
	v_pk_fma_f16 v8, v101, v56, v8 op_sel:[0,1,0]
	s_waitcnt lgkmcnt(2)
	v_pk_fma_f16 v12, v90, v57, v12 op_sel_hi:[1,0,1]
	v_pk_fma_f16 v49, v90, v57, v49 op_sel:[0,1,0]
	v_pk_fma_f16 v63, v90, v58, v63 op_sel_hi:[1,0,1]
	v_pk_fma_f16 v90, v90, v58, v98 op_sel:[0,1,0]
	;; [unrolled: 2-line block ×6, first 2 shown]
	v_pk_fma_f16 v92, v93, v57, v100 op_sel_hi:[1,0,1]
	ds_load_2addr_b64 v[98:101], v50 offset0:64 offset1:96
	v_pk_fma_f16 v7, v93, v57, v7 op_sel:[0,1,0]
	v_pk_fma_f16 v103, v93, v58, v55 op_sel_hi:[1,0,1]
	v_pk_fma_f16 v8, v93, v58, v8 op_sel:[0,1,0]
	ds_load_b128 v[55:58], v47 offset:368
	s_waitcnt lgkmcnt(2)
	v_pk_fma_f16 v12, v51, v94, v12 op_sel_hi:[1,0,1]
	v_pk_fma_f16 v49, v51, v94, v49 op_sel:[0,1,0]
	v_pk_fma_f16 v63, v51, v95, v63 op_sel_hi:[1,0,1]
	v_pk_fma_f16 v51, v51, v95, v90 op_sel:[0,1,0]
	v_pk_fma_f16 v64, v52, v94, v64 op_sel_hi:[1,0,1]
	v_pk_fma_f16 v59, v52, v94, v59 op_sel:[0,1,0]
	v_pk_fma_f16 v60, v52, v95, v60 op_sel_hi:[1,0,1]
	v_pk_fma_f16 v10, v52, v95, v10 op_sel:[0,1,0]
	v_pk_fma_f16 v52, v53, v94, v91 op_sel_hi:[1,0,1]
	v_pk_fma_f16 v102, v53, v94, v102 op_sel:[0,1,0]
	v_pk_fma_f16 v62, v53, v95, v62 op_sel_hi:[1,0,1]
	v_pk_fma_f16 v11, v53, v95, v11 op_sel:[0,1,0]
	v_pk_fma_f16 v53, v54, v94, v92 op_sel_hi:[1,0,1]
	ds_load_2addr_b64 v[90:93], v50 offset0:128 offset1:160
	v_pk_fma_f16 v7, v54, v94, v7 op_sel:[0,1,0]
	v_pk_fma_f16 v94, v54, v95, v103 op_sel_hi:[1,0,1]
	v_pk_fma_f16 v8, v54, v95, v8 op_sel:[0,1,0]
	s_waitcnt lgkmcnt(2)
	v_pk_fma_f16 v12, v98, v96, v12 op_sel_hi:[1,0,1]
	v_pk_fma_f16 v54, v98, v96, v49 op_sel:[0,1,0]
	v_pk_fma_f16 v63, v98, v97, v63 op_sel_hi:[1,0,1]
	v_pk_fma_f16 v95, v98, v97, v51 op_sel:[0,1,0]
	v_pk_fma_f16 v98, v100, v96, v52 op_sel_hi:[1,0,1]
	ds_load_2addr_b64 v[49:52], v50 offset0:192 offset1:224
	v_pk_fma_f16 v64, v99, v96, v64 op_sel_hi:[1,0,1]
	v_pk_fma_f16 v59, v99, v96, v59 op_sel:[0,1,0]
	v_pk_fma_f16 v60, v99, v97, v60 op_sel_hi:[1,0,1]
	v_pk_fma_f16 v10, v99, v97, v10 op_sel:[0,1,0]
	v_pk_fma_f16 v99, v100, v96, v102 op_sel:[0,1,0]
	v_pk_fma_f16 v53, v101, v96, v53 op_sel_hi:[1,0,1]
	v_pk_fma_f16 v7, v101, v96, v7 op_sel:[0,1,0]
	v_pk_fma_f16 v94, v101, v97, v94 op_sel_hi:[1,0,1]
	v_pk_fma_f16 v62, v100, v97, v62 op_sel_hi:[1,0,1]
	v_pk_fma_f16 v11, v100, v97, v11 op_sel:[0,1,0]
	v_pk_fma_f16 v8, v101, v97, v8 op_sel:[0,1,0]
	s_waitcnt lgkmcnt(1)
	v_pk_fma_f16 v12, v90, v55, v12 op_sel_hi:[1,0,1]
	v_pk_fma_f16 v54, v90, v55, v54 op_sel:[0,1,0]
	v_pk_fma_f16 v63, v90, v56, v63 op_sel_hi:[1,0,1]
	v_pk_fma_f16 v90, v90, v56, v95 op_sel:[0,1,0]
	;; [unrolled: 2-line block ×6, first 2 shown]
	v_pk_fma_f16 v55, v93, v56, v94 op_sel_hi:[1,0,1]
	ds_load_2addr_b64 v[94:97], v46 offset1:32
	ds_load_b128 v[98:101], v47 offset:384
	v_pk_fma_f16 v62, v92, v56, v62 op_sel_hi:[1,0,1]
	v_pk_fma_f16 v11, v92, v56, v11 op_sel:[0,1,0]
	v_pk_fma_f16 v8, v93, v56, v8 op_sel:[0,1,0]
	s_waitcnt lgkmcnt(2)
	v_pk_fma_f16 v92, v49, v57, v54 op_sel:[0,1,0]
	v_pk_fma_f16 v93, v51, v57, v102 op_sel:[0,1,0]
	v_pk_fma_f16 v102, v52, v57, v53 op_sel_hi:[1,0,1]
	v_pk_fma_f16 v103, v52, v58, v55 op_sel_hi:[1,0,1]
	ds_load_2addr_b64 v[53:56], v46 offset0:64 offset1:96
	v_pk_fma_f16 v12, v49, v57, v12 op_sel_hi:[1,0,1]
	v_pk_fma_f16 v63, v49, v58, v63 op_sel_hi:[1,0,1]
	v_pk_fma_f16 v90, v49, v58, v90 op_sel:[0,1,0]
	v_pk_fma_f16 v64, v50, v57, v64 op_sel_hi:[1,0,1]
	v_pk_fma_f16 v59, v50, v57, v59 op_sel:[0,1,0]
	;; [unrolled: 2-line block ×3, first 2 shown]
	v_pk_fma_f16 v91, v51, v57, v91 op_sel_hi:[1,0,1]
	v_pk_fma_f16 v62, v51, v58, v62 op_sel_hi:[1,0,1]
	v_pk_fma_f16 v11, v51, v58, v11 op_sel:[0,1,0]
	v_pk_fma_f16 v7, v52, v57, v7 op_sel:[0,1,0]
	;; [unrolled: 1-line block ×3, first 2 shown]
	ds_load_b128 v[49:52], v47 offset:400
	s_waitcnt lgkmcnt(2)
	v_pk_fma_f16 v12, v94, v98, v12 op_sel_hi:[1,0,1]
	v_pk_fma_f16 v92, v94, v98, v92 op_sel:[0,1,0]
	v_pk_fma_f16 v63, v94, v99, v63 op_sel_hi:[1,0,1]
	v_pk_fma_f16 v90, v94, v99, v90 op_sel:[0,1,0]
	;; [unrolled: 2-line block ×5, first 2 shown]
	ds_load_2addr_b64 v[57:60], v46 offset0:128 offset1:160
	v_pk_fma_f16 v62, v96, v99, v62 op_sel_hi:[1,0,1]
	v_pk_fma_f16 v11, v96, v99, v11 op_sel:[0,1,0]
	v_pk_fma_f16 v95, v97, v98, v102 op_sel_hi:[1,0,1]
	v_pk_fma_f16 v7, v97, v98, v7 op_sel:[0,1,0]
	v_pk_fma_f16 v96, v97, v99, v103 op_sel_hi:[1,0,1]
	v_pk_fma_f16 v8, v97, v99, v8 op_sel:[0,1,0]
	s_waitcnt lgkmcnt(2)
	v_pk_fma_f16 v12, v53, v100, v12 op_sel_hi:[1,0,1]
	v_pk_fma_f16 v97, v53, v100, v92 op_sel:[0,1,0]
	v_pk_fma_f16 v63, v53, v101, v63 op_sel_hi:[1,0,1]
	v_pk_fma_f16 v53, v53, v101, v90 op_sel:[0,1,0]
	;; [unrolled: 2-line block ×5, first 2 shown]
	ds_load_2addr_b64 v[90:93], v46 offset0:192 offset1:224
	v_pk_fma_f16 v62, v55, v101, v62 op_sel_hi:[1,0,1]
	v_pk_fma_f16 v11, v55, v101, v11 op_sel:[0,1,0]
	v_pk_fma_f16 v55, v56, v100, v95 op_sel_hi:[1,0,1]
	v_pk_fma_f16 v7, v56, v100, v7 op_sel:[0,1,0]
	;; [unrolled: 2-line block ×3, first 2 shown]
	s_waitcnt lgkmcnt(1)
	v_pk_fma_f16 v12, v57, v49, v12 op_sel_hi:[1,0,1]
	v_pk_fma_f16 v46, v57, v49, v97 op_sel:[0,1,0]
	v_pk_fma_f16 v63, v57, v50, v63 op_sel_hi:[1,0,1]
	v_pk_fma_f16 v57, v57, v50, v53 op_sel:[0,1,0]
	v_pk_fma_f16 v64, v58, v49, v64 op_sel_hi:[1,0,1]
	v_pk_fma_f16 v100, v58, v49, v94 op_sel:[0,1,0]
	v_pk_fma_f16 v98, v58, v50, v98 op_sel_hi:[1,0,1]
	v_pk_fma_f16 v10, v58, v50, v10 op_sel:[0,1,0]
	v_pk_fma_f16 v58, v59, v49, v54 op_sel_hi:[1,0,1]
	v_pk_fma_f16 v99, v59, v49, v99 op_sel:[0,1,0]
	v_pk_fma_f16 v62, v59, v50, v62 op_sel_hi:[1,0,1]
	v_pk_fma_f16 v11, v59, v50, v11 op_sel:[0,1,0]
	v_pk_fma_f16 v59, v60, v49, v55 op_sel_hi:[1,0,1]
	v_pk_fma_f16 v7, v60, v49, v7 op_sel:[0,1,0]
	v_pk_fma_f16 v49, v60, v50, v95 op_sel_hi:[1,0,1]
	ds_load_2addr_b64 v[53:56], v9 offset1:32
	ds_load_b128 v[94:97], v47 offset:416
	v_pk_fma_f16 v8, v60, v50, v8 op_sel:[0,1,0]
	s_waitcnt lgkmcnt(2)
	v_pk_fma_f16 v12, v90, v51, v12 op_sel_hi:[1,0,1]
	v_pk_fma_f16 v46, v90, v51, v46 op_sel:[0,1,0]
	v_pk_fma_f16 v63, v90, v52, v63 op_sel_hi:[1,0,1]
	v_pk_fma_f16 v90, v90, v52, v57 op_sel:[0,1,0]
	;; [unrolled: 2-line block ×6, first 2 shown]
	v_pk_fma_f16 v92, v93, v51, v59 op_sel_hi:[1,0,1]
	ds_load_2addr_b64 v[57:60], v9 offset0:64 offset1:96
	v_pk_fma_f16 v7, v93, v51, v7 op_sel:[0,1,0]
	v_pk_fma_f16 v101, v93, v52, v49 op_sel_hi:[1,0,1]
	v_pk_fma_f16 v8, v93, v52, v8 op_sel:[0,1,0]
	ds_load_b128 v[49:52], v47 offset:432
	s_waitcnt lgkmcnt(2)
	v_pk_fma_f16 v12, v53, v94, v12 op_sel_hi:[1,0,1]
	v_pk_fma_f16 v46, v53, v94, v46 op_sel:[0,1,0]
	v_pk_fma_f16 v63, v53, v95, v63 op_sel_hi:[1,0,1]
	v_pk_fma_f16 v53, v53, v95, v90 op_sel:[0,1,0]
	;; [unrolled: 2-line block ×7, first 2 shown]
	ds_load_2addr_b64 v[90:93], v9 offset0:128 offset1:160
	v_pk_fma_f16 v94, v56, v95, v101 op_sel_hi:[1,0,1]
	v_pk_fma_f16 v56, v56, v95, v8 op_sel:[0,1,0]
	s_waitcnt lgkmcnt(2)
	v_pk_fma_f16 v12, v57, v96, v12 op_sel_hi:[1,0,1]
	v_pk_fma_f16 v46, v57, v96, v46 op_sel:[0,1,0]
	v_pk_fma_f16 v63, v57, v97, v63 op_sel_hi:[1,0,1]
	v_pk_fma_f16 v53, v57, v97, v53 op_sel:[0,1,0]
	;; [unrolled: 2-line block ×6, first 2 shown]
	v_pk_fma_f16 v59, v60, v96, v7 op_sel:[0,1,0]
	ds_load_2addr_b64 v[7:10], v9 offset0:192 offset1:224
	v_pk_fma_f16 v55, v60, v96, v55 op_sel_hi:[1,0,1]
	v_pk_fma_f16 v94, v60, v97, v94 op_sel_hi:[1,0,1]
	v_pk_fma_f16 v96, v60, v97, v56 op_sel:[0,1,0]
	s_waitcnt lgkmcnt(1)
	v_pk_fma_f16 v12, v90, v49, v12 op_sel_hi:[1,0,1]
	v_pk_fma_f16 v46, v90, v49, v46 op_sel:[0,1,0]
	v_pk_fma_f16 v63, v90, v50, v63 op_sel_hi:[1,0,1]
	v_pk_fma_f16 v90, v90, v50, v53 op_sel:[0,1,0]
	;; [unrolled: 2-line block ×7, first 2 shown]
	ds_load_2addr_b64 v[53:56], v6 offset1:32
	ds_load_b128 v[57:60], v47 offset:448
	v_pk_fma_f16 v94, v93, v50, v94 op_sel_hi:[1,0,1]
	v_pk_fma_f16 v50, v93, v50, v96 op_sel:[0,1,0]
	s_waitcnt lgkmcnt(2)
	v_pk_fma_f16 v96, v7, v52, v90 op_sel:[0,1,0]
	v_pk_fma_f16 v100, v8, v52, v91 op_sel:[0,1,0]
	v_pk_fma_f16 v101, v10, v51, v92 op_sel_hi:[1,0,1]
	ds_load_2addr_b64 v[90:93], v6 offset0:64 offset1:96
	v_pk_fma_f16 v12, v7, v51, v12 op_sel_hi:[1,0,1]
	v_pk_fma_f16 v46, v7, v51, v46 op_sel:[0,1,0]
	v_pk_fma_f16 v63, v7, v52, v63 op_sel_hi:[1,0,1]
	v_pk_fma_f16 v97, v8, v51, v97 op_sel_hi:[1,0,1]
	v_pk_fma_f16 v64, v8, v51, v64 op_sel:[0,1,0]
	v_pk_fma_f16 v95, v8, v52, v95 op_sel_hi:[1,0,1]
	;; [unrolled: 3-line block ×3, first 2 shown]
	v_pk_fma_f16 v11, v9, v52, v11 op_sel:[0,1,0]
	v_pk_fma_f16 v49, v10, v51, v49 op_sel:[0,1,0]
	v_pk_fma_f16 v94, v10, v52, v94 op_sel_hi:[1,0,1]
	v_pk_fma_f16 v102, v10, v52, v50 op_sel:[0,1,0]
	ds_load_b128 v[7:10], v47 offset:464
	s_waitcnt lgkmcnt(2)
	v_pk_fma_f16 v12, v53, v57, v12 op_sel_hi:[1,0,1]
	v_pk_fma_f16 v46, v53, v57, v46 op_sel:[0,1,0]
	v_pk_fma_f16 v63, v53, v58, v63 op_sel_hi:[1,0,1]
	v_pk_fma_f16 v53, v53, v58, v96 op_sel:[0,1,0]
	;; [unrolled: 2-line block ×7, first 2 shown]
	ds_load_2addr_b64 v[49:52], v6 offset0:128 offset1:160
	v_pk_fma_f16 v94, v56, v58, v94 op_sel_hi:[1,0,1]
	v_pk_fma_f16 v58, v56, v58, v102 op_sel:[0,1,0]
	s_waitcnt lgkmcnt(2)
	v_pk_fma_f16 v12, v90, v59, v12 op_sel_hi:[1,0,1]
	v_pk_fma_f16 v46, v90, v59, v46 op_sel:[0,1,0]
	v_pk_fma_f16 v63, v90, v60, v63 op_sel_hi:[1,0,1]
	v_pk_fma_f16 v90, v90, v60, v53 op_sel:[0,1,0]
	;; [unrolled: 2-line block ×6, first 2 shown]
	v_pk_fma_f16 v92, v93, v59, v55 op_sel_hi:[1,0,1]
	ds_load_2addr_b64 v[53:56], v6 offset0:192 offset1:224
	v_pk_fma_f16 v57, v93, v59, v57 op_sel:[0,1,0]
	v_pk_fma_f16 v59, v93, v60, v94 op_sel_hi:[1,0,1]
	v_pk_fma_f16 v6, v93, v60, v58 op_sel:[0,1,0]
	s_waitcnt lgkmcnt(1)
	v_pk_fma_f16 v12, v49, v7, v12 op_sel_hi:[1,0,1]
	v_pk_fma_f16 v46, v49, v7, v46 op_sel:[0,1,0]
	v_pk_fma_f16 v63, v49, v8, v63 op_sel_hi:[1,0,1]
	v_pk_fma_f16 v49, v49, v8, v90 op_sel:[0,1,0]
	;; [unrolled: 2-line block ×7, first 2 shown]
	v_pk_fma_f16 v98, v52, v8, v59 op_sel_hi:[1,0,1]
	ds_load_2addr_b64 v[57:60], v5 offset1:32
	ds_load_b128 v[90:93], v47 offset:480
	v_pk_fma_f16 v52, v52, v8, v6 op_sel:[0,1,0]
	s_waitcnt lgkmcnt(2)
	v_pk_fma_f16 v12, v53, v9, v12 op_sel_hi:[1,0,1]
	v_pk_fma_f16 v46, v53, v9, v46 op_sel:[0,1,0]
	v_pk_fma_f16 v63, v53, v10, v63 op_sel_hi:[1,0,1]
	v_pk_fma_f16 v49, v53, v10, v49 op_sel:[0,1,0]
	;; [unrolled: 2-line block ×7, first 2 shown]
	ds_load_2addr_b64 v[6:9], v5 offset0:64 offset1:96
	v_pk_fma_f16 v98, v56, v10, v98 op_sel_hi:[1,0,1]
	v_pk_fma_f16 v10, v56, v10, v52 op_sel:[0,1,0]
	ds_load_b128 v[94:97], v47 offset:496
	s_waitcnt lgkmcnt(2)
	v_pk_fma_f16 v12, v57, v90, v12 op_sel_hi:[1,0,1]
	v_pk_fma_f16 v46, v57, v90, v46 op_sel:[0,1,0]
	v_pk_fma_f16 v56, v57, v91, v63 op_sel_hi:[1,0,1]
	v_pk_fma_f16 v57, v57, v91, v49 op_sel:[0,1,0]
	;; [unrolled: 2-line block ×6, first 2 shown]
	v_pk_fma_f16 v59, v60, v90, v51 op_sel_hi:[1,0,1]
	ds_load_2addr_b64 v[49:52], v5 offset0:128 offset1:160
	v_pk_fma_f16 v55, v60, v90, v55 op_sel:[0,1,0]
	v_pk_fma_f16 v90, v60, v91, v98 op_sel_hi:[1,0,1]
	v_pk_fma_f16 v10, v60, v91, v10 op_sel:[0,1,0]
	s_waitcnt lgkmcnt(2)
	v_pk_fma_f16 v12, v6, v92, v12 op_sel_hi:[1,0,1]
	v_pk_fma_f16 v46, v6, v92, v46 op_sel:[0,1,0]
	v_pk_fma_f16 v56, v6, v93, v56 op_sel_hi:[1,0,1]
	v_pk_fma_f16 v57, v6, v93, v57 op_sel:[0,1,0]
	;; [unrolled: 2-line block ×6, first 2 shown]
	ds_load_2addr_b64 v[5:8], v5 offset0:192 offset1:224
	s_waitcnt lgkmcnt(0)
	s_barrier
	buffer_gl0_inv
	s_load_b32 s21, s[4:5], 0x4
	v_pk_fma_f16 v59, v9, v92, v59 op_sel_hi:[1,0,1]
	v_pk_fma_f16 v55, v9, v92, v55 op_sel:[0,1,0]
	v_pk_fma_f16 v90, v9, v93, v90 op_sel_hi:[1,0,1]
	v_pk_fma_f16 v9, v9, v93, v10 op_sel:[0,1,0]
	;; [unrolled: 2-line block ×10, first 2 shown]
	s_waitcnt lgkmcnt(0)
	s_lshl_b32 s21, s21, 6
	v_pk_fma_f16 v57, v5, v96, v10 op_sel_hi:[1,0,1]
	v_pk_fma_f16 v53, v5, v96, v12 op_sel:[0,1,0]
	v_pk_fma_f16 v46, v5, v97, v46 op_sel_hi:[1,0,1]
	v_pk_fma_f16 v51, v5, v97, v49 op_sel:[0,1,0]
	;; [unrolled: 2-line block ×8, first 2 shown]
	s_add_i32 s12, s21, s12
	s_delay_alu instid0(SALU_CYCLE_1)
	s_cmp_lt_i32 s12, s7
	s_cbranch_scc0 .LBB70_63
; %bb.57:                               ;   in Loop: Header=BB70_8 Depth=1
	v_dual_mov_b32 v91, v1 :: v_dual_mov_b32 v92, v2
	v_dual_mov_b32 v93, v3 :: v_dual_mov_b32 v90, v4
	;; [unrolled: 1-line block ×4, first 2 shown]
	s_branch .LBB70_8
.LBB70_58:                              ;   in Loop: Header=BB70_8 Depth=1
	v_mov_b32_e32 v4, 0
	v_cmp_ngt_f32_e64 s21, 0x3f200000, |v97|
                                        ; implicit-def: $vgpr5
	s_delay_alu instid0(VALU_DEP_1) | instskip(NEXT) | instid1(SALU_CYCLE_1)
	s_and_saveexec_b32 s22, s21
	s_xor_b32 s21, exec_lo, s22
	s_cbranch_execz .LBB70_15
	s_branch .LBB70_14
.LBB70_59:                              ;   in Loop: Header=BB70_8 Depth=1
	v_mov_b32_e32 v97, 0
	v_cmp_ngt_f32_e64 s21, 0x3f200000, |v95|
                                        ; implicit-def: $vgpr102
	s_delay_alu instid0(VALU_DEP_1) | instskip(NEXT) | instid1(SALU_CYCLE_1)
	s_and_saveexec_b32 s22, s21
	s_xor_b32 s21, exec_lo, s22
	s_cbranch_execz .LBB70_27
	s_branch .LBB70_26
.LBB70_60:                              ;   in Loop: Header=BB70_8 Depth=1
	v_mov_b32_e32 v95, 0
	v_cmp_ngt_f32_e64 s21, 0x3f200000, |v72|
                                        ; implicit-def: $vgpr105
	s_delay_alu instid0(VALU_DEP_1) | instskip(NEXT) | instid1(SALU_CYCLE_1)
	s_and_saveexec_b32 s22, s21
	s_xor_b32 s21, exec_lo, s22
	s_cbranch_execz .LBB70_39
	s_branch .LBB70_38
.LBB70_61:                              ;   in Loop: Header=BB70_8 Depth=1
	v_mov_b32_e32 v72, 0
	v_cmp_ngt_f32_e64 s21, 0x3f200000, |v70|
                                        ; implicit-def: $vgpr106
	s_delay_alu instid0(VALU_DEP_1) | instskip(NEXT) | instid1(SALU_CYCLE_1)
	s_and_saveexec_b32 s22, s21
	s_xor_b32 s21, exec_lo, s22
	s_cbranch_execz .LBB70_51
	s_branch .LBB70_50
.LBB70_62:
	s_mov_b32 s45, s44
	s_mov_b32 s46, s44
	;; [unrolled: 1-line block ×3, first 2 shown]
	v_dual_mov_b32 v1, s44 :: v_dual_mov_b32 v2, s45
	v_dual_mov_b32 v3, s46 :: v_dual_mov_b32 v4, s47
	;; [unrolled: 1-line block ×10, first 2 shown]
	v_mov_b32_e32 v52, 0
	v_mov_b32_e32 v50, 0
.LBB70_63:
	s_cmp_gt_i32 s42, s12
	s_cbranch_scc1 .LBB70_65
; %bb.64:
	v_mbcnt_lo_u32_b32 v5, -1, 0
	v_mov_b32_e32 v19, 32
	s_delay_alu instid0(VALU_DEP_2)
	v_xor_b32_e32 v24, 16, v5
	v_xor_b32_e32 v23, 8, v5
	;; [unrolled: 1-line block ×5, first 2 shown]
	s_cbranch_execz .LBB70_66
	s_branch .LBB70_139
.LBB70_65:
                                        ; implicit-def: $vgpr5
                                        ; implicit-def: $vgpr19
                                        ; implicit-def: $vgpr24
                                        ; implicit-def: $vgpr23
                                        ; implicit-def: $vgpr22
                                        ; implicit-def: $vgpr21
                                        ; implicit-def: $vgpr20
.LBB70_66:
	v_lshl_add_u32 v19, v43, 1, v74
	s_mul_hi_i32 s5, s12, s17
	s_mul_i32 s4, s12, s17
	s_sub_i32 s19, s42, s12
	s_lshl_b64 s[4:5], s[4:5], 2
	v_mul_lo_u32 v8, s17, v19
	s_add_u32 s7, s6, s4
	s_mov_b64 s[8:9], src_private_base
	v_dual_mov_b32 v10, 0 :: v_dual_lshlrev_b32 v25, 2, v73
	s_addc_u32 s8, s18, s5
	v_cmp_gt_i32_e64 s6, s19, v19
	s_mov_b32 s20, 0
	s_delay_alu instid0(VALU_DEP_3)
	v_ashrrev_i32_e32 v9, 31, v8
	s_mov_b32 s21, s20
	s_mov_b32 s22, s20
	s_lshl_b32 s5, s17, 4
	v_mad_u32_u24 v20, 0x110, v19, v25
	v_lshlrev_b64 v[5:6], 2, v[8:9]
	v_add_nc_u32_e32 v8, s5, v8
	s_delay_alu instid0(VALU_DEP_2) | instskip(NEXT) | instid1(VALU_DEP_3)
	v_add_co_u32 v5, vcc_lo, s7, v5
	v_add_co_ci_u32_e32 v6, vcc_lo, s8, v6, vcc_lo
	s_delay_alu instid0(VALU_DEP_3) | instskip(NEXT) | instid1(VALU_DEP_3)
	v_ashrrev_i32_e32 v9, 31, v8
	v_add_co_u32 v27, vcc_lo, v5, v25
	s_delay_alu instid0(VALU_DEP_3) | instskip(SKIP_2) | instid1(VALU_DEP_3)
	v_add_co_ci_u32_e32 v28, vcc_lo, 0, v6, vcc_lo
	v_dual_mov_b32 v5, s20 :: v_dual_mov_b32 v6, s21
	v_mov_b32_e32 v7, s22
	v_cndmask_b32_e64 v12, s9, v28, s6
	v_cndmask_b32_e64 v11, 0, v27, s6
	s_clause 0x1
	scratch_store_b32 off, v10, off
	scratch_store_b96 off, v[5:7], off offset:4
	flat_load_b128 v[15:18], v[11:12]
	v_lshlrev_b64 v[11:12], 2, v[8:9]
	s_clause 0x1
	scratch_store_b32 off, v10, off
	scratch_store_b96 off, v[5:7], off offset:4
	v_add_nc_u32_e32 v8, s5, v8
	v_add_co_u32 v9, vcc_lo, s7, v11
	v_add_co_ci_u32_e32 v11, vcc_lo, s8, v12, vcc_lo
	s_delay_alu instid0(VALU_DEP_2) | instskip(SKIP_1) | instid1(VALU_DEP_3)
	v_add_co_u32 v21, vcc_lo, v9, v25
	v_add_nc_u32_e32 v12, 16, v19
	v_add_co_ci_u32_e32 v22, vcc_lo, 0, v11, vcc_lo
	v_ashrrev_i32_e32 v9, 31, v8
	s_delay_alu instid0(VALU_DEP_3) | instskip(SKIP_1) | instid1(VALU_DEP_4)
	v_cmp_gt_i32_e32 vcc_lo, s19, v12
	v_cndmask_b32_e32 v11, 0, v21, vcc_lo
	v_cndmask_b32_e32 v12, s9, v22, vcc_lo
	s_waitcnt vmcnt(0) lgkmcnt(0)
	ds_store_b128 v20, v[15:18]
	flat_load_b128 v[15:18], v[11:12]
	v_lshlrev_b64 v[11:12], 2, v[8:9]
	s_clause 0x1
	scratch_store_b32 off, v10, off
	scratch_store_b96 off, v[5:7], off offset:4
	v_add_co_u32 v9, s4, s7, v11
	s_delay_alu instid0(VALU_DEP_1) | instskip(SKIP_1) | instid1(VALU_DEP_3)
	v_add_co_ci_u32_e64 v11, s4, s8, v12, s4
	v_add_nc_u32_e32 v12, 32, v19
	v_add_co_u32 v23, s4, v9, v25
	s_delay_alu instid0(VALU_DEP_1) | instskip(NEXT) | instid1(VALU_DEP_3)
	v_add_co_ci_u32_e64 v24, s4, 0, v11, s4
	v_cmp_gt_i32_e64 s4, s19, v12
	s_delay_alu instid0(VALU_DEP_1) | instskip(NEXT) | instid1(VALU_DEP_4)
	v_cndmask_b32_e64 v12, s9, v24, s4
	v_cndmask_b32_e64 v11, 0, v23, s4
	s_waitcnt vmcnt(0) lgkmcnt(0)
	ds_store_b128 v20, v[15:18] offset:4352
	flat_load_b128 v[15:18], v[11:12]
	v_add_nc_u32_e32 v11, 48, v19
	v_dual_mov_b32 v19, 0 :: v_dual_add_nc_u32 v8, s5, v8
	s_clause 0x1
	scratch_store_b32 off, v10, off
	scratch_store_b96 off, v[5:7], off offset:4
	v_mov_b32_e32 v12, 0
	v_ashrrev_i32_e32 v9, 31, v8
	s_delay_alu instid0(VALU_DEP_1) | instskip(NEXT) | instid1(VALU_DEP_1)
	v_lshlrev_b64 v[8:9], 2, v[8:9]
	v_add_co_u32 v8, s5, s7, v8
	s_delay_alu instid0(VALU_DEP_1) | instskip(NEXT) | instid1(VALU_DEP_2)
	v_add_co_ci_u32_e64 v9, s5, s8, v9, s5
	v_add_co_u32 v25, s5, v8, v25
	s_delay_alu instid0(VALU_DEP_1) | instskip(SKIP_2) | instid1(VALU_DEP_2)
	v_add_co_ci_u32_e64 v26, s5, 0, v9, s5
	v_cmp_gt_i32_e64 s5, s19, v11
	v_mov_b32_e32 v11, 0
	v_cndmask_b32_e64 v9, s9, v26, s5
	v_cndmask_b32_e64 v8, 0, v25, s5
	s_waitcnt vmcnt(0) lgkmcnt(0)
	ds_store_b128 v20, v[15:18] offset:8704
	flat_load_b128 v[15:18], v[8:9]
	v_dual_mov_b32 v8, 0 :: v_dual_lshlrev_b32 v9, 11, v43
	s_waitcnt vmcnt(0) lgkmcnt(0)
	ds_store_b128 v20, v[15:18] offset:13056
	s_waitcnt lgkmcnt(0)
	s_waitcnt_vscnt null, 0x0
	s_barrier
	buffer_gl0_inv
	ds_load_b128 v[73:76], v68
	ds_load_b128 v[77:80], v9 offset:17408
	ds_load_b128 v[81:84], v9 offset:17920
	ds_load_b128 v[85:88], v9 offset:18432
	ds_load_b128 v[89:92], v9 offset:18944
	ds_load_b128 v[93:96], v68 offset:8704
	v_mov_b32_e32 v18, 0
	v_dual_mov_b32 v16, 0 :: v_dual_mov_b32 v17, 0
	v_mov_b32_e32 v15, 0
	s_waitcnt lgkmcnt(4)
	;;#ASMSTART
	v_dot2_f32_f16 v8, v73, v77, v8
	;;#ASMEND
	;;#ASMSTART
	v_dot2_f32_f16 v8, v74, v78, v8
	;;#ASMEND
	;;#ASMSTART
	v_dot2_f32_f16 v8, v75, v79, v8
	;;#ASMEND
	;;#ASMSTART
	v_dot2_f32_f16 v8, v76, v80, v8
	;;#ASMEND
	s_waitcnt lgkmcnt(3)
	;;#ASMSTART
	v_dot2_f32_f16 v18, v73, v81, v18
	;;#ASMEND
	;;#ASMSTART
	v_dot2_f32_f16 v18, v74, v82, v18
	;;#ASMEND
	;;#ASMSTART
	v_dot2_f32_f16 v18, v75, v83, v18
	;;#ASMEND
	;;#ASMSTART
	v_dot2_f32_f16 v18, v76, v84, v18
	;;#ASMEND
	;; [unrolled: 13-line block ×5, first 2 shown]
	;;#ASMSTART
	v_dot2_f32_f16 v17, v93, v81, v17
	;;#ASMEND
	;;#ASMSTART
	v_dot2_f32_f16 v17, v94, v82, v17
	;;#ASMEND
	;; [unrolled: 3-line block ×12, first 2 shown]
	ds_load_b128 v[73:76], v68 offset:16
	ds_load_b128 v[77:80], v9 offset:17424
	ds_load_b128 v[81:84], v9 offset:17936
	ds_load_b128 v[85:88], v9 offset:18448
	ds_load_b128 v[89:92], v9 offset:18960
	ds_load_b128 v[93:96], v68 offset:8720
	s_waitcnt lgkmcnt(4)
	;;#ASMSTART
	v_dot2_f32_f16 v8, v73, v77, v8
	;;#ASMEND
	;;#ASMSTART
	v_dot2_f32_f16 v8, v74, v78, v8
	;;#ASMEND
	;;#ASMSTART
	v_dot2_f32_f16 v8, v75, v79, v8
	;;#ASMEND
	;;#ASMSTART
	v_dot2_f32_f16 v8, v76, v80, v8
	;;#ASMEND
	s_waitcnt lgkmcnt(3)
	;;#ASMSTART
	v_dot2_f32_f16 v18, v73, v81, v18
	;;#ASMEND
	;;#ASMSTART
	v_dot2_f32_f16 v18, v74, v82, v18
	;;#ASMEND
	;;#ASMSTART
	v_dot2_f32_f16 v18, v75, v83, v18
	;;#ASMEND
	;;#ASMSTART
	v_dot2_f32_f16 v18, v76, v84, v18
	;;#ASMEND
	s_waitcnt lgkmcnt(2)
	;;#ASMSTART
	v_dot2_f32_f16 v16, v73, v85, v16
	;;#ASMEND
	;;#ASMSTART
	v_dot2_f32_f16 v16, v74, v86, v16
	;;#ASMEND
	;;#ASMSTART
	v_dot2_f32_f16 v16, v75, v87, v16
	;;#ASMEND
	;;#ASMSTART
	v_dot2_f32_f16 v16, v76, v88, v16
	;;#ASMEND
	s_waitcnt lgkmcnt(1)
	;;#ASMSTART
	v_dot2_f32_f16 v12, v73, v89, v12
	;;#ASMEND
	;;#ASMSTART
	v_dot2_f32_f16 v12, v74, v90, v12
	;;#ASMEND
	;;#ASMSTART
	v_dot2_f32_f16 v12, v75, v91, v12
	;;#ASMEND
	;;#ASMSTART
	v_dot2_f32_f16 v12, v76, v92, v12
	;;#ASMEND
	s_waitcnt lgkmcnt(0)
	;;#ASMSTART
	v_dot2_f32_f16 v19, v93, v77, v19
	;;#ASMEND
	;;#ASMSTART
	v_dot2_f32_f16 v19, v94, v78, v19
	;;#ASMEND
	;;#ASMSTART
	v_dot2_f32_f16 v19, v95, v79, v19
	;;#ASMEND
	;;#ASMSTART
	v_dot2_f32_f16 v19, v96, v80, v19
	;;#ASMEND
	;;#ASMSTART
	v_dot2_f32_f16 v17, v93, v81, v17
	;;#ASMEND
	;;#ASMSTART
	v_dot2_f32_f16 v17, v94, v82, v17
	;;#ASMEND
	;; [unrolled: 3-line block ×12, first 2 shown]
	ds_load_b128 v[73:76], v68 offset:32
	ds_load_b128 v[77:80], v9 offset:17440
	;; [unrolled: 1-line block ×6, first 2 shown]
	s_waitcnt lgkmcnt(4)
	;;#ASMSTART
	v_dot2_f32_f16 v8, v73, v77, v8
	;;#ASMEND
	;;#ASMSTART
	v_dot2_f32_f16 v8, v74, v78, v8
	;;#ASMEND
	;;#ASMSTART
	v_dot2_f32_f16 v8, v75, v79, v8
	;;#ASMEND
	;;#ASMSTART
	v_dot2_f32_f16 v8, v76, v80, v8
	;;#ASMEND
	s_waitcnt lgkmcnt(3)
	;;#ASMSTART
	v_dot2_f32_f16 v18, v73, v81, v18
	;;#ASMEND
	;;#ASMSTART
	v_dot2_f32_f16 v18, v74, v82, v18
	;;#ASMEND
	;;#ASMSTART
	v_dot2_f32_f16 v18, v75, v83, v18
	;;#ASMEND
	;;#ASMSTART
	v_dot2_f32_f16 v18, v76, v84, v18
	;;#ASMEND
	;; [unrolled: 13-line block ×5, first 2 shown]
	;;#ASMSTART
	v_dot2_f32_f16 v17, v93, v81, v17
	;;#ASMEND
	;;#ASMSTART
	v_dot2_f32_f16 v17, v94, v82, v17
	;;#ASMEND
	;; [unrolled: 3-line block ×12, first 2 shown]
	ds_load_b128 v[73:76], v68 offset:48
	ds_load_b128 v[77:80], v9 offset:17456
	;; [unrolled: 1-line block ×6, first 2 shown]
	s_waitcnt lgkmcnt(4)
	;;#ASMSTART
	v_dot2_f32_f16 v8, v73, v77, v8
	;;#ASMEND
	;;#ASMSTART
	v_dot2_f32_f16 v8, v74, v78, v8
	;;#ASMEND
	;;#ASMSTART
	v_dot2_f32_f16 v8, v75, v79, v8
	;;#ASMEND
	;;#ASMSTART
	v_dot2_f32_f16 v8, v76, v80, v8
	;;#ASMEND
	s_waitcnt lgkmcnt(3)
	;;#ASMSTART
	v_dot2_f32_f16 v18, v73, v81, v18
	;;#ASMEND
	;;#ASMSTART
	v_dot2_f32_f16 v18, v74, v82, v18
	;;#ASMEND
	;;#ASMSTART
	v_dot2_f32_f16 v18, v75, v83, v18
	;;#ASMEND
	;;#ASMSTART
	v_dot2_f32_f16 v18, v76, v84, v18
	;;#ASMEND
	;; [unrolled: 13-line block ×5, first 2 shown]
	;;#ASMSTART
	v_dot2_f32_f16 v17, v93, v81, v17
	;;#ASMEND
	;;#ASMSTART
	v_dot2_f32_f16 v17, v94, v82, v17
	;;#ASMEND
	;; [unrolled: 3-line block ×12, first 2 shown]
	ds_load_b128 v[73:76], v68 offset:64
	ds_load_b128 v[77:80], v9 offset:17472
	;; [unrolled: 1-line block ×6, first 2 shown]
	s_waitcnt lgkmcnt(4)
	;;#ASMSTART
	v_dot2_f32_f16 v8, v73, v77, v8
	;;#ASMEND
	;;#ASMSTART
	v_dot2_f32_f16 v8, v74, v78, v8
	;;#ASMEND
	;;#ASMSTART
	v_dot2_f32_f16 v8, v75, v79, v8
	;;#ASMEND
	;;#ASMSTART
	v_dot2_f32_f16 v8, v76, v80, v8
	;;#ASMEND
	s_waitcnt lgkmcnt(3)
	;;#ASMSTART
	v_dot2_f32_f16 v18, v73, v81, v18
	;;#ASMEND
	;;#ASMSTART
	v_dot2_f32_f16 v18, v74, v82, v18
	;;#ASMEND
	;;#ASMSTART
	v_dot2_f32_f16 v18, v75, v83, v18
	;;#ASMEND
	;;#ASMSTART
	v_dot2_f32_f16 v18, v76, v84, v18
	;;#ASMEND
	;; [unrolled: 13-line block ×5, first 2 shown]
	;;#ASMSTART
	v_dot2_f32_f16 v17, v93, v81, v17
	;;#ASMEND
	;;#ASMSTART
	v_dot2_f32_f16 v17, v94, v82, v17
	;;#ASMEND
	;; [unrolled: 3-line block ×12, first 2 shown]
	ds_load_b128 v[73:76], v68 offset:80
	ds_load_b128 v[77:80], v9 offset:17488
	;; [unrolled: 1-line block ×6, first 2 shown]
	s_waitcnt lgkmcnt(4)
	;;#ASMSTART
	v_dot2_f32_f16 v8, v73, v77, v8
	;;#ASMEND
	;;#ASMSTART
	v_dot2_f32_f16 v8, v74, v78, v8
	;;#ASMEND
	;;#ASMSTART
	v_dot2_f32_f16 v8, v75, v79, v8
	;;#ASMEND
	;;#ASMSTART
	v_dot2_f32_f16 v8, v76, v80, v8
	;;#ASMEND
	s_waitcnt lgkmcnt(3)
	;;#ASMSTART
	v_dot2_f32_f16 v18, v73, v81, v18
	;;#ASMEND
	;;#ASMSTART
	v_dot2_f32_f16 v18, v74, v82, v18
	;;#ASMEND
	;;#ASMSTART
	v_dot2_f32_f16 v18, v75, v83, v18
	;;#ASMEND
	;;#ASMSTART
	v_dot2_f32_f16 v18, v76, v84, v18
	;;#ASMEND
	;; [unrolled: 13-line block ×5, first 2 shown]
	;;#ASMSTART
	v_dot2_f32_f16 v17, v93, v81, v17
	;;#ASMEND
	;;#ASMSTART
	v_dot2_f32_f16 v17, v94, v82, v17
	;;#ASMEND
	;; [unrolled: 3-line block ×12, first 2 shown]
	ds_load_b128 v[73:76], v68 offset:96
	ds_load_b128 v[77:80], v9 offset:17504
	;; [unrolled: 1-line block ×6, first 2 shown]
	s_waitcnt lgkmcnt(4)
	;;#ASMSTART
	v_dot2_f32_f16 v8, v73, v77, v8
	;;#ASMEND
	;;#ASMSTART
	v_dot2_f32_f16 v8, v74, v78, v8
	;;#ASMEND
	;;#ASMSTART
	v_dot2_f32_f16 v8, v75, v79, v8
	;;#ASMEND
	;;#ASMSTART
	v_dot2_f32_f16 v8, v76, v80, v8
	;;#ASMEND
	s_waitcnt lgkmcnt(3)
	;;#ASMSTART
	v_dot2_f32_f16 v18, v73, v81, v18
	;;#ASMEND
	;;#ASMSTART
	v_dot2_f32_f16 v18, v74, v82, v18
	;;#ASMEND
	;;#ASMSTART
	v_dot2_f32_f16 v18, v75, v83, v18
	;;#ASMEND
	;;#ASMSTART
	v_dot2_f32_f16 v18, v76, v84, v18
	;;#ASMEND
	s_waitcnt lgkmcnt(2)
	;;#ASMSTART
	v_dot2_f32_f16 v16, v73, v85, v16
	;;#ASMEND
	;;#ASMSTART
	v_dot2_f32_f16 v16, v74, v86, v16
	;;#ASMEND
	;;#ASMSTART
	v_dot2_f32_f16 v16, v75, v87, v16
	;;#ASMEND
	;;#ASMSTART
	v_dot2_f32_f16 v16, v76, v88, v16
	;;#ASMEND
	s_waitcnt lgkmcnt(1)
	;;#ASMSTART
	v_dot2_f32_f16 v12, v73, v89, v12
	;;#ASMEND
	;;#ASMSTART
	v_dot2_f32_f16 v12, v74, v90, v12
	;;#ASMEND
	;;#ASMSTART
	v_dot2_f32_f16 v12, v75, v91, v12
	;;#ASMEND
	;;#ASMSTART
	v_dot2_f32_f16 v12, v76, v92, v12
	;;#ASMEND
	s_waitcnt lgkmcnt(0)
	;;#ASMSTART
	v_dot2_f32_f16 v19, v93, v77, v19
	;;#ASMEND
	;;#ASMSTART
	v_dot2_f32_f16 v19, v94, v78, v19
	;;#ASMEND
	;;#ASMSTART
	v_dot2_f32_f16 v19, v95, v79, v19
	;;#ASMEND
	;;#ASMSTART
	v_dot2_f32_f16 v19, v96, v80, v19
	;;#ASMEND
	;;#ASMSTART
	v_dot2_f32_f16 v17, v93, v81, v17
	;;#ASMEND
	;;#ASMSTART
	v_dot2_f32_f16 v17, v94, v82, v17
	;;#ASMEND
	;; [unrolled: 3-line block ×12, first 2 shown]
	ds_load_b128 v[73:76], v68 offset:112
	ds_load_b128 v[77:80], v9 offset:17520
	;; [unrolled: 1-line block ×6, first 2 shown]
	s_waitcnt lgkmcnt(4)
	;;#ASMSTART
	v_dot2_f32_f16 v8, v73, v77, v8
	;;#ASMEND
	;;#ASMSTART
	v_dot2_f32_f16 v8, v74, v78, v8
	;;#ASMEND
	;;#ASMSTART
	v_dot2_f32_f16 v8, v75, v79, v8
	;;#ASMEND
	;;#ASMSTART
	v_dot2_f32_f16 v8, v76, v80, v8
	;;#ASMEND
	s_waitcnt lgkmcnt(3)
	;;#ASMSTART
	v_dot2_f32_f16 v18, v73, v81, v18
	;;#ASMEND
	;;#ASMSTART
	v_dot2_f32_f16 v18, v74, v82, v18
	;;#ASMEND
	;;#ASMSTART
	v_dot2_f32_f16 v18, v75, v83, v18
	;;#ASMEND
	;;#ASMSTART
	v_dot2_f32_f16 v18, v76, v84, v18
	;;#ASMEND
	;; [unrolled: 13-line block ×5, first 2 shown]
	;;#ASMSTART
	v_dot2_f32_f16 v17, v93, v81, v17
	;;#ASMEND
	;;#ASMSTART
	v_dot2_f32_f16 v17, v94, v82, v17
	;;#ASMEND
	;; [unrolled: 3-line block ×12, first 2 shown]
	ds_load_b128 v[73:76], v68 offset:128
	ds_load_b128 v[77:80], v9 offset:17536
	;; [unrolled: 1-line block ×6, first 2 shown]
	s_waitcnt lgkmcnt(4)
	;;#ASMSTART
	v_dot2_f32_f16 v8, v73, v77, v8
	;;#ASMEND
	;;#ASMSTART
	v_dot2_f32_f16 v8, v74, v78, v8
	;;#ASMEND
	;;#ASMSTART
	v_dot2_f32_f16 v8, v75, v79, v8
	;;#ASMEND
	;;#ASMSTART
	v_dot2_f32_f16 v8, v76, v80, v8
	;;#ASMEND
	s_waitcnt lgkmcnt(3)
	;;#ASMSTART
	v_dot2_f32_f16 v18, v73, v81, v18
	;;#ASMEND
	;;#ASMSTART
	v_dot2_f32_f16 v18, v74, v82, v18
	;;#ASMEND
	;;#ASMSTART
	v_dot2_f32_f16 v18, v75, v83, v18
	;;#ASMEND
	;;#ASMSTART
	v_dot2_f32_f16 v18, v76, v84, v18
	;;#ASMEND
	;; [unrolled: 13-line block ×5, first 2 shown]
	;;#ASMSTART
	v_dot2_f32_f16 v17, v93, v81, v17
	;;#ASMEND
	;;#ASMSTART
	v_dot2_f32_f16 v17, v94, v82, v17
	;;#ASMEND
	;; [unrolled: 3-line block ×12, first 2 shown]
	ds_load_b128 v[73:76], v68 offset:144
	ds_load_b128 v[77:80], v9 offset:17552
	;; [unrolled: 1-line block ×6, first 2 shown]
	s_waitcnt lgkmcnt(4)
	;;#ASMSTART
	v_dot2_f32_f16 v8, v73, v77, v8
	;;#ASMEND
	;;#ASMSTART
	v_dot2_f32_f16 v8, v74, v78, v8
	;;#ASMEND
	;;#ASMSTART
	v_dot2_f32_f16 v8, v75, v79, v8
	;;#ASMEND
	;;#ASMSTART
	v_dot2_f32_f16 v8, v76, v80, v8
	;;#ASMEND
	s_waitcnt lgkmcnt(3)
	;;#ASMSTART
	v_dot2_f32_f16 v18, v73, v81, v18
	;;#ASMEND
	;;#ASMSTART
	v_dot2_f32_f16 v18, v74, v82, v18
	;;#ASMEND
	;;#ASMSTART
	v_dot2_f32_f16 v18, v75, v83, v18
	;;#ASMEND
	;;#ASMSTART
	v_dot2_f32_f16 v18, v76, v84, v18
	;;#ASMEND
	s_waitcnt lgkmcnt(2)
	;;#ASMSTART
	v_dot2_f32_f16 v16, v73, v85, v16
	;;#ASMEND
	;;#ASMSTART
	v_dot2_f32_f16 v16, v74, v86, v16
	;;#ASMEND
	;;#ASMSTART
	v_dot2_f32_f16 v16, v75, v87, v16
	;;#ASMEND
	;;#ASMSTART
	v_dot2_f32_f16 v16, v76, v88, v16
	;;#ASMEND
	s_waitcnt lgkmcnt(1)
	;;#ASMSTART
	v_dot2_f32_f16 v12, v73, v89, v12
	;;#ASMEND
	;;#ASMSTART
	v_dot2_f32_f16 v12, v74, v90, v12
	;;#ASMEND
	;;#ASMSTART
	v_dot2_f32_f16 v12, v75, v91, v12
	;;#ASMEND
	;;#ASMSTART
	v_dot2_f32_f16 v12, v76, v92, v12
	;;#ASMEND
	s_waitcnt lgkmcnt(0)
	;;#ASMSTART
	v_dot2_f32_f16 v19, v93, v77, v19
	;;#ASMEND
	;;#ASMSTART
	v_dot2_f32_f16 v19, v94, v78, v19
	;;#ASMEND
	;;#ASMSTART
	v_dot2_f32_f16 v19, v95, v79, v19
	;;#ASMEND
	;;#ASMSTART
	v_dot2_f32_f16 v19, v96, v80, v19
	;;#ASMEND
	;;#ASMSTART
	v_dot2_f32_f16 v17, v93, v81, v17
	;;#ASMEND
	;;#ASMSTART
	v_dot2_f32_f16 v17, v94, v82, v17
	;;#ASMEND
	;; [unrolled: 3-line block ×12, first 2 shown]
	ds_load_b128 v[73:76], v68 offset:160
	ds_load_b128 v[77:80], v9 offset:17568
	;; [unrolled: 1-line block ×6, first 2 shown]
	s_waitcnt lgkmcnt(4)
	;;#ASMSTART
	v_dot2_f32_f16 v8, v73, v77, v8
	;;#ASMEND
	;;#ASMSTART
	v_dot2_f32_f16 v8, v74, v78, v8
	;;#ASMEND
	;;#ASMSTART
	v_dot2_f32_f16 v8, v75, v79, v8
	;;#ASMEND
	;;#ASMSTART
	v_dot2_f32_f16 v8, v76, v80, v8
	;;#ASMEND
	s_waitcnt lgkmcnt(3)
	;;#ASMSTART
	v_dot2_f32_f16 v18, v73, v81, v18
	;;#ASMEND
	;;#ASMSTART
	v_dot2_f32_f16 v18, v74, v82, v18
	;;#ASMEND
	;;#ASMSTART
	v_dot2_f32_f16 v18, v75, v83, v18
	;;#ASMEND
	;;#ASMSTART
	v_dot2_f32_f16 v18, v76, v84, v18
	;;#ASMEND
	;; [unrolled: 13-line block ×5, first 2 shown]
	;;#ASMSTART
	v_dot2_f32_f16 v17, v93, v81, v17
	;;#ASMEND
	;;#ASMSTART
	v_dot2_f32_f16 v17, v94, v82, v17
	;;#ASMEND
	;; [unrolled: 3-line block ×12, first 2 shown]
	ds_load_b128 v[73:76], v68 offset:176
	ds_load_b128 v[77:80], v9 offset:17584
	;; [unrolled: 1-line block ×6, first 2 shown]
	s_waitcnt lgkmcnt(4)
	;;#ASMSTART
	v_dot2_f32_f16 v8, v73, v77, v8
	;;#ASMEND
	;;#ASMSTART
	v_dot2_f32_f16 v8, v74, v78, v8
	;;#ASMEND
	;;#ASMSTART
	v_dot2_f32_f16 v8, v75, v79, v8
	;;#ASMEND
	;;#ASMSTART
	v_dot2_f32_f16 v8, v76, v80, v8
	;;#ASMEND
	s_waitcnt lgkmcnt(3)
	;;#ASMSTART
	v_dot2_f32_f16 v18, v73, v81, v18
	;;#ASMEND
	;;#ASMSTART
	v_dot2_f32_f16 v18, v74, v82, v18
	;;#ASMEND
	;;#ASMSTART
	v_dot2_f32_f16 v18, v75, v83, v18
	;;#ASMEND
	;;#ASMSTART
	v_dot2_f32_f16 v18, v76, v84, v18
	;;#ASMEND
	s_waitcnt lgkmcnt(2)
	;;#ASMSTART
	v_dot2_f32_f16 v16, v73, v85, v16
	;;#ASMEND
	;;#ASMSTART
	v_dot2_f32_f16 v16, v74, v86, v16
	;;#ASMEND
	;;#ASMSTART
	v_dot2_f32_f16 v16, v75, v87, v16
	;;#ASMEND
	;;#ASMSTART
	v_dot2_f32_f16 v16, v76, v88, v16
	;;#ASMEND
	s_waitcnt lgkmcnt(1)
	;;#ASMSTART
	v_dot2_f32_f16 v12, v73, v89, v12
	;;#ASMEND
	;;#ASMSTART
	v_dot2_f32_f16 v12, v74, v90, v12
	;;#ASMEND
	;;#ASMSTART
	v_dot2_f32_f16 v12, v75, v91, v12
	;;#ASMEND
	;;#ASMSTART
	v_dot2_f32_f16 v12, v76, v92, v12
	;;#ASMEND
	s_waitcnt lgkmcnt(0)
	;;#ASMSTART
	v_dot2_f32_f16 v19, v93, v77, v19
	;;#ASMEND
	;;#ASMSTART
	v_dot2_f32_f16 v19, v94, v78, v19
	;;#ASMEND
	;;#ASMSTART
	v_dot2_f32_f16 v19, v95, v79, v19
	;;#ASMEND
	;;#ASMSTART
	v_dot2_f32_f16 v19, v96, v80, v19
	;;#ASMEND
	;;#ASMSTART
	v_dot2_f32_f16 v17, v93, v81, v17
	;;#ASMEND
	;;#ASMSTART
	v_dot2_f32_f16 v17, v94, v82, v17
	;;#ASMEND
	;;#ASMSTART
	v_dot2_f32_f16 v17, v95, v83, v17
	;;#ASMEND
	;;#ASMSTART
	v_dot2_f32_f16 v17, v96, v84, v17
	;;#ASMEND
	;;#ASMSTART
	v_dot2_f32_f16 v15, v93, v85, v15
	;;#ASMEND
	;;#ASMSTART
	v_dot2_f32_f16 v15, v94, v86, v15
	;;#ASMEND
	;;#ASMSTART
	v_dot2_f32_f16 v15, v95, v87, v15
	;;#ASMEND
	;;#ASMSTART
	v_dot2_f32_f16 v15, v96, v88, v15
	;;#ASMEND
	;;#ASMSTART
	v_dot2_f32_f16 v11, v93, v89, v11
	;;#ASMEND
	;;#ASMSTART
	v_dot2_f32_f16 v11, v94, v90, v11
	;;#ASMEND
	;;#ASMSTART
	v_dot2_f32_f16 v11, v95, v91, v11
	;;#ASMEND
	;;#ASMSTART
	v_dot2_f32_f16 v11, v96, v92, v11
	;;#ASMEND
	ds_load_b128 v[73:76], v68 offset:192
	ds_load_b128 v[77:80], v9 offset:17600
	;; [unrolled: 1-line block ×6, first 2 shown]
	s_waitcnt lgkmcnt(4)
	;;#ASMSTART
	v_dot2_f32_f16 v8, v73, v77, v8
	;;#ASMEND
	;;#ASMSTART
	v_dot2_f32_f16 v8, v74, v78, v8
	;;#ASMEND
	;;#ASMSTART
	v_dot2_f32_f16 v8, v75, v79, v8
	;;#ASMEND
	;;#ASMSTART
	v_dot2_f32_f16 v8, v76, v80, v8
	;;#ASMEND
	s_waitcnt lgkmcnt(3)
	;;#ASMSTART
	v_dot2_f32_f16 v18, v73, v81, v18
	;;#ASMEND
	;;#ASMSTART
	v_dot2_f32_f16 v18, v74, v82, v18
	;;#ASMEND
	;;#ASMSTART
	v_dot2_f32_f16 v18, v75, v83, v18
	;;#ASMEND
	;;#ASMSTART
	v_dot2_f32_f16 v18, v76, v84, v18
	;;#ASMEND
	;; [unrolled: 13-line block ×5, first 2 shown]
	;;#ASMSTART
	v_dot2_f32_f16 v17, v93, v81, v17
	;;#ASMEND
	;;#ASMSTART
	v_dot2_f32_f16 v17, v94, v82, v17
	;;#ASMEND
	;; [unrolled: 3-line block ×12, first 2 shown]
	ds_load_b128 v[73:76], v68 offset:208
	ds_load_b128 v[77:80], v9 offset:17616
	;; [unrolled: 1-line block ×6, first 2 shown]
	s_waitcnt lgkmcnt(4)
	;;#ASMSTART
	v_dot2_f32_f16 v8, v73, v77, v8
	;;#ASMEND
	;;#ASMSTART
	v_dot2_f32_f16 v8, v74, v78, v8
	;;#ASMEND
	;;#ASMSTART
	v_dot2_f32_f16 v8, v75, v79, v8
	;;#ASMEND
	;;#ASMSTART
	v_dot2_f32_f16 v8, v76, v80, v8
	;;#ASMEND
	s_waitcnt lgkmcnt(3)
	;;#ASMSTART
	v_dot2_f32_f16 v18, v73, v81, v18
	;;#ASMEND
	;;#ASMSTART
	v_dot2_f32_f16 v18, v74, v82, v18
	;;#ASMEND
	;;#ASMSTART
	v_dot2_f32_f16 v18, v75, v83, v18
	;;#ASMEND
	;;#ASMSTART
	v_dot2_f32_f16 v18, v76, v84, v18
	;;#ASMEND
	;; [unrolled: 13-line block ×5, first 2 shown]
	;;#ASMSTART
	v_dot2_f32_f16 v17, v93, v81, v17
	;;#ASMEND
	;;#ASMSTART
	v_dot2_f32_f16 v17, v94, v82, v17
	;;#ASMEND
	;; [unrolled: 3-line block ×12, first 2 shown]
	ds_load_b128 v[73:76], v68 offset:224
	ds_load_b128 v[77:80], v9 offset:17632
	;; [unrolled: 1-line block ×6, first 2 shown]
	s_waitcnt lgkmcnt(4)
	;;#ASMSTART
	v_dot2_f32_f16 v8, v73, v77, v8
	;;#ASMEND
	;;#ASMSTART
	v_dot2_f32_f16 v8, v74, v78, v8
	;;#ASMEND
	;;#ASMSTART
	v_dot2_f32_f16 v8, v75, v79, v8
	;;#ASMEND
	;;#ASMSTART
	v_dot2_f32_f16 v8, v76, v80, v8
	;;#ASMEND
	s_waitcnt lgkmcnt(3)
	;;#ASMSTART
	v_dot2_f32_f16 v18, v73, v81, v18
	;;#ASMEND
	;;#ASMSTART
	v_dot2_f32_f16 v18, v74, v82, v18
	;;#ASMEND
	;;#ASMSTART
	v_dot2_f32_f16 v18, v75, v83, v18
	;;#ASMEND
	;;#ASMSTART
	v_dot2_f32_f16 v18, v76, v84, v18
	;;#ASMEND
	;; [unrolled: 13-line block ×5, first 2 shown]
	;;#ASMSTART
	v_dot2_f32_f16 v17, v93, v81, v17
	;;#ASMEND
	;;#ASMSTART
	v_dot2_f32_f16 v17, v94, v82, v17
	;;#ASMEND
	;;#ASMSTART
	v_dot2_f32_f16 v17, v95, v83, v17
	;;#ASMEND
	;;#ASMSTART
	v_dot2_f32_f16 v17, v96, v84, v17
	;;#ASMEND
	;;#ASMSTART
	v_dot2_f32_f16 v15, v93, v85, v15
	;;#ASMEND
	;;#ASMSTART
	v_dot2_f32_f16 v15, v94, v86, v15
	;;#ASMEND
	;;#ASMSTART
	v_dot2_f32_f16 v15, v95, v87, v15
	;;#ASMEND
	;;#ASMSTART
	v_dot2_f32_f16 v15, v96, v88, v15
	;;#ASMEND
	;;#ASMSTART
	v_dot2_f32_f16 v11, v93, v89, v11
	;;#ASMEND
	;;#ASMSTART
	v_dot2_f32_f16 v11, v94, v90, v11
	;;#ASMEND
	;;#ASMSTART
	v_dot2_f32_f16 v11, v95, v91, v11
	;;#ASMEND
	;;#ASMSTART
	v_dot2_f32_f16 v11, v96, v92, v11
	;;#ASMEND
	ds_load_b128 v[73:76], v68 offset:240
	ds_load_b128 v[77:80], v9 offset:17648
	;; [unrolled: 1-line block ×5, first 2 shown]
	v_add_co_u32 v93, s7, 0x100, v27
	s_delay_alu instid0(VALU_DEP_1)
	v_add_co_ci_u32_e64 v94, s7, 0, v28, s7
	ds_load_b128 v[27:30], v68 offset:8944
	s_waitcnt lgkmcnt(4)
	;;#ASMSTART
	v_dot2_f32_f16 v8, v73, v77, v8
	;;#ASMEND
	;;#ASMSTART
	v_dot2_f32_f16 v8, v74, v78, v8
	;;#ASMEND
	;;#ASMSTART
	v_dot2_f32_f16 v8, v75, v79, v8
	;;#ASMEND
	;;#ASMSTART
	v_dot2_f32_f16 v8, v76, v80, v8
	;;#ASMEND
	s_waitcnt lgkmcnt(3)
	;;#ASMSTART
	v_dot2_f32_f16 v18, v73, v81, v18
	;;#ASMEND
	;;#ASMSTART
	v_dot2_f32_f16 v18, v74, v82, v18
	;;#ASMEND
	;;#ASMSTART
	v_dot2_f32_f16 v18, v75, v83, v18
	;;#ASMEND
	;;#ASMSTART
	v_dot2_f32_f16 v18, v76, v84, v18
	;;#ASMEND
	;; [unrolled: 13-line block ×5, first 2 shown]
	;;#ASMSTART
	v_dot2_f32_f16 v17, v27, v81, v17
	;;#ASMEND
	;;#ASMSTART
	v_dot2_f32_f16 v17, v28, v82, v17
	;;#ASMEND
	;;#ASMSTART
	v_dot2_f32_f16 v17, v29, v83, v17
	;;#ASMEND
	;;#ASMSTART
	v_dot2_f32_f16 v17, v30, v84, v17
	;;#ASMEND
	;;#ASMSTART
	v_dot2_f32_f16 v15, v27, v85, v15
	;;#ASMEND
	;;#ASMSTART
	v_dot2_f32_f16 v15, v28, v86, v15
	;;#ASMEND
	v_cndmask_b32_e64 v94, s9, v94, s6
	v_cndmask_b32_e64 v93, 0, v93, s6
	;;#ASMSTART
	v_dot2_f32_f16 v15, v29, v87, v15
	;;#ASMEND
	;;#ASMSTART
	v_dot2_f32_f16 v15, v30, v88, v15
	;;#ASMEND
	;; [unrolled: 3-line block ×6, first 2 shown]
	s_barrier
	buffer_gl0_inv
	s_clause 0x1
	scratch_store_b32 off, v10, off
	scratch_store_b96 off, v[5:7], off offset:4
	flat_load_b128 v[27:30], v[93:94]
	v_add_co_u32 v21, s6, 0x100, v21
	s_delay_alu instid0(VALU_DEP_1)
	v_add_co_ci_u32_e64 v22, s6, 0, v22, s6
	s_clause 0x1
	scratch_store_b32 off, v10, off
	scratch_store_b96 off, v[5:7], off offset:4
	v_cndmask_b32_e32 v21, 0, v21, vcc_lo
	v_cndmask_b32_e32 v22, s9, v22, vcc_lo
	s_waitcnt vmcnt(0) lgkmcnt(0)
	ds_store_b128 v20, v[27:30]
	flat_load_b128 v[27:30], v[21:22]
	v_add_co_u32 v21, vcc_lo, 0x100, v23
	v_add_co_ci_u32_e32 v22, vcc_lo, 0, v24, vcc_lo
	s_clause 0x1
	scratch_store_b32 off, v10, off
	scratch_store_b96 off, v[5:7], off offset:4
	v_cndmask_b32_e64 v21, 0, v21, s4
	v_add_co_u32 v25, vcc_lo, 0x100, v25
	v_cndmask_b32_e64 v22, s9, v22, s4
	v_add_co_ci_u32_e32 v26, vcc_lo, 0, v26, vcc_lo
	s_delay_alu instid0(VALU_DEP_3) | instskip(NEXT) | instid1(VALU_DEP_2)
	v_cndmask_b32_e64 v25, 0, v25, s5
	v_cndmask_b32_e64 v26, s9, v26, s5
	s_waitcnt vmcnt(0) lgkmcnt(0)
	ds_store_b128 v20, v[27:30] offset:4352
	flat_load_b128 v[21:24], v[21:22]
	s_clause 0x1
	scratch_store_b32 off, v10, off
	scratch_store_b96 off, v[5:7], off offset:4
                                        ; implicit-def: $vgpr5
	s_waitcnt vmcnt(0) lgkmcnt(0)
	ds_store_b128 v20, v[21:24] offset:8704
	flat_load_b128 v[21:24], v[25:26]
	s_waitcnt vmcnt(0) lgkmcnt(0)
	ds_store_b128 v20, v[21:24] offset:13056
	s_waitcnt lgkmcnt(0)
	s_waitcnt_vscnt null, 0x0
	s_barrier
	buffer_gl0_inv
	ds_load_b128 v[20:23], v68
	ds_load_b128 v[24:27], v9 offset:17664
	ds_load_b128 v[73:76], v9 offset:18176
	ds_load_b128 v[77:80], v9 offset:18688
	ds_load_b128 v[81:84], v9 offset:19200
	ds_load_b128 v[85:88], v68 offset:8704
	s_waitcnt lgkmcnt(4)
	;;#ASMSTART
	v_dot2_f32_f16 v8, v20, v24, v8
	;;#ASMEND
	;;#ASMSTART
	v_dot2_f32_f16 v8, v21, v25, v8
	;;#ASMEND
	;;#ASMSTART
	v_dot2_f32_f16 v8, v22, v26, v8
	;;#ASMEND
	;;#ASMSTART
	v_dot2_f32_f16 v8, v23, v27, v8
	;;#ASMEND
	s_waitcnt lgkmcnt(3)
	;;#ASMSTART
	v_dot2_f32_f16 v18, v20, v73, v18
	;;#ASMEND
	;;#ASMSTART
	v_dot2_f32_f16 v18, v21, v74, v18
	;;#ASMEND
	;;#ASMSTART
	v_dot2_f32_f16 v18, v22, v75, v18
	;;#ASMEND
	;;#ASMSTART
	v_dot2_f32_f16 v18, v23, v76, v18
	;;#ASMEND
	;; [unrolled: 13-line block ×5, first 2 shown]
	;;#ASMSTART
	v_dot2_f32_f16 v17, v85, v73, v17
	;;#ASMEND
	;;#ASMSTART
	v_dot2_f32_f16 v17, v86, v74, v17
	;;#ASMEND
	;; [unrolled: 3-line block ×12, first 2 shown]
	ds_load_b128 v[20:23], v68 offset:16
	ds_load_b128 v[24:27], v9 offset:17680
	;; [unrolled: 1-line block ×6, first 2 shown]
	s_waitcnt lgkmcnt(4)
	;;#ASMSTART
	v_dot2_f32_f16 v8, v20, v24, v8
	;;#ASMEND
	;;#ASMSTART
	v_dot2_f32_f16 v8, v21, v25, v8
	;;#ASMEND
	;;#ASMSTART
	v_dot2_f32_f16 v8, v22, v26, v8
	;;#ASMEND
	;;#ASMSTART
	v_dot2_f32_f16 v8, v23, v27, v8
	;;#ASMEND
	s_waitcnt lgkmcnt(3)
	;;#ASMSTART
	v_dot2_f32_f16 v18, v20, v73, v18
	;;#ASMEND
	;;#ASMSTART
	v_dot2_f32_f16 v18, v21, v74, v18
	;;#ASMEND
	;;#ASMSTART
	v_dot2_f32_f16 v18, v22, v75, v18
	;;#ASMEND
	;;#ASMSTART
	v_dot2_f32_f16 v18, v23, v76, v18
	;;#ASMEND
	s_waitcnt lgkmcnt(2)
	;;#ASMSTART
	v_dot2_f32_f16 v16, v20, v77, v16
	;;#ASMEND
	;;#ASMSTART
	v_dot2_f32_f16 v16, v21, v78, v16
	;;#ASMEND
	;;#ASMSTART
	v_dot2_f32_f16 v16, v22, v79, v16
	;;#ASMEND
	;;#ASMSTART
	v_dot2_f32_f16 v16, v23, v80, v16
	;;#ASMEND
	s_waitcnt lgkmcnt(1)
	;;#ASMSTART
	v_dot2_f32_f16 v12, v20, v81, v12
	;;#ASMEND
	;;#ASMSTART
	v_dot2_f32_f16 v12, v21, v82, v12
	;;#ASMEND
	;;#ASMSTART
	v_dot2_f32_f16 v12, v22, v83, v12
	;;#ASMEND
	;;#ASMSTART
	v_dot2_f32_f16 v12, v23, v84, v12
	;;#ASMEND
	s_waitcnt lgkmcnt(0)
	;;#ASMSTART
	v_dot2_f32_f16 v19, v85, v24, v19
	;;#ASMEND
	;;#ASMSTART
	v_dot2_f32_f16 v19, v86, v25, v19
	;;#ASMEND
	;;#ASMSTART
	v_dot2_f32_f16 v19, v87, v26, v19
	;;#ASMEND
	;;#ASMSTART
	v_dot2_f32_f16 v19, v88, v27, v19
	;;#ASMEND
	;;#ASMSTART
	v_dot2_f32_f16 v17, v85, v73, v17
	;;#ASMEND
	;;#ASMSTART
	v_dot2_f32_f16 v17, v86, v74, v17
	;;#ASMEND
	;; [unrolled: 3-line block ×12, first 2 shown]
	ds_load_b128 v[20:23], v68 offset:32
	ds_load_b128 v[24:27], v9 offset:17696
	;; [unrolled: 1-line block ×6, first 2 shown]
	s_waitcnt lgkmcnt(4)
	;;#ASMSTART
	v_dot2_f32_f16 v8, v20, v24, v8
	;;#ASMEND
	;;#ASMSTART
	v_dot2_f32_f16 v8, v21, v25, v8
	;;#ASMEND
	;;#ASMSTART
	v_dot2_f32_f16 v8, v22, v26, v8
	;;#ASMEND
	;;#ASMSTART
	v_dot2_f32_f16 v8, v23, v27, v8
	;;#ASMEND
	s_waitcnt lgkmcnt(3)
	;;#ASMSTART
	v_dot2_f32_f16 v18, v20, v73, v18
	;;#ASMEND
	;;#ASMSTART
	v_dot2_f32_f16 v18, v21, v74, v18
	;;#ASMEND
	;;#ASMSTART
	v_dot2_f32_f16 v18, v22, v75, v18
	;;#ASMEND
	;;#ASMSTART
	v_dot2_f32_f16 v18, v23, v76, v18
	;;#ASMEND
	;; [unrolled: 13-line block ×5, first 2 shown]
	;;#ASMSTART
	v_dot2_f32_f16 v17, v85, v73, v17
	;;#ASMEND
	;;#ASMSTART
	v_dot2_f32_f16 v17, v86, v74, v17
	;;#ASMEND
	;; [unrolled: 3-line block ×12, first 2 shown]
	ds_load_b128 v[20:23], v68 offset:48
	ds_load_b128 v[24:27], v9 offset:17712
	;; [unrolled: 1-line block ×6, first 2 shown]
	s_waitcnt lgkmcnt(4)
	;;#ASMSTART
	v_dot2_f32_f16 v8, v20, v24, v8
	;;#ASMEND
	;;#ASMSTART
	v_dot2_f32_f16 v8, v21, v25, v8
	;;#ASMEND
	;;#ASMSTART
	v_dot2_f32_f16 v8, v22, v26, v8
	;;#ASMEND
	;;#ASMSTART
	v_dot2_f32_f16 v8, v23, v27, v8
	;;#ASMEND
	s_waitcnt lgkmcnt(3)
	;;#ASMSTART
	v_dot2_f32_f16 v18, v20, v73, v18
	;;#ASMEND
	;;#ASMSTART
	v_dot2_f32_f16 v18, v21, v74, v18
	;;#ASMEND
	;;#ASMSTART
	v_dot2_f32_f16 v18, v22, v75, v18
	;;#ASMEND
	;;#ASMSTART
	v_dot2_f32_f16 v18, v23, v76, v18
	;;#ASMEND
	;; [unrolled: 13-line block ×5, first 2 shown]
	;;#ASMSTART
	v_dot2_f32_f16 v17, v85, v73, v17
	;;#ASMEND
	;;#ASMSTART
	v_dot2_f32_f16 v17, v86, v74, v17
	;;#ASMEND
	;; [unrolled: 3-line block ×12, first 2 shown]
	ds_load_b128 v[20:23], v68 offset:64
	ds_load_b128 v[24:27], v9 offset:17728
	;; [unrolled: 1-line block ×6, first 2 shown]
	s_waitcnt lgkmcnt(4)
	;;#ASMSTART
	v_dot2_f32_f16 v8, v20, v24, v8
	;;#ASMEND
	;;#ASMSTART
	v_dot2_f32_f16 v8, v21, v25, v8
	;;#ASMEND
	;;#ASMSTART
	v_dot2_f32_f16 v8, v22, v26, v8
	;;#ASMEND
	;;#ASMSTART
	v_dot2_f32_f16 v8, v23, v27, v8
	;;#ASMEND
	s_waitcnt lgkmcnt(3)
	;;#ASMSTART
	v_dot2_f32_f16 v18, v20, v73, v18
	;;#ASMEND
	;;#ASMSTART
	v_dot2_f32_f16 v18, v21, v74, v18
	;;#ASMEND
	;;#ASMSTART
	v_dot2_f32_f16 v18, v22, v75, v18
	;;#ASMEND
	;;#ASMSTART
	v_dot2_f32_f16 v18, v23, v76, v18
	;;#ASMEND
	;; [unrolled: 13-line block ×5, first 2 shown]
	;;#ASMSTART
	v_dot2_f32_f16 v17, v85, v73, v17
	;;#ASMEND
	;;#ASMSTART
	v_dot2_f32_f16 v17, v86, v74, v17
	;;#ASMEND
	;; [unrolled: 3-line block ×12, first 2 shown]
	ds_load_b128 v[20:23], v68 offset:80
	ds_load_b128 v[24:27], v9 offset:17744
	;; [unrolled: 1-line block ×6, first 2 shown]
	s_waitcnt lgkmcnt(4)
	;;#ASMSTART
	v_dot2_f32_f16 v8, v20, v24, v8
	;;#ASMEND
	;;#ASMSTART
	v_dot2_f32_f16 v8, v21, v25, v8
	;;#ASMEND
	;;#ASMSTART
	v_dot2_f32_f16 v8, v22, v26, v8
	;;#ASMEND
	;;#ASMSTART
	v_dot2_f32_f16 v8, v23, v27, v8
	;;#ASMEND
	s_waitcnt lgkmcnt(3)
	;;#ASMSTART
	v_dot2_f32_f16 v18, v20, v73, v18
	;;#ASMEND
	;;#ASMSTART
	v_dot2_f32_f16 v18, v21, v74, v18
	;;#ASMEND
	;;#ASMSTART
	v_dot2_f32_f16 v18, v22, v75, v18
	;;#ASMEND
	;;#ASMSTART
	v_dot2_f32_f16 v18, v23, v76, v18
	;;#ASMEND
	;; [unrolled: 13-line block ×5, first 2 shown]
	;;#ASMSTART
	v_dot2_f32_f16 v17, v85, v73, v17
	;;#ASMEND
	;;#ASMSTART
	v_dot2_f32_f16 v17, v86, v74, v17
	;;#ASMEND
	;; [unrolled: 3-line block ×12, first 2 shown]
	ds_load_b128 v[20:23], v68 offset:96
	ds_load_b128 v[24:27], v9 offset:17760
	;; [unrolled: 1-line block ×6, first 2 shown]
	s_waitcnt lgkmcnt(4)
	;;#ASMSTART
	v_dot2_f32_f16 v8, v20, v24, v8
	;;#ASMEND
	;;#ASMSTART
	v_dot2_f32_f16 v8, v21, v25, v8
	;;#ASMEND
	;;#ASMSTART
	v_dot2_f32_f16 v8, v22, v26, v8
	;;#ASMEND
	;;#ASMSTART
	v_dot2_f32_f16 v8, v23, v27, v8
	;;#ASMEND
	s_waitcnt lgkmcnt(3)
	;;#ASMSTART
	v_dot2_f32_f16 v18, v20, v73, v18
	;;#ASMEND
	;;#ASMSTART
	v_dot2_f32_f16 v18, v21, v74, v18
	;;#ASMEND
	;;#ASMSTART
	v_dot2_f32_f16 v18, v22, v75, v18
	;;#ASMEND
	;;#ASMSTART
	v_dot2_f32_f16 v18, v23, v76, v18
	;;#ASMEND
	;; [unrolled: 13-line block ×5, first 2 shown]
	;;#ASMSTART
	v_dot2_f32_f16 v17, v85, v73, v17
	;;#ASMEND
	;;#ASMSTART
	v_dot2_f32_f16 v17, v86, v74, v17
	;;#ASMEND
	;; [unrolled: 3-line block ×12, first 2 shown]
	ds_load_b128 v[20:23], v68 offset:112
	ds_load_b128 v[24:27], v9 offset:17776
	ds_load_b128 v[73:76], v9 offset:18288
	ds_load_b128 v[77:80], v9 offset:18800
	ds_load_b128 v[81:84], v9 offset:19312
	ds_load_b128 v[85:88], v68 offset:8816
	s_waitcnt lgkmcnt(4)
	;;#ASMSTART
	v_dot2_f32_f16 v8, v20, v24, v8
	;;#ASMEND
	;;#ASMSTART
	v_dot2_f32_f16 v8, v21, v25, v8
	;;#ASMEND
	;;#ASMSTART
	v_dot2_f32_f16 v8, v22, v26, v8
	;;#ASMEND
	;;#ASMSTART
	v_dot2_f32_f16 v8, v23, v27, v8
	;;#ASMEND
	s_waitcnt lgkmcnt(3)
	;;#ASMSTART
	v_dot2_f32_f16 v18, v20, v73, v18
	;;#ASMEND
	;;#ASMSTART
	v_dot2_f32_f16 v18, v21, v74, v18
	;;#ASMEND
	;;#ASMSTART
	v_dot2_f32_f16 v18, v22, v75, v18
	;;#ASMEND
	;;#ASMSTART
	v_dot2_f32_f16 v18, v23, v76, v18
	;;#ASMEND
	;; [unrolled: 13-line block ×5, first 2 shown]
	;;#ASMSTART
	v_dot2_f32_f16 v17, v85, v73, v17
	;;#ASMEND
	;;#ASMSTART
	v_dot2_f32_f16 v17, v86, v74, v17
	;;#ASMEND
	;; [unrolled: 3-line block ×12, first 2 shown]
	ds_load_b128 v[20:23], v68 offset:128
	ds_load_b128 v[24:27], v9 offset:17792
	;; [unrolled: 1-line block ×6, first 2 shown]
	s_waitcnt lgkmcnt(4)
	;;#ASMSTART
	v_dot2_f32_f16 v8, v20, v24, v8
	;;#ASMEND
	;;#ASMSTART
	v_dot2_f32_f16 v8, v21, v25, v8
	;;#ASMEND
	;;#ASMSTART
	v_dot2_f32_f16 v8, v22, v26, v8
	;;#ASMEND
	;;#ASMSTART
	v_dot2_f32_f16 v8, v23, v27, v8
	;;#ASMEND
	s_waitcnt lgkmcnt(3)
	;;#ASMSTART
	v_dot2_f32_f16 v18, v20, v73, v18
	;;#ASMEND
	;;#ASMSTART
	v_dot2_f32_f16 v18, v21, v74, v18
	;;#ASMEND
	;;#ASMSTART
	v_dot2_f32_f16 v18, v22, v75, v18
	;;#ASMEND
	;;#ASMSTART
	v_dot2_f32_f16 v18, v23, v76, v18
	;;#ASMEND
	s_waitcnt lgkmcnt(2)
	;;#ASMSTART
	v_dot2_f32_f16 v16, v20, v77, v16
	;;#ASMEND
	;;#ASMSTART
	v_dot2_f32_f16 v16, v21, v78, v16
	;;#ASMEND
	;;#ASMSTART
	v_dot2_f32_f16 v16, v22, v79, v16
	;;#ASMEND
	;;#ASMSTART
	v_dot2_f32_f16 v16, v23, v80, v16
	;;#ASMEND
	s_waitcnt lgkmcnt(1)
	;;#ASMSTART
	v_dot2_f32_f16 v12, v20, v81, v12
	;;#ASMEND
	;;#ASMSTART
	v_dot2_f32_f16 v12, v21, v82, v12
	;;#ASMEND
	;;#ASMSTART
	v_dot2_f32_f16 v12, v22, v83, v12
	;;#ASMEND
	;;#ASMSTART
	v_dot2_f32_f16 v12, v23, v84, v12
	;;#ASMEND
	s_waitcnt lgkmcnt(0)
	;;#ASMSTART
	v_dot2_f32_f16 v19, v85, v24, v19
	;;#ASMEND
	;;#ASMSTART
	v_dot2_f32_f16 v19, v86, v25, v19
	;;#ASMEND
	;;#ASMSTART
	v_dot2_f32_f16 v19, v87, v26, v19
	;;#ASMEND
	;;#ASMSTART
	v_dot2_f32_f16 v19, v88, v27, v19
	;;#ASMEND
	;;#ASMSTART
	v_dot2_f32_f16 v17, v85, v73, v17
	;;#ASMEND
	;;#ASMSTART
	v_dot2_f32_f16 v17, v86, v74, v17
	;;#ASMEND
	;; [unrolled: 3-line block ×12, first 2 shown]
	ds_load_b128 v[20:23], v68 offset:144
	ds_load_b128 v[24:27], v9 offset:17808
	;; [unrolled: 1-line block ×6, first 2 shown]
	s_waitcnt lgkmcnt(4)
	;;#ASMSTART
	v_dot2_f32_f16 v8, v20, v24, v8
	;;#ASMEND
	;;#ASMSTART
	v_dot2_f32_f16 v8, v21, v25, v8
	;;#ASMEND
	;;#ASMSTART
	v_dot2_f32_f16 v8, v22, v26, v8
	;;#ASMEND
	;;#ASMSTART
	v_dot2_f32_f16 v8, v23, v27, v8
	;;#ASMEND
	s_waitcnt lgkmcnt(3)
	;;#ASMSTART
	v_dot2_f32_f16 v18, v20, v73, v18
	;;#ASMEND
	;;#ASMSTART
	v_dot2_f32_f16 v18, v21, v74, v18
	;;#ASMEND
	;;#ASMSTART
	v_dot2_f32_f16 v18, v22, v75, v18
	;;#ASMEND
	;;#ASMSTART
	v_dot2_f32_f16 v18, v23, v76, v18
	;;#ASMEND
	;; [unrolled: 13-line block ×5, first 2 shown]
	;;#ASMSTART
	v_dot2_f32_f16 v17, v85, v73, v17
	;;#ASMEND
	;;#ASMSTART
	v_dot2_f32_f16 v17, v86, v74, v17
	;;#ASMEND
	;; [unrolled: 3-line block ×12, first 2 shown]
	ds_load_b128 v[20:23], v68 offset:160
	ds_load_b128 v[24:27], v9 offset:17824
	ds_load_b128 v[73:76], v9 offset:18336
	ds_load_b128 v[77:80], v9 offset:18848
	ds_load_b128 v[81:84], v9 offset:19360
	ds_load_b128 v[85:88], v68 offset:8864
	s_waitcnt lgkmcnt(4)
	;;#ASMSTART
	v_dot2_f32_f16 v8, v20, v24, v8
	;;#ASMEND
	;;#ASMSTART
	v_dot2_f32_f16 v8, v21, v25, v8
	;;#ASMEND
	;;#ASMSTART
	v_dot2_f32_f16 v8, v22, v26, v8
	;;#ASMEND
	;;#ASMSTART
	v_dot2_f32_f16 v8, v23, v27, v8
	;;#ASMEND
	s_waitcnt lgkmcnt(3)
	;;#ASMSTART
	v_dot2_f32_f16 v18, v20, v73, v18
	;;#ASMEND
	;;#ASMSTART
	v_dot2_f32_f16 v18, v21, v74, v18
	;;#ASMEND
	;;#ASMSTART
	v_dot2_f32_f16 v18, v22, v75, v18
	;;#ASMEND
	;;#ASMSTART
	v_dot2_f32_f16 v18, v23, v76, v18
	;;#ASMEND
	;; [unrolled: 13-line block ×5, first 2 shown]
	;;#ASMSTART
	v_dot2_f32_f16 v17, v85, v73, v17
	;;#ASMEND
	;;#ASMSTART
	v_dot2_f32_f16 v17, v86, v74, v17
	;;#ASMEND
	;; [unrolled: 3-line block ×12, first 2 shown]
	ds_load_b128 v[20:23], v68 offset:176
	ds_load_b128 v[24:27], v9 offset:17840
	ds_load_b128 v[73:76], v9 offset:18352
	ds_load_b128 v[77:80], v9 offset:18864
	ds_load_b128 v[81:84], v9 offset:19376
	ds_load_b128 v[85:88], v68 offset:8880
	s_waitcnt lgkmcnt(4)
	;;#ASMSTART
	v_dot2_f32_f16 v8, v20, v24, v8
	;;#ASMEND
	;;#ASMSTART
	v_dot2_f32_f16 v8, v21, v25, v8
	;;#ASMEND
	;;#ASMSTART
	v_dot2_f32_f16 v8, v22, v26, v8
	;;#ASMEND
	;;#ASMSTART
	v_dot2_f32_f16 v8, v23, v27, v8
	;;#ASMEND
	s_waitcnt lgkmcnt(3)
	;;#ASMSTART
	v_dot2_f32_f16 v18, v20, v73, v18
	;;#ASMEND
	;;#ASMSTART
	v_dot2_f32_f16 v18, v21, v74, v18
	;;#ASMEND
	;;#ASMSTART
	v_dot2_f32_f16 v18, v22, v75, v18
	;;#ASMEND
	;;#ASMSTART
	v_dot2_f32_f16 v18, v23, v76, v18
	;;#ASMEND
	;; [unrolled: 13-line block ×5, first 2 shown]
	;;#ASMSTART
	v_dot2_f32_f16 v17, v85, v73, v17
	;;#ASMEND
	;;#ASMSTART
	v_dot2_f32_f16 v17, v86, v74, v17
	;;#ASMEND
	;; [unrolled: 3-line block ×12, first 2 shown]
	ds_load_b128 v[20:23], v68 offset:192
	ds_load_b128 v[24:27], v9 offset:17856
	;; [unrolled: 1-line block ×6, first 2 shown]
	s_waitcnt lgkmcnt(4)
	;;#ASMSTART
	v_dot2_f32_f16 v8, v20, v24, v8
	;;#ASMEND
	;;#ASMSTART
	v_dot2_f32_f16 v8, v21, v25, v8
	;;#ASMEND
	;;#ASMSTART
	v_dot2_f32_f16 v8, v22, v26, v8
	;;#ASMEND
	;;#ASMSTART
	v_dot2_f32_f16 v8, v23, v27, v8
	;;#ASMEND
	s_waitcnt lgkmcnt(3)
	;;#ASMSTART
	v_dot2_f32_f16 v18, v20, v73, v18
	;;#ASMEND
	;;#ASMSTART
	v_dot2_f32_f16 v18, v21, v74, v18
	;;#ASMEND
	;;#ASMSTART
	v_dot2_f32_f16 v18, v22, v75, v18
	;;#ASMEND
	;;#ASMSTART
	v_dot2_f32_f16 v18, v23, v76, v18
	;;#ASMEND
	;; [unrolled: 13-line block ×5, first 2 shown]
	;;#ASMSTART
	v_dot2_f32_f16 v17, v85, v73, v17
	;;#ASMEND
	;;#ASMSTART
	v_dot2_f32_f16 v17, v86, v74, v17
	;;#ASMEND
	;; [unrolled: 3-line block ×12, first 2 shown]
	ds_load_b128 v[20:23], v68 offset:208
	ds_load_b128 v[24:27], v9 offset:17872
	;; [unrolled: 1-line block ×6, first 2 shown]
	s_waitcnt lgkmcnt(4)
	;;#ASMSTART
	v_dot2_f32_f16 v8, v20, v24, v8
	;;#ASMEND
	;;#ASMSTART
	v_dot2_f32_f16 v8, v21, v25, v8
	;;#ASMEND
	;;#ASMSTART
	v_dot2_f32_f16 v8, v22, v26, v8
	;;#ASMEND
	;;#ASMSTART
	v_dot2_f32_f16 v8, v23, v27, v8
	;;#ASMEND
	s_waitcnt lgkmcnt(3)
	;;#ASMSTART
	v_dot2_f32_f16 v18, v20, v73, v18
	;;#ASMEND
	;;#ASMSTART
	v_dot2_f32_f16 v18, v21, v74, v18
	;;#ASMEND
	;;#ASMSTART
	v_dot2_f32_f16 v18, v22, v75, v18
	;;#ASMEND
	;;#ASMSTART
	v_dot2_f32_f16 v18, v23, v76, v18
	;;#ASMEND
	;; [unrolled: 13-line block ×5, first 2 shown]
	;;#ASMSTART
	v_dot2_f32_f16 v17, v85, v73, v17
	;;#ASMEND
	;;#ASMSTART
	v_dot2_f32_f16 v17, v86, v74, v17
	;;#ASMEND
	;;#ASMSTART
	v_dot2_f32_f16 v17, v87, v75, v17
	;;#ASMEND
	;;#ASMSTART
	v_dot2_f32_f16 v17, v88, v76, v17
	;;#ASMEND
	;;#ASMSTART
	v_dot2_f32_f16 v15, v85, v77, v15
	;;#ASMEND
	;;#ASMSTART
	v_dot2_f32_f16 v15, v86, v78, v15
	;;#ASMEND
	;;#ASMSTART
	v_dot2_f32_f16 v15, v87, v79, v15
	;;#ASMEND
	;;#ASMSTART
	v_dot2_f32_f16 v15, v88, v80, v15
	;;#ASMEND
	;;#ASMSTART
	v_dot2_f32_f16 v11, v85, v81, v11
	;;#ASMEND
	;;#ASMSTART
	v_dot2_f32_f16 v11, v86, v82, v11
	;;#ASMEND
	;;#ASMSTART
	v_dot2_f32_f16 v11, v87, v83, v11
	;;#ASMEND
	;;#ASMSTART
	v_dot2_f32_f16 v11, v88, v84, v11
	;;#ASMEND
	ds_load_b128 v[20:23], v68 offset:224
	ds_load_b128 v[24:27], v9 offset:17888
	;; [unrolled: 1-line block ×6, first 2 shown]
	s_waitcnt lgkmcnt(4)
	;;#ASMSTART
	v_dot2_f32_f16 v8, v20, v24, v8
	;;#ASMEND
	;;#ASMSTART
	v_dot2_f32_f16 v8, v21, v25, v8
	;;#ASMEND
	;;#ASMSTART
	v_dot2_f32_f16 v8, v22, v26, v8
	;;#ASMEND
	;;#ASMSTART
	v_dot2_f32_f16 v8, v23, v27, v8
	;;#ASMEND
	s_waitcnt lgkmcnt(3)
	;;#ASMSTART
	v_dot2_f32_f16 v18, v20, v73, v18
	;;#ASMEND
	;;#ASMSTART
	v_dot2_f32_f16 v18, v21, v74, v18
	;;#ASMEND
	;;#ASMSTART
	v_dot2_f32_f16 v18, v22, v75, v18
	;;#ASMEND
	;;#ASMSTART
	v_dot2_f32_f16 v18, v23, v76, v18
	;;#ASMEND
	;; [unrolled: 13-line block ×5, first 2 shown]
	;;#ASMSTART
	v_dot2_f32_f16 v17, v85, v73, v17
	;;#ASMEND
	;;#ASMSTART
	v_dot2_f32_f16 v17, v86, v74, v17
	;;#ASMEND
	;; [unrolled: 3-line block ×12, first 2 shown]
	ds_load_b128 v[20:23], v68 offset:240
	ds_load_b128 v[24:27], v9 offset:17904
	;; [unrolled: 1-line block ×6, first 2 shown]
	s_waitcnt lgkmcnt(4)
	;;#ASMSTART
	v_dot2_f32_f16 v8, v20, v24, v8
	;;#ASMEND
	;;#ASMSTART
	v_dot2_f32_f16 v8, v21, v25, v8
	;;#ASMEND
	;;#ASMSTART
	v_dot2_f32_f16 v8, v22, v26, v8
	;;#ASMEND
	;;#ASMSTART
	v_dot2_f32_f16 v8, v23, v27, v8
	;;#ASMEND
	s_waitcnt lgkmcnt(3)
	;;#ASMSTART
	v_dot2_f32_f16 v18, v20, v73, v18
	;;#ASMEND
	;;#ASMSTART
	v_dot2_f32_f16 v18, v21, v74, v18
	;;#ASMEND
	;;#ASMSTART
	v_dot2_f32_f16 v18, v22, v75, v18
	;;#ASMEND
	;;#ASMSTART
	v_dot2_f32_f16 v18, v23, v76, v18
	;;#ASMEND
	;; [unrolled: 13-line block ×5, first 2 shown]
	;;#ASMSTART
	v_dot2_f32_f16 v17, v85, v73, v17
	;;#ASMEND
	;;#ASMSTART
	v_dot2_f32_f16 v17, v86, v74, v17
	;;#ASMEND
	;; [unrolled: 3-line block ×5, first 2 shown]
	v_cmp_ngt_f32_e64 s4, 0x3f200000, |v8|
	;;#ASMSTART
	v_dot2_f32_f16 v15, v86, v78, v15
	;;#ASMEND
	;;#ASMSTART
	v_dot2_f32_f16 v15, v87, v79, v15
	;;#ASMEND
	;; [unrolled: 3-line block ×7, first 2 shown]
	s_and_saveexec_b32 s5, s4
	s_delay_alu instid0(SALU_CYCLE_1)
	s_xor_b32 s4, exec_lo, s5
	s_cbranch_execz .LBB70_68
; %bb.67:
	v_add_f32_e64 v5, |v8|, |v8|
	s_delay_alu instid0(VALU_DEP_1) | instskip(SKIP_1) | instid1(VALU_DEP_2)
	v_mul_f32_e32 v6, 0x3fb8aa3b, v5
	v_cmp_ngt_f32_e32 vcc_lo, 0xc2ce8ed0, v5
	v_rndne_f32_e32 v7, v6
	v_fma_f32 v9, 0x3fb8aa3b, v5, -v6
	s_delay_alu instid0(VALU_DEP_1) | instskip(SKIP_1) | instid1(VALU_DEP_2)
	v_dual_sub_f32 v6, v6, v7 :: v_dual_fmamk_f32 v9, v5, 0x32a5705f, v9
	v_cvt_i32_f32_e32 v7, v7
	v_add_f32_e32 v6, v6, v9
	s_delay_alu instid0(VALU_DEP_1) | instskip(SKIP_2) | instid1(VALU_DEP_1)
	v_exp_f32_e32 v6, v6
	s_waitcnt_depctr 0xfff
	v_ldexp_f32 v6, v6, v7
	v_cndmask_b32_e32 v6, 0, v6, vcc_lo
	v_cmp_nlt_f32_e32 vcc_lo, 0x42b17218, v5
	s_delay_alu instid0(VALU_DEP_2) | instskip(NEXT) | instid1(VALU_DEP_1)
	v_cndmask_b32_e32 v5, 0x7f800000, v6, vcc_lo
	v_add_f32_e32 v5, 1.0, v5
	s_delay_alu instid0(VALU_DEP_1)
	v_rcp_f32_e32 v5, v5
	s_waitcnt_depctr 0xfff
	v_fma_f32 v5, v5, -2.0, 1.0
.LBB70_68:
	s_and_not1_saveexec_b32 s4, s4
; %bb.69:
	v_mul_f32_e32 v5, v8, v8
	s_mov_b32 s5, 0xbbbac73d
	s_delay_alu instid0(VALU_DEP_1) | instid1(SALU_CYCLE_1)
	v_fmaak_f32 v6, s5, v5, 0x3ca908c9
	s_delay_alu instid0(VALU_DEP_1) | instskip(NEXT) | instid1(VALU_DEP_1)
	v_fmaak_f32 v6, v5, v6, 0xbd5c1c4e
	v_fmaak_f32 v6, v5, v6, 0x3e088382
	s_delay_alu instid0(VALU_DEP_1) | instskip(NEXT) | instid1(VALU_DEP_1)
	v_fmaak_f32 v6, v5, v6, 0xbeaaaa99
	v_mul_f32_e64 v6, |v8|, v6
	s_delay_alu instid0(VALU_DEP_1)
	v_fma_f32 v5, v5, v6, |v8|
; %bb.70:
	s_or_b32 exec_lo, exec_lo, s4
	s_delay_alu instid0(VALU_DEP_1) | instskip(SKIP_3) | instid1(VALU_DEP_2)
	v_bfi_b32 v5, 0x7fffffff, v5, v8
	s_cmp_lg_u64 s[40:41], 0
	v_mad_u64_u32 v[9:10], null, v67, s10, s[12:13]
	s_cselect_b32 s6, -1, 0
	v_dual_mul_f32 v25, s23, v5 :: v_dual_mov_b32 v8, v4
	v_cmp_gt_i32_e64 s4, s19, v40
	v_cndmask_b32_e64 v30, 0, 1, s6
	v_dual_mov_b32 v7, v3 :: v_dual_mov_b32 v6, v2
	v_mov_b32_e32 v5, v1
	s_delay_alu instid0(VALU_DEP_4)
	s_and_saveexec_b32 s5, s4
	s_cbranch_execz .LBB70_75
; %bb.71:
	s_and_not1_b32 vcc_lo, exec_lo, s6
	s_cbranch_vccnz .LBB70_73
; %bb.72:
	v_add_nc_u32_e32 v5, v9, v40
	s_delay_alu instid0(VALU_DEP_1) | instskip(NEXT) | instid1(VALU_DEP_1)
	v_ashrrev_i32_e32 v6, 31, v5
	v_lshlrev_b64 v[5:6], 1, v[5:6]
	s_delay_alu instid0(VALU_DEP_1) | instskip(NEXT) | instid1(VALU_DEP_2)
	v_add_co_u32 v5, vcc_lo, s40, v5
	v_add_co_ci_u32_e32 v6, vcc_lo, s41, v6, vcc_lo
	flat_load_u16 v5, v[5:6]
	s_waitcnt vmcnt(0) lgkmcnt(0)
	v_cvt_f32_f16_e32 v5, v5
	s_delay_alu instid0(VALU_DEP_1)
	v_mul_f32_e32 v5, v48, v5
	s_branch .LBB70_74
.LBB70_73:
	v_mov_b32_e32 v5, 0
.LBB70_74:
	s_delay_alu instid0(VALU_DEP_1) | instskip(SKIP_1) | instid1(VALU_DEP_2)
	v_add_f32_e32 v25, v25, v5
	v_max_f32_e32 v6, v1, v1
	v_add_f32_e32 v5, 0x40051340, v25
	s_delay_alu instid0(VALU_DEP_1) | instskip(SKIP_2) | instid1(VALU_DEP_3)
	v_max_f32_e32 v10, v6, v5
	v_dual_mov_b32 v8, v4 :: v_dual_mov_b32 v5, v1
	v_dual_mov_b32 v7, v3 :: v_dual_mov_b32 v6, v2
	v_mov_b32_e32 v5, v10
.LBB70_75:
	s_or_b32 exec_lo, exec_lo, s5
	v_cmp_ngt_f32_e64 s5, 0x3f200000, |v19|
                                        ; implicit-def: $vgpr10
	s_delay_alu instid0(VALU_DEP_1) | instskip(NEXT) | instid1(SALU_CYCLE_1)
	s_and_saveexec_b32 s6, s5
	s_xor_b32 s5, exec_lo, s6
	s_cbranch_execz .LBB70_77
; %bb.76:
	v_add_f32_e64 v10, |v19|, |v19|
	s_delay_alu instid0(VALU_DEP_1) | instskip(SKIP_1) | instid1(VALU_DEP_2)
	v_mul_f32_e32 v20, 0x3fb8aa3b, v10
	v_cmp_ngt_f32_e32 vcc_lo, 0xc2ce8ed0, v10
	v_rndne_f32_e32 v21, v20
	v_fma_f32 v22, 0x3fb8aa3b, v10, -v20
	s_delay_alu instid0(VALU_DEP_2) | instskip(NEXT) | instid1(VALU_DEP_2)
	v_sub_f32_e32 v20, v20, v21
	v_fmamk_f32 v22, v10, 0x32a5705f, v22
	v_cvt_i32_f32_e32 v21, v21
	s_delay_alu instid0(VALU_DEP_2) | instskip(NEXT) | instid1(VALU_DEP_1)
	v_add_f32_e32 v20, v20, v22
	v_exp_f32_e32 v20, v20
	s_waitcnt_depctr 0xfff
	v_ldexp_f32 v20, v20, v21
	s_delay_alu instid0(VALU_DEP_1) | instskip(SKIP_1) | instid1(VALU_DEP_2)
	v_cndmask_b32_e32 v20, 0, v20, vcc_lo
	v_cmp_nlt_f32_e32 vcc_lo, 0x42b17218, v10
	v_cndmask_b32_e32 v10, 0x7f800000, v20, vcc_lo
	s_delay_alu instid0(VALU_DEP_1) | instskip(NEXT) | instid1(VALU_DEP_1)
	v_add_f32_e32 v10, 1.0, v10
	v_rcp_f32_e32 v10, v10
	s_waitcnt_depctr 0xfff
	v_fma_f32 v10, v10, -2.0, 1.0
.LBB70_77:
	s_and_not1_saveexec_b32 s5, s5
; %bb.78:
	v_mul_f32_e32 v10, v19, v19
	s_mov_b32 s6, 0xbbbac73d
	s_delay_alu instid0(VALU_DEP_1) | instid1(SALU_CYCLE_1)
	v_fmaak_f32 v20, s6, v10, 0x3ca908c9
	s_delay_alu instid0(VALU_DEP_1) | instskip(NEXT) | instid1(VALU_DEP_1)
	v_fmaak_f32 v20, v10, v20, 0xbd5c1c4e
	v_fmaak_f32 v20, v10, v20, 0x3e088382
	s_delay_alu instid0(VALU_DEP_1) | instskip(NEXT) | instid1(VALU_DEP_1)
	v_fmaak_f32 v20, v10, v20, 0xbeaaaa99
	v_mul_f32_e64 v20, |v19|, v20
	s_delay_alu instid0(VALU_DEP_1)
	v_fma_f32 v10, v10, v20, |v19|
; %bb.79:
	s_or_b32 exec_lo, exec_lo, s5
	s_delay_alu instid0(VALU_DEP_1) | instskip(SKIP_1) | instid1(VALU_DEP_2)
	v_bfi_b32 v10, 0x7fffffff, v10, v19
	v_add_nc_u32_e32 v67, 32, v40
	v_mul_f32_e32 v29, s23, v10
	s_delay_alu instid0(VALU_DEP_2) | instskip(NEXT) | instid1(VALU_DEP_1)
	v_cmp_gt_i32_e64 s5, s19, v67
	s_and_saveexec_b32 s6, s5
	s_cbranch_execz .LBB70_84
; %bb.80:
	v_cmp_ne_u32_e32 vcc_lo, 1, v30
	s_cbranch_vccnz .LBB70_82
; %bb.81:
	v_ashrrev_i32_e32 v10, 31, v9
	v_add_co_u32 v9, vcc_lo, v9, v40
	s_delay_alu instid0(VALU_DEP_2) | instskip(NEXT) | instid1(VALU_DEP_1)
	v_add_co_ci_u32_e32 v10, vcc_lo, 0, v10, vcc_lo
	v_lshlrev_b64 v[9:10], 1, v[9:10]
	s_delay_alu instid0(VALU_DEP_1) | instskip(NEXT) | instid1(VALU_DEP_2)
	v_add_co_u32 v9, vcc_lo, s40, v9
	v_add_co_ci_u32_e32 v10, vcc_lo, s41, v10, vcc_lo
	flat_load_u16 v9, v[9:10] offset:64
	s_waitcnt vmcnt(0) lgkmcnt(0)
	v_cvt_f32_f16_e32 v9, v9
	s_delay_alu instid0(VALU_DEP_1)
	v_mul_f32_e32 v9, v48, v9
	s_branch .LBB70_83
.LBB70_82:
	v_mov_b32_e32 v9, 0
.LBB70_83:
	s_delay_alu instid0(VALU_DEP_1) | instskip(SKIP_1) | instid1(VALU_DEP_2)
	v_add_f32_e32 v29, v29, v9
	v_max_f32_e32 v5, v5, v5
	v_add_f32_e32 v9, 0x40051340, v29
	s_delay_alu instid0(VALU_DEP_1)
	v_max_f32_e32 v5, v5, v9
.LBB70_84:
	s_or_b32 exec_lo, exec_lo, s6
	v_xor_b32_e32 v24, 16, v42
	v_xor_b32_e32 v23, 8, v42
	;; [unrolled: 1-line block ×5, first 2 shown]
	v_cmp_gt_i32_e32 vcc_lo, 32, v24
	v_cmp_ngt_f32_e64 s6, 0x3f200000, |v18|
	v_mov_b32_e32 v19, 32
	v_cndmask_b32_e32 v9, v42, v24, vcc_lo
	v_cmp_gt_i32_e32 vcc_lo, 32, v23
	v_cndmask_b32_e32 v10, v42, v23, vcc_lo
	v_cmp_gt_i32_e32 vcc_lo, 32, v22
	s_delay_alu instid0(VALU_DEP_2) | instskip(SKIP_2) | instid1(VALU_DEP_2)
	v_lshlrev_b32_e32 v73, 2, v10
	v_cndmask_b32_e32 v10, v42, v22, vcc_lo
	v_cmp_gt_i32_e32 vcc_lo, 32, v21
	v_lshlrev_b32_e32 v28, 2, v10
	v_lshlrev_b32_e32 v68, 2, v9
	v_cndmask_b32_e32 v10, v42, v21, vcc_lo
	v_cmp_gt_i32_e32 vcc_lo, 32, v20
	ds_bpermute_b32 v9, v68, v5
	v_max_f32_e32 v5, v5, v5
	v_dual_cndmask_b32 v10, v42, v20 :: v_dual_lshlrev_b32 v27, 2, v10
	s_delay_alu instid0(VALU_DEP_1) | instskip(SKIP_2) | instid1(VALU_DEP_1)
	v_lshlrev_b32_e32 v26, 2, v10
                                        ; implicit-def: $vgpr10
	s_waitcnt lgkmcnt(0)
	v_max_f32_e32 v9, v9, v9
	v_max_f32_e32 v5, v5, v9
	ds_bpermute_b32 v9, v73, v5
	s_waitcnt lgkmcnt(0)
	v_max_f32_e32 v9, v9, v9
	s_delay_alu instid0(VALU_DEP_1) | instskip(SKIP_3) | instid1(VALU_DEP_1)
	v_max_f32_e32 v5, v5, v9
	ds_bpermute_b32 v9, v28, v5
	s_waitcnt lgkmcnt(0)
	v_max_f32_e32 v9, v9, v9
	v_max_f32_e32 v5, v5, v9
	ds_bpermute_b32 v9, v27, v5
	s_waitcnt lgkmcnt(0)
	v_max_f32_e32 v9, v9, v9
	s_delay_alu instid0(VALU_DEP_1) | instskip(SKIP_2) | instid1(SALU_CYCLE_1)
	v_max_f32_e32 v5, v5, v9
	ds_bpermute_b32 v9, v26, v5
	s_and_saveexec_b32 s7, s6
	s_xor_b32 s6, exec_lo, s7
	s_cbranch_execz .LBB70_86
; %bb.85:
	v_add_f32_e64 v10, |v18|, |v18|
	s_delay_alu instid0(VALU_DEP_1) | instskip(SKIP_1) | instid1(VALU_DEP_2)
	v_mul_f32_e32 v74, 0x3fb8aa3b, v10
	v_cmp_ngt_f32_e32 vcc_lo, 0xc2ce8ed0, v10
	v_rndne_f32_e32 v75, v74
	v_fma_f32 v76, 0x3fb8aa3b, v10, -v74
	s_delay_alu instid0(VALU_DEP_2) | instskip(NEXT) | instid1(VALU_DEP_2)
	v_sub_f32_e32 v74, v74, v75
	v_fmamk_f32 v76, v10, 0x32a5705f, v76
	v_cvt_i32_f32_e32 v75, v75
	s_delay_alu instid0(VALU_DEP_2) | instskip(NEXT) | instid1(VALU_DEP_1)
	v_add_f32_e32 v74, v74, v76
	v_exp_f32_e32 v74, v74
	s_waitcnt_depctr 0xfff
	v_ldexp_f32 v74, v74, v75
	s_delay_alu instid0(VALU_DEP_1) | instskip(SKIP_1) | instid1(VALU_DEP_2)
	v_cndmask_b32_e32 v74, 0, v74, vcc_lo
	v_cmp_nlt_f32_e32 vcc_lo, 0x42b17218, v10
	v_cndmask_b32_e32 v10, 0x7f800000, v74, vcc_lo
	s_delay_alu instid0(VALU_DEP_1) | instskip(NEXT) | instid1(VALU_DEP_1)
	v_add_f32_e32 v10, 1.0, v10
	v_rcp_f32_e32 v10, v10
	s_waitcnt_depctr 0xfff
	v_fma_f32 v10, v10, -2.0, 1.0
.LBB70_86:
	s_and_not1_saveexec_b32 s6, s6
; %bb.87:
	v_mul_f32_e32 v10, v18, v18
	s_mov_b32 s7, 0xbbbac73d
	s_delay_alu instid0(VALU_DEP_1) | instid1(SALU_CYCLE_1)
	v_fmaak_f32 v74, s7, v10, 0x3ca908c9
	s_delay_alu instid0(VALU_DEP_1) | instskip(NEXT) | instid1(VALU_DEP_1)
	v_fmaak_f32 v74, v10, v74, 0xbd5c1c4e
	v_fmaak_f32 v74, v10, v74, 0x3e088382
	s_delay_alu instid0(VALU_DEP_1) | instskip(NEXT) | instid1(VALU_DEP_1)
	v_fmaak_f32 v74, v10, v74, 0xbeaaaa99
	v_mul_f32_e64 v74, |v18|, v74
	s_delay_alu instid0(VALU_DEP_1)
	v_fma_f32 v10, v10, v74, |v18|
; %bb.88:
	s_or_b32 exec_lo, exec_lo, s6
	v_mul_hi_u32 v74, s36, v66
	s_delay_alu instid0(VALU_DEP_2) | instskip(NEXT) | instid1(VALU_DEP_1)
	v_bfi_b32 v18, 0x7fffffff, v10, v18
	v_dual_max_f32 v5, v5, v5 :: v_dual_mul_f32 v18, s23, v18
	s_delay_alu instid0(VALU_DEP_3) | instskip(NEXT) | instid1(VALU_DEP_1)
	v_add_nc_u32_e32 v74, v66, v74
	v_lshrrev_b32_e32 v74, s37, v74
	s_delay_alu instid0(VALU_DEP_1) | instskip(NEXT) | instid1(VALU_DEP_1)
	v_mul_lo_u32 v74, v74, s38
	v_sub_nc_u32_e32 v66, v66, v74
	s_waitcnt lgkmcnt(0)
	v_max_f32_e32 v74, v9, v9
	s_delay_alu instid0(VALU_DEP_2) | instskip(NEXT) | instid1(VALU_DEP_2)
	v_mad_u64_u32 v[9:10], null, v66, s10, s[12:13]
	v_max_f32_e32 v5, v5, v74
	s_and_saveexec_b32 s6, s4
	s_cbranch_execz .LBB70_93
; %bb.89:
	v_cmp_ne_u32_e32 vcc_lo, 1, v30
	s_cbranch_vccnz .LBB70_91
; %bb.90:
	s_delay_alu instid0(VALU_DEP_3) | instskip(NEXT) | instid1(VALU_DEP_1)
	v_add_nc_u32_e32 v74, v9, v40
	v_ashrrev_i32_e32 v75, 31, v74
	s_delay_alu instid0(VALU_DEP_1) | instskip(NEXT) | instid1(VALU_DEP_1)
	v_lshlrev_b64 v[74:75], 1, v[74:75]
	v_add_co_u32 v74, vcc_lo, s40, v74
	s_delay_alu instid0(VALU_DEP_2) | instskip(SKIP_3) | instid1(VALU_DEP_1)
	v_add_co_ci_u32_e32 v75, vcc_lo, s41, v75, vcc_lo
	flat_load_u16 v10, v[74:75]
	s_waitcnt vmcnt(0) lgkmcnt(0)
	v_cvt_f32_f16_e32 v10, v10
	v_mul_f32_e32 v10, v48, v10
	s_branch .LBB70_92
.LBB70_91:
	v_mov_b32_e32 v10, 0
.LBB70_92:
	s_delay_alu instid0(VALU_DEP_1) | instskip(SKIP_1) | instid1(VALU_DEP_2)
	v_add_f32_e32 v18, v18, v10
	v_max_f32_e32 v6, v6, v6
	v_add_f32_e32 v10, 0x40051340, v18
	s_delay_alu instid0(VALU_DEP_1)
	v_max_f32_e32 v6, v6, v10
.LBB70_93:
	s_or_b32 exec_lo, exec_lo, s6
	v_cmp_ngt_f32_e64 s6, 0x3f200000, |v17|
                                        ; implicit-def: $vgpr10
	s_delay_alu instid0(VALU_DEP_1) | instskip(NEXT) | instid1(SALU_CYCLE_1)
	s_and_saveexec_b32 s7, s6
	s_xor_b32 s6, exec_lo, s7
	s_cbranch_execz .LBB70_95
; %bb.94:
	v_add_f32_e64 v10, |v17|, |v17|
	s_delay_alu instid0(VALU_DEP_1) | instskip(SKIP_1) | instid1(VALU_DEP_2)
	v_mul_f32_e32 v66, 0x3fb8aa3b, v10
	v_cmp_ngt_f32_e32 vcc_lo, 0xc2ce8ed0, v10
	v_rndne_f32_e32 v74, v66
	v_fma_f32 v75, 0x3fb8aa3b, v10, -v66
	s_delay_alu instid0(VALU_DEP_2) | instskip(NEXT) | instid1(VALU_DEP_2)
	v_sub_f32_e32 v66, v66, v74
	v_fmamk_f32 v75, v10, 0x32a5705f, v75
	v_cvt_i32_f32_e32 v74, v74
	s_delay_alu instid0(VALU_DEP_2) | instskip(NEXT) | instid1(VALU_DEP_1)
	v_add_f32_e32 v66, v66, v75
	v_exp_f32_e32 v66, v66
	s_waitcnt_depctr 0xfff
	v_ldexp_f32 v66, v66, v74
	s_delay_alu instid0(VALU_DEP_1) | instskip(SKIP_1) | instid1(VALU_DEP_2)
	v_cndmask_b32_e32 v66, 0, v66, vcc_lo
	v_cmp_nlt_f32_e32 vcc_lo, 0x42b17218, v10
	v_cndmask_b32_e32 v10, 0x7f800000, v66, vcc_lo
	s_delay_alu instid0(VALU_DEP_1) | instskip(NEXT) | instid1(VALU_DEP_1)
	v_add_f32_e32 v10, 1.0, v10
	v_rcp_f32_e32 v10, v10
	s_waitcnt_depctr 0xfff
	v_fma_f32 v10, v10, -2.0, 1.0
.LBB70_95:
	s_and_not1_saveexec_b32 s6, s6
; %bb.96:
	v_mul_f32_e32 v10, v17, v17
	s_mov_b32 s7, 0xbbbac73d
	s_delay_alu instid0(VALU_DEP_1) | instid1(SALU_CYCLE_1)
	v_fmaak_f32 v66, s7, v10, 0x3ca908c9
	s_delay_alu instid0(VALU_DEP_1) | instskip(NEXT) | instid1(VALU_DEP_1)
	v_fmaak_f32 v66, v10, v66, 0xbd5c1c4e
	v_fmaak_f32 v66, v10, v66, 0x3e088382
	s_delay_alu instid0(VALU_DEP_1) | instskip(NEXT) | instid1(VALU_DEP_1)
	v_fmaak_f32 v66, v10, v66, 0xbeaaaa99
	v_mul_f32_e64 v66, |v17|, v66
	s_delay_alu instid0(VALU_DEP_1)
	v_fma_f32 v10, v10, v66, |v17|
; %bb.97:
	s_or_b32 exec_lo, exec_lo, s6
	s_delay_alu instid0(VALU_DEP_1) | instskip(NEXT) | instid1(VALU_DEP_1)
	v_bfi_b32 v10, 0x7fffffff, v10, v17
	v_mul_f32_e32 v17, s23, v10
	s_and_saveexec_b32 s6, s5
	s_cbranch_execz .LBB70_102
; %bb.98:
	v_cmp_ne_u32_e32 vcc_lo, 1, v30
	s_cbranch_vccnz .LBB70_100
; %bb.99:
	v_ashrrev_i32_e32 v10, 31, v9
	v_add_co_u32 v9, vcc_lo, v9, v40
	s_delay_alu instid0(VALU_DEP_2) | instskip(NEXT) | instid1(VALU_DEP_1)
	v_add_co_ci_u32_e32 v10, vcc_lo, 0, v10, vcc_lo
	v_lshlrev_b64 v[9:10], 1, v[9:10]
	s_delay_alu instid0(VALU_DEP_1) | instskip(NEXT) | instid1(VALU_DEP_2)
	v_add_co_u32 v9, vcc_lo, s40, v9
	v_add_co_ci_u32_e32 v10, vcc_lo, s41, v10, vcc_lo
	flat_load_u16 v9, v[9:10] offset:64
	s_waitcnt vmcnt(0) lgkmcnt(0)
	v_cvt_f32_f16_e32 v9, v9
	s_delay_alu instid0(VALU_DEP_1)
	v_mul_f32_e32 v9, v48, v9
	s_branch .LBB70_101
.LBB70_100:
	v_mov_b32_e32 v9, 0
.LBB70_101:
	s_delay_alu instid0(VALU_DEP_1) | instskip(NEXT) | instid1(VALU_DEP_1)
	v_dual_add_f32 v17, v17, v9 :: v_dual_max_f32 v6, v6, v6
	v_add_f32_e32 v9, 0x40051340, v17
	s_delay_alu instid0(VALU_DEP_1)
	v_max_f32_e32 v6, v6, v9
.LBB70_102:
	s_or_b32 exec_lo, exec_lo, s6
	ds_bpermute_b32 v9, v68, v6
	v_cmp_ngt_f32_e64 s6, 0x3f200000, |v16|
                                        ; implicit-def: $vgpr10
	s_waitcnt lgkmcnt(0)
	v_dual_max_f32 v6, v6, v6 :: v_dual_max_f32 v9, v9, v9
	s_delay_alu instid0(VALU_DEP_1) | instskip(SKIP_3) | instid1(VALU_DEP_1)
	v_max_f32_e32 v6, v6, v9
	ds_bpermute_b32 v9, v73, v6
	s_waitcnt lgkmcnt(0)
	v_max_f32_e32 v9, v9, v9
	v_max_f32_e32 v6, v6, v9
	ds_bpermute_b32 v9, v28, v6
	s_waitcnt lgkmcnt(0)
	v_max_f32_e32 v9, v9, v9
	s_delay_alu instid0(VALU_DEP_1) | instskip(SKIP_3) | instid1(VALU_DEP_1)
	v_max_f32_e32 v6, v6, v9
	ds_bpermute_b32 v9, v27, v6
	s_waitcnt lgkmcnt(0)
	v_max_f32_e32 v9, v9, v9
	v_max_f32_e32 v6, v6, v9
	ds_bpermute_b32 v9, v26, v6
	s_and_saveexec_b32 s7, s6
	s_delay_alu instid0(SALU_CYCLE_1)
	s_xor_b32 s6, exec_lo, s7
	s_cbranch_execz .LBB70_104
; %bb.103:
	v_add_f32_e64 v10, |v16|, |v16|
	s_delay_alu instid0(VALU_DEP_1) | instskip(SKIP_1) | instid1(VALU_DEP_2)
	v_mul_f32_e32 v66, 0x3fb8aa3b, v10
	v_cmp_ngt_f32_e32 vcc_lo, 0xc2ce8ed0, v10
	v_rndne_f32_e32 v74, v66
	v_fma_f32 v75, 0x3fb8aa3b, v10, -v66
	s_delay_alu instid0(VALU_DEP_2) | instskip(NEXT) | instid1(VALU_DEP_2)
	v_sub_f32_e32 v66, v66, v74
	v_fmamk_f32 v75, v10, 0x32a5705f, v75
	v_cvt_i32_f32_e32 v74, v74
	s_delay_alu instid0(VALU_DEP_2) | instskip(NEXT) | instid1(VALU_DEP_1)
	v_add_f32_e32 v66, v66, v75
	v_exp_f32_e32 v66, v66
	s_waitcnt_depctr 0xfff
	v_ldexp_f32 v66, v66, v74
	s_delay_alu instid0(VALU_DEP_1) | instskip(SKIP_1) | instid1(VALU_DEP_2)
	v_cndmask_b32_e32 v66, 0, v66, vcc_lo
	v_cmp_nlt_f32_e32 vcc_lo, 0x42b17218, v10
	v_cndmask_b32_e32 v10, 0x7f800000, v66, vcc_lo
	s_delay_alu instid0(VALU_DEP_1) | instskip(NEXT) | instid1(VALU_DEP_1)
	v_add_f32_e32 v10, 1.0, v10
	v_rcp_f32_e32 v10, v10
	s_waitcnt_depctr 0xfff
	v_fma_f32 v10, v10, -2.0, 1.0
.LBB70_104:
	s_and_not1_saveexec_b32 s6, s6
; %bb.105:
	v_mul_f32_e32 v10, v16, v16
	s_mov_b32 s7, 0xbbbac73d
	s_delay_alu instid0(VALU_DEP_1) | instid1(SALU_CYCLE_1)
	v_fmaak_f32 v66, s7, v10, 0x3ca908c9
	s_delay_alu instid0(VALU_DEP_1) | instskip(NEXT) | instid1(VALU_DEP_1)
	v_fmaak_f32 v66, v10, v66, 0xbd5c1c4e
	v_fmaak_f32 v66, v10, v66, 0x3e088382
	s_delay_alu instid0(VALU_DEP_1) | instskip(NEXT) | instid1(VALU_DEP_1)
	v_fmaak_f32 v66, v10, v66, 0xbeaaaa99
	v_mul_f32_e64 v66, |v16|, v66
	s_delay_alu instid0(VALU_DEP_1)
	v_fma_f32 v10, v10, v66, |v16|
; %bb.106:
	s_or_b32 exec_lo, exec_lo, s6
	v_mul_hi_u32 v66, s36, v65
	v_max_f32_e32 v6, v6, v6
	s_delay_alu instid0(VALU_DEP_3) | instskip(NEXT) | instid1(VALU_DEP_1)
	v_bfi_b32 v16, 0x7fffffff, v10, v16
	v_mul_f32_e32 v16, s23, v16
	s_delay_alu instid0(VALU_DEP_4) | instskip(NEXT) | instid1(VALU_DEP_1)
	v_add_nc_u32_e32 v66, v65, v66
	v_lshrrev_b32_e32 v66, s37, v66
	s_delay_alu instid0(VALU_DEP_1) | instskip(NEXT) | instid1(VALU_DEP_1)
	v_mul_lo_u32 v66, v66, s38
	v_sub_nc_u32_e32 v65, v65, v66
	s_waitcnt lgkmcnt(0)
	v_max_f32_e32 v66, v9, v9
	s_delay_alu instid0(VALU_DEP_2) | instskip(NEXT) | instid1(VALU_DEP_2)
	v_mad_u64_u32 v[9:10], null, v65, s10, s[12:13]
	v_max_f32_e32 v6, v6, v66
	s_and_saveexec_b32 s6, s4
	s_cbranch_execz .LBB70_111
; %bb.107:
	v_cmp_ne_u32_e32 vcc_lo, 1, v30
	s_cbranch_vccnz .LBB70_109
; %bb.108:
	s_delay_alu instid0(VALU_DEP_3) | instskip(NEXT) | instid1(VALU_DEP_1)
	v_add_nc_u32_e32 v65, v9, v40
	v_ashrrev_i32_e32 v66, 31, v65
	s_delay_alu instid0(VALU_DEP_1) | instskip(NEXT) | instid1(VALU_DEP_1)
	v_lshlrev_b64 v[65:66], 1, v[65:66]
	v_add_co_u32 v65, vcc_lo, s40, v65
	s_delay_alu instid0(VALU_DEP_2) | instskip(SKIP_3) | instid1(VALU_DEP_1)
	v_add_co_ci_u32_e32 v66, vcc_lo, s41, v66, vcc_lo
	flat_load_u16 v10, v[65:66]
	s_waitcnt vmcnt(0) lgkmcnt(0)
	v_cvt_f32_f16_e32 v10, v10
	v_mul_f32_e32 v10, v48, v10
	s_branch .LBB70_110
.LBB70_109:
	v_mov_b32_e32 v10, 0
.LBB70_110:
	s_delay_alu instid0(VALU_DEP_1) | instskip(NEXT) | instid1(VALU_DEP_1)
	v_dual_add_f32 v16, v16, v10 :: v_dual_max_f32 v7, v7, v7
	v_add_f32_e32 v10, 0x40051340, v16
	s_delay_alu instid0(VALU_DEP_1)
	v_max_f32_e32 v7, v7, v10
.LBB70_111:
	s_or_b32 exec_lo, exec_lo, s6
	v_cmp_ngt_f32_e64 s6, 0x3f200000, |v15|
                                        ; implicit-def: $vgpr10
	s_delay_alu instid0(VALU_DEP_1) | instskip(NEXT) | instid1(SALU_CYCLE_1)
	s_and_saveexec_b32 s7, s6
	s_xor_b32 s6, exec_lo, s7
	s_cbranch_execz .LBB70_113
; %bb.112:
	v_add_f32_e64 v10, |v15|, |v15|
	s_delay_alu instid0(VALU_DEP_1) | instskip(SKIP_1) | instid1(VALU_DEP_2)
	v_mul_f32_e32 v65, 0x3fb8aa3b, v10
	v_cmp_ngt_f32_e32 vcc_lo, 0xc2ce8ed0, v10
	v_rndne_f32_e32 v66, v65
	v_fma_f32 v74, 0x3fb8aa3b, v10, -v65
	s_delay_alu instid0(VALU_DEP_1) | instskip(SKIP_1) | instid1(VALU_DEP_2)
	v_dual_sub_f32 v65, v65, v66 :: v_dual_fmamk_f32 v74, v10, 0x32a5705f, v74
	v_cvt_i32_f32_e32 v66, v66
	v_add_f32_e32 v65, v65, v74
	s_delay_alu instid0(VALU_DEP_1) | instskip(SKIP_2) | instid1(VALU_DEP_1)
	v_exp_f32_e32 v65, v65
	s_waitcnt_depctr 0xfff
	v_ldexp_f32 v65, v65, v66
	v_cndmask_b32_e32 v65, 0, v65, vcc_lo
	v_cmp_nlt_f32_e32 vcc_lo, 0x42b17218, v10
	s_delay_alu instid0(VALU_DEP_2) | instskip(NEXT) | instid1(VALU_DEP_1)
	v_cndmask_b32_e32 v10, 0x7f800000, v65, vcc_lo
	v_add_f32_e32 v10, 1.0, v10
	s_delay_alu instid0(VALU_DEP_1)
	v_rcp_f32_e32 v10, v10
	s_waitcnt_depctr 0xfff
	v_fma_f32 v10, v10, -2.0, 1.0
.LBB70_113:
	s_and_not1_saveexec_b32 s6, s6
; %bb.114:
	v_mul_f32_e32 v10, v15, v15
	s_mov_b32 s7, 0xbbbac73d
	s_delay_alu instid0(VALU_DEP_1) | instid1(SALU_CYCLE_1)
	v_fmaak_f32 v65, s7, v10, 0x3ca908c9
	s_delay_alu instid0(VALU_DEP_1) | instskip(NEXT) | instid1(VALU_DEP_1)
	v_fmaak_f32 v65, v10, v65, 0xbd5c1c4e
	v_fmaak_f32 v65, v10, v65, 0x3e088382
	s_delay_alu instid0(VALU_DEP_1) | instskip(NEXT) | instid1(VALU_DEP_1)
	v_fmaak_f32 v65, v10, v65, 0xbeaaaa99
	v_mul_f32_e64 v65, |v15|, v65
	s_delay_alu instid0(VALU_DEP_1)
	v_fma_f32 v10, v10, v65, |v15|
; %bb.115:
	s_or_b32 exec_lo, exec_lo, s6
	s_delay_alu instid0(VALU_DEP_1) | instskip(NEXT) | instid1(VALU_DEP_1)
	v_bfi_b32 v10, 0x7fffffff, v10, v15
	v_mul_f32_e32 v15, s23, v10
	s_and_saveexec_b32 s6, s5
	s_cbranch_execz .LBB70_120
; %bb.116:
	v_cmp_ne_u32_e32 vcc_lo, 1, v30
	s_cbranch_vccnz .LBB70_118
; %bb.117:
	v_ashrrev_i32_e32 v10, 31, v9
	v_add_co_u32 v9, vcc_lo, v9, v40
	s_delay_alu instid0(VALU_DEP_2) | instskip(NEXT) | instid1(VALU_DEP_1)
	v_add_co_ci_u32_e32 v10, vcc_lo, 0, v10, vcc_lo
	v_lshlrev_b64 v[9:10], 1, v[9:10]
	s_delay_alu instid0(VALU_DEP_1) | instskip(NEXT) | instid1(VALU_DEP_2)
	v_add_co_u32 v9, vcc_lo, s40, v9
	v_add_co_ci_u32_e32 v10, vcc_lo, s41, v10, vcc_lo
	flat_load_u16 v9, v[9:10] offset:64
	s_waitcnt vmcnt(0) lgkmcnt(0)
	v_cvt_f32_f16_e32 v9, v9
	s_delay_alu instid0(VALU_DEP_1)
	v_mul_f32_e32 v9, v48, v9
	s_branch .LBB70_119
.LBB70_118:
	v_mov_b32_e32 v9, 0
.LBB70_119:
	s_delay_alu instid0(VALU_DEP_1) | instskip(SKIP_1) | instid1(VALU_DEP_2)
	v_add_f32_e32 v15, v15, v9
	v_max_f32_e32 v7, v7, v7
	v_add_f32_e32 v9, 0x40051340, v15
	s_delay_alu instid0(VALU_DEP_1)
	v_max_f32_e32 v7, v7, v9
.LBB70_120:
	s_or_b32 exec_lo, exec_lo, s6
	ds_bpermute_b32 v9, v68, v7
	v_max_f32_e32 v7, v7, v7
	v_cmp_ngt_f32_e64 s6, 0x3f200000, |v12|
                                        ; implicit-def: $vgpr10
	s_waitcnt lgkmcnt(0)
	v_max_f32_e32 v9, v9, v9
	s_delay_alu instid0(VALU_DEP_1) | instskip(SKIP_3) | instid1(VALU_DEP_1)
	v_max_f32_e32 v7, v7, v9
	ds_bpermute_b32 v9, v73, v7
	s_waitcnt lgkmcnt(0)
	v_max_f32_e32 v9, v9, v9
	v_max_f32_e32 v7, v7, v9
	ds_bpermute_b32 v9, v28, v7
	s_waitcnt lgkmcnt(0)
	v_max_f32_e32 v9, v9, v9
	s_delay_alu instid0(VALU_DEP_1) | instskip(SKIP_3) | instid1(VALU_DEP_1)
	v_max_f32_e32 v7, v7, v9
	ds_bpermute_b32 v9, v27, v7
	s_waitcnt lgkmcnt(0)
	v_max_f32_e32 v9, v9, v9
	v_max_f32_e32 v7, v7, v9
	ds_bpermute_b32 v9, v26, v7
	s_and_saveexec_b32 s7, s6
	s_delay_alu instid0(SALU_CYCLE_1)
	s_xor_b32 s6, exec_lo, s7
	s_cbranch_execz .LBB70_122
; %bb.121:
	v_add_f32_e64 v10, |v12|, |v12|
	s_delay_alu instid0(VALU_DEP_1) | instskip(SKIP_1) | instid1(VALU_DEP_2)
	v_mul_f32_e32 v65, 0x3fb8aa3b, v10
	v_cmp_ngt_f32_e32 vcc_lo, 0xc2ce8ed0, v10
	v_rndne_f32_e32 v66, v65
	v_fma_f32 v74, 0x3fb8aa3b, v10, -v65
	s_delay_alu instid0(VALU_DEP_1) | instskip(SKIP_1) | instid1(VALU_DEP_2)
	v_dual_sub_f32 v65, v65, v66 :: v_dual_fmamk_f32 v74, v10, 0x32a5705f, v74
	v_cvt_i32_f32_e32 v66, v66
	v_add_f32_e32 v65, v65, v74
	s_delay_alu instid0(VALU_DEP_1) | instskip(SKIP_2) | instid1(VALU_DEP_1)
	v_exp_f32_e32 v65, v65
	s_waitcnt_depctr 0xfff
	v_ldexp_f32 v65, v65, v66
	v_cndmask_b32_e32 v65, 0, v65, vcc_lo
	v_cmp_nlt_f32_e32 vcc_lo, 0x42b17218, v10
	s_delay_alu instid0(VALU_DEP_2) | instskip(NEXT) | instid1(VALU_DEP_1)
	v_cndmask_b32_e32 v10, 0x7f800000, v65, vcc_lo
	v_add_f32_e32 v10, 1.0, v10
	s_delay_alu instid0(VALU_DEP_1)
	v_rcp_f32_e32 v10, v10
	s_waitcnt_depctr 0xfff
	v_fma_f32 v10, v10, -2.0, 1.0
.LBB70_122:
	s_and_not1_saveexec_b32 s6, s6
; %bb.123:
	v_mul_f32_e32 v10, v12, v12
	s_mov_b32 s7, 0xbbbac73d
	s_delay_alu instid0(VALU_DEP_1) | instid1(SALU_CYCLE_1)
	v_fmaak_f32 v65, s7, v10, 0x3ca908c9
	s_delay_alu instid0(VALU_DEP_1) | instskip(NEXT) | instid1(VALU_DEP_1)
	v_fmaak_f32 v65, v10, v65, 0xbd5c1c4e
	v_fmaak_f32 v65, v10, v65, 0x3e088382
	s_delay_alu instid0(VALU_DEP_1) | instskip(NEXT) | instid1(VALU_DEP_1)
	v_fmaak_f32 v65, v10, v65, 0xbeaaaa99
	v_mul_f32_e64 v65, |v12|, v65
	s_delay_alu instid0(VALU_DEP_1)
	v_fma_f32 v10, v10, v65, |v12|
; %bb.124:
	s_or_b32 exec_lo, exec_lo, s6
	v_mul_hi_u32 v65, s36, v61
	s_delay_alu instid0(VALU_DEP_2) | instskip(NEXT) | instid1(VALU_DEP_1)
	v_bfi_b32 v12, 0x7fffffff, v10, v12
	v_dual_max_f32 v7, v7, v7 :: v_dual_mul_f32 v12, s23, v12
	s_delay_alu instid0(VALU_DEP_3) | instskip(NEXT) | instid1(VALU_DEP_1)
	v_add_nc_u32_e32 v65, v61, v65
	v_lshrrev_b32_e32 v65, s37, v65
	s_delay_alu instid0(VALU_DEP_1) | instskip(NEXT) | instid1(VALU_DEP_1)
	v_mul_lo_u32 v65, v65, s38
	v_sub_nc_u32_e32 v61, v61, v65
	s_waitcnt lgkmcnt(0)
	v_max_f32_e32 v65, v9, v9
	s_delay_alu instid0(VALU_DEP_2) | instskip(NEXT) | instid1(VALU_DEP_2)
	v_mad_u64_u32 v[9:10], null, v61, s10, s[12:13]
	v_max_f32_e32 v7, v7, v65
	s_and_saveexec_b32 s6, s4
	s_cbranch_execz .LBB70_129
; %bb.125:
	v_cmp_ne_u32_e32 vcc_lo, 1, v30
	s_cbranch_vccnz .LBB70_127
; %bb.126:
	s_delay_alu instid0(VALU_DEP_3) | instskip(NEXT) | instid1(VALU_DEP_1)
	v_add_nc_u32_e32 v65, v9, v40
	v_ashrrev_i32_e32 v66, 31, v65
	s_delay_alu instid0(VALU_DEP_1) | instskip(NEXT) | instid1(VALU_DEP_1)
	v_lshlrev_b64 v[65:66], 1, v[65:66]
	v_add_co_u32 v65, vcc_lo, s40, v65
	s_delay_alu instid0(VALU_DEP_2) | instskip(SKIP_3) | instid1(VALU_DEP_1)
	v_add_co_ci_u32_e32 v66, vcc_lo, s41, v66, vcc_lo
	flat_load_u16 v10, v[65:66]
	s_waitcnt vmcnt(0) lgkmcnt(0)
	v_cvt_f32_f16_e32 v10, v10
	v_mul_f32_e32 v10, v48, v10
	s_branch .LBB70_128
.LBB70_127:
	v_mov_b32_e32 v10, 0
.LBB70_128:
	s_delay_alu instid0(VALU_DEP_1) | instskip(SKIP_1) | instid1(VALU_DEP_2)
	v_add_f32_e32 v12, v12, v10
	v_max_f32_e32 v8, v8, v8
	v_add_f32_e32 v10, 0x40051340, v12
	s_delay_alu instid0(VALU_DEP_1)
	v_max_f32_e32 v8, v8, v10
.LBB70_129:
	s_or_b32 exec_lo, exec_lo, s6
	v_cmp_ngt_f32_e64 s4, 0x3f200000, |v11|
                                        ; implicit-def: $vgpr10
	s_delay_alu instid0(VALU_DEP_1) | instskip(NEXT) | instid1(SALU_CYCLE_1)
	s_and_saveexec_b32 s6, s4
	s_xor_b32 s4, exec_lo, s6
	s_cbranch_execz .LBB70_131
; %bb.130:
	v_add_f32_e64 v10, |v11|, |v11|
	s_delay_alu instid0(VALU_DEP_1) | instskip(SKIP_1) | instid1(VALU_DEP_2)
	v_mul_f32_e32 v61, 0x3fb8aa3b, v10
	v_cmp_ngt_f32_e32 vcc_lo, 0xc2ce8ed0, v10
	v_rndne_f32_e32 v65, v61
	v_fma_f32 v66, 0x3fb8aa3b, v10, -v61
	s_delay_alu instid0(VALU_DEP_1) | instskip(SKIP_1) | instid1(VALU_DEP_2)
	v_dual_sub_f32 v61, v61, v65 :: v_dual_fmamk_f32 v66, v10, 0x32a5705f, v66
	v_cvt_i32_f32_e32 v65, v65
	v_add_f32_e32 v61, v61, v66
	s_delay_alu instid0(VALU_DEP_1) | instskip(SKIP_2) | instid1(VALU_DEP_1)
	v_exp_f32_e32 v61, v61
	s_waitcnt_depctr 0xfff
	v_ldexp_f32 v61, v61, v65
	v_cndmask_b32_e32 v61, 0, v61, vcc_lo
	v_cmp_nlt_f32_e32 vcc_lo, 0x42b17218, v10
	s_delay_alu instid0(VALU_DEP_2) | instskip(NEXT) | instid1(VALU_DEP_1)
	v_cndmask_b32_e32 v10, 0x7f800000, v61, vcc_lo
	v_add_f32_e32 v10, 1.0, v10
	s_delay_alu instid0(VALU_DEP_1)
	v_rcp_f32_e32 v10, v10
	s_waitcnt_depctr 0xfff
	v_fma_f32 v10, v10, -2.0, 1.0
.LBB70_131:
	s_and_not1_saveexec_b32 s4, s4
; %bb.132:
	v_mul_f32_e32 v10, v11, v11
	s_mov_b32 s6, 0xbbbac73d
	s_delay_alu instid0(VALU_DEP_1) | instid1(SALU_CYCLE_1)
	v_fmaak_f32 v61, s6, v10, 0x3ca908c9
	s_delay_alu instid0(VALU_DEP_1) | instskip(NEXT) | instid1(VALU_DEP_1)
	v_fmaak_f32 v61, v10, v61, 0xbd5c1c4e
	v_fmaak_f32 v61, v10, v61, 0x3e088382
	s_delay_alu instid0(VALU_DEP_1) | instskip(NEXT) | instid1(VALU_DEP_1)
	v_fmaak_f32 v61, v10, v61, 0xbeaaaa99
	v_mul_f32_e64 v61, |v11|, v61
	s_delay_alu instid0(VALU_DEP_1)
	v_fma_f32 v10, v10, v61, |v11|
; %bb.133:
	s_or_b32 exec_lo, exec_lo, s4
	s_delay_alu instid0(VALU_DEP_1) | instskip(NEXT) | instid1(VALU_DEP_1)
	v_bfi_b32 v10, 0x7fffffff, v10, v11
	v_mul_f32_e32 v10, s23, v10
	s_and_saveexec_b32 s4, s5
	s_cbranch_execz .LBB70_138
; %bb.134:
	v_cmp_ne_u32_e32 vcc_lo, 1, v30
	s_cbranch_vccnz .LBB70_136
; %bb.135:
	v_ashrrev_i32_e32 v11, 31, v9
	v_add_co_u32 v65, vcc_lo, v9, v40
	s_delay_alu instid0(VALU_DEP_2) | instskip(NEXT) | instid1(VALU_DEP_1)
	v_add_co_ci_u32_e32 v66, vcc_lo, 0, v11, vcc_lo
	v_lshlrev_b64 v[65:66], 1, v[65:66]
	s_delay_alu instid0(VALU_DEP_1) | instskip(NEXT) | instid1(VALU_DEP_2)
	v_add_co_u32 v65, vcc_lo, s40, v65
	v_add_co_ci_u32_e32 v66, vcc_lo, s41, v66, vcc_lo
	flat_load_u16 v9, v[65:66] offset:64
	s_waitcnt vmcnt(0) lgkmcnt(0)
	v_cvt_f32_f16_e32 v9, v9
	s_delay_alu instid0(VALU_DEP_1)
	v_mul_f32_e32 v9, v48, v9
	s_branch .LBB70_137
.LBB70_136:
	v_mov_b32_e32 v9, 0
.LBB70_137:
	s_delay_alu instid0(VALU_DEP_1) | instskip(NEXT) | instid1(VALU_DEP_1)
	v_add_f32_e32 v10, v10, v9
	v_dual_max_f32 v8, v8, v8 :: v_dual_add_f32 v9, 0x40051340, v10
	s_delay_alu instid0(VALU_DEP_1)
	v_max_f32_e32 v8, v8, v9
.LBB70_138:
	s_or_b32 exec_lo, exec_lo, s4
	ds_bpermute_b32 v9, v68, v8
	v_max_f32_e32 v8, v8, v8
	s_waitcnt lgkmcnt(0)
	s_barrier
	buffer_gl0_inv
	s_load_b64 s[0:1], s[0:1], 0x4
	v_bfe_u32 v0, v0, 20, 10
	v_add_nc_u32_e32 v68, v41, v45
	v_dual_mov_b32 v66, 0 :: v_dual_add_nc_u32 v75, 16, v43
	s_delay_alu instid0(VALU_DEP_1) | instskip(SKIP_1) | instid1(VALU_DEP_1)
	v_lshl_add_u32 v76, v75, 9, v45
	v_max_f32_e32 v9, v9, v9
	v_max_f32_e32 v8, v8, v9
	s_waitcnt lgkmcnt(0)
	s_lshr_b32 s0, s0, 16
	s_delay_alu instid0(SALU_CYCLE_1) | instskip(SKIP_2) | instid1(VALU_DEP_1)
	s_mul_i32 s0, s0, s1
	ds_bpermute_b32 v9, v73, v8
	v_add_nc_u32_e32 v73, 8, v43
	v_lshl_add_u32 v74, v73, 9, v45
	s_waitcnt lgkmcnt(0)
	v_max_f32_e32 v9, v9, v9
	s_delay_alu instid0(VALU_DEP_1) | instskip(SKIP_3) | instid1(VALU_DEP_1)
	v_max_f32_e32 v8, v8, v9
	ds_bpermute_b32 v9, v28, v8
	s_waitcnt lgkmcnt(0)
	v_max_f32_e32 v9, v9, v9
	v_max_f32_e32 v8, v8, v9
	ds_bpermute_b32 v9, v27, v8
	s_waitcnt lgkmcnt(0)
	v_max_f32_e32 v9, v9, v9
	s_delay_alu instid0(VALU_DEP_1) | instskip(SKIP_3) | instid1(VALU_DEP_1)
	v_max_f32_e32 v8, v8, v9
	ds_bpermute_b32 v9, v26, v8
	s_waitcnt lgkmcnt(0)
	v_max_f32_e32 v9, v9, v9
	v_max_f32_e32 v8, v8, v9
	s_delay_alu instid0(VALU_DEP_1) | instskip(NEXT) | instid1(VALU_DEP_1)
	v_dual_sub_f32 v12, v12, v8 :: v_dual_sub_f32 v9, v25, v5
	v_cmp_ngt_f32_e64 s9, 0xc2ce8ed0, v12
	s_delay_alu instid0(VALU_DEP_2) | instskip(SKIP_3) | instid1(VALU_DEP_4)
	v_mul_f32_e32 v11, 0x3fb8aa3b, v9
	v_cmp_ngt_f32_e32 vcc_lo, 0xc2ce8ed0, v9
	v_cmp_nlt_f32_e64 s4, 0x42b17218, v9
	v_cmp_nlt_f32_e64 s10, 0x42b17218, v12
	v_fma_f32 v25, 0x3fb8aa3b, v9, -v11
	s_delay_alu instid0(VALU_DEP_1) | instskip(SKIP_1) | instid1(VALU_DEP_1)
	v_fmac_f32_e32 v25, 0x32a5705f, v9
	v_sub_f32_e32 v9, v18, v6
	v_mul_f32_e32 v18, 0x3fb8aa3b, v9
	v_cmp_ngt_f32_e64 s5, 0xc2ce8ed0, v9
	v_cmp_nlt_f32_e64 s6, 0x42b17218, v9
	s_delay_alu instid0(VALU_DEP_3) | instskip(NEXT) | instid1(VALU_DEP_1)
	v_fma_f32 v26, 0x3fb8aa3b, v9, -v18
	v_dual_fmac_f32 v26, 0x32a5705f, v9 :: v_dual_sub_f32 v9, v16, v7
	s_delay_alu instid0(VALU_DEP_1) | instskip(SKIP_2) | instid1(VALU_DEP_3)
	v_mul_f32_e32 v16, 0x3fb8aa3b, v9
	v_cmp_ngt_f32_e64 s7, 0xc2ce8ed0, v9
	v_cmp_nlt_f32_e64 s8, 0x42b17218, v9
	v_fma_f32 v27, 0x3fb8aa3b, v9, -v16
	s_delay_alu instid0(VALU_DEP_1) | instskip(SKIP_1) | instid1(VALU_DEP_1)
	v_fmac_f32_e32 v27, 0x32a5705f, v9
	v_rndne_f32_e32 v9, v11
	v_sub_f32_e32 v11, v11, v9
	v_cvt_i32_f32_e32 v9, v9
	s_delay_alu instid0(VALU_DEP_2) | instskip(SKIP_1) | instid1(VALU_DEP_2)
	v_add_f32_e32 v11, v11, v25
	v_rndne_f32_e32 v25, v18
	v_exp_f32_e32 v11, v11
	s_delay_alu instid0(VALU_DEP_1) | instskip(NEXT) | instid1(VALU_DEP_1)
	v_sub_f32_e32 v18, v18, v25
	v_add_f32_e32 v18, v18, v26
	v_rndne_f32_e32 v26, v16
	s_waitcnt_depctr 0xfff
	v_ldexp_f32 v9, v11, v9
	v_exp_f32_e32 v11, v18
	v_cvt_i32_f32_e32 v18, v25
	s_delay_alu instid0(VALU_DEP_2) | instskip(SKIP_1) | instid1(VALU_DEP_2)
	v_dual_sub_f32 v16, v16, v26 :: v_dual_cndmask_b32 v9, 0, v9
	v_cmp_gt_u32_e32 vcc_lo, s19, v40
	v_add_f32_e32 v16, v16, v27
	s_delay_alu instid0(VALU_DEP_3) | instskip(SKIP_4) | instid1(VALU_DEP_2)
	v_cndmask_b32_e64 v9, 0x7f800000, v9, s4
	s_waitcnt_depctr 0xfff
	v_ldexp_f32 v11, v11, v18
	v_mul_f32_e32 v18, 0x3fb8aa3b, v12
	v_exp_f32_e32 v16, v16
	v_cndmask_b32_e64 v11, 0, v11, s5
	s_delay_alu instid0(VALU_DEP_2) | instskip(SKIP_1) | instid1(VALU_DEP_3)
	v_fma_f32 v25, 0x3fb8aa3b, v12, -v18
	v_rndne_f32_e32 v27, v18
	v_cndmask_b32_e64 v11, 0x7f800000, v11, s6
	s_delay_alu instid0(VALU_DEP_2) | instskip(NEXT) | instid1(VALU_DEP_1)
	v_dual_fmac_f32 v25, 0x32a5705f, v12 :: v_dual_sub_f32 v18, v18, v27
	v_add_f32_e32 v18, v18, v25
	v_cvt_i32_f32_e32 v25, v26
	s_delay_alu instid0(VALU_DEP_4) | instskip(NEXT) | instid1(VALU_DEP_3)
	v_cndmask_b32_e32 v26, 0, v11, vcc_lo
	v_exp_f32_e32 v12, v18
	v_cvt_i32_f32_e32 v18, v27
	s_delay_alu instid0(VALU_DEP_3) | instskip(SKIP_2) | instid1(VALU_DEP_3)
	v_ldexp_f32 v16, v16, v25
	v_cndmask_b32_e32 v27, 0, v9, vcc_lo
	v_cvt_f16_f32_e32 v11, v26
	v_cndmask_b32_e64 v16, 0, v16, s7
	s_delay_alu instid0(VALU_DEP_3) | instskip(NEXT) | instid1(TRANS32_DEP_1)
	v_cvt_f16_f32_e32 v9, v27
	v_ldexp_f32 v12, v12, v18
	s_delay_alu instid0(VALU_DEP_3) | instskip(NEXT) | instid1(VALU_DEP_3)
	v_cndmask_b32_e64 v16, 0x7f800000, v16, s8
	v_pack_b32_f16 v11, v9, v11
	s_delay_alu instid0(VALU_DEP_3) | instskip(NEXT) | instid1(VALU_DEP_3)
	v_cndmask_b32_e64 v12, 0, v12, s9
	v_cndmask_b32_e32 v25, 0, v16, vcc_lo
	s_delay_alu instid0(VALU_DEP_2) | instskip(NEXT) | instid1(VALU_DEP_2)
	v_cndmask_b32_e64 v12, 0x7f800000, v12, s10
	v_cvt_f16_f32_e32 v9, v25
	s_delay_alu instid0(VALU_DEP_2) | instskip(NEXT) | instid1(VALU_DEP_1)
	v_cndmask_b32_e32 v28, 0, v12, vcc_lo
	v_cvt_f16_f32_e32 v12, v28
	s_delay_alu instid0(VALU_DEP_1) | instskip(SKIP_3) | instid1(VALU_DEP_1)
	v_pack_b32_f16 v12, v9, v12
	v_add_nc_u32_e32 v9, v47, v44
	ds_store_b64 v9, v[11:12]
	v_sub_f32_e32 v9, v29, v5
	v_mul_f32_e32 v11, 0x3fb8aa3b, v9
	v_cmp_ngt_f32_e32 vcc_lo, 0xc2ce8ed0, v9
	v_cmp_nlt_f32_e64 s4, 0x42b17218, v9
	s_delay_alu instid0(VALU_DEP_3) | instskip(NEXT) | instid1(VALU_DEP_1)
	v_fma_f32 v12, 0x3fb8aa3b, v9, -v11
	v_dual_fmac_f32 v12, 0x32a5705f, v9 :: v_dual_sub_f32 v9, v17, v6
	v_sub_f32_e32 v10, v10, v8
	s_delay_alu instid0(VALU_DEP_2) | instskip(SKIP_2) | instid1(VALU_DEP_4)
	v_mul_f32_e32 v16, 0x3fb8aa3b, v9
	v_cmp_ngt_f32_e64 s5, 0xc2ce8ed0, v9
	v_cmp_nlt_f32_e64 s6, 0x42b17218, v9
	v_cmp_ngt_f32_e64 s9, 0xc2ce8ed0, v10
	v_cmp_nlt_f32_e64 s10, 0x42b17218, v10
	v_fma_f32 v17, 0x3fb8aa3b, v9, -v16
	s_delay_alu instid0(VALU_DEP_1) | instskip(SKIP_1) | instid1(VALU_DEP_1)
	v_fmac_f32_e32 v17, 0x32a5705f, v9
	v_sub_f32_e32 v9, v15, v7
	v_mul_f32_e32 v15, 0x3fb8aa3b, v9
	v_cmp_ngt_f32_e64 s7, 0xc2ce8ed0, v9
	v_cmp_nlt_f32_e64 s8, 0x42b17218, v9
	s_delay_alu instid0(VALU_DEP_3) | instskip(NEXT) | instid1(VALU_DEP_1)
	v_fma_f32 v18, 0x3fb8aa3b, v9, -v15
	v_fmac_f32_e32 v18, 0x32a5705f, v9
	v_rndne_f32_e32 v9, v11
	s_delay_alu instid0(VALU_DEP_1) | instskip(SKIP_1) | instid1(VALU_DEP_2)
	v_sub_f32_e32 v11, v11, v9
	v_cvt_i32_f32_e32 v9, v9
	v_add_f32_e32 v11, v11, v12
	v_rndne_f32_e32 v12, v16
	s_delay_alu instid0(VALU_DEP_2) | instskip(NEXT) | instid1(VALU_DEP_1)
	v_exp_f32_e32 v11, v11
	v_sub_f32_e32 v16, v16, v12
	v_cvt_i32_f32_e32 v12, v12
	s_delay_alu instid0(VALU_DEP_2)
	v_add_f32_e32 v16, v16, v17
	v_rndne_f32_e32 v17, v15
	s_waitcnt_depctr 0xfff
	v_ldexp_f32 v9, v11, v9
	v_exp_f32_e32 v11, v16
	v_sub_f32_e32 v15, v15, v17
	s_delay_alu instid0(VALU_DEP_2) | instskip(SKIP_1) | instid1(VALU_DEP_3)
	v_cndmask_b32_e32 v9, 0, v9, vcc_lo
	v_cmp_gt_u32_e32 vcc_lo, s19, v67
	v_add_f32_e32 v15, v15, v18
	s_delay_alu instid0(VALU_DEP_3)
	v_cndmask_b32_e64 v9, 0x7f800000, v9, s4
	s_waitcnt_depctr 0xfff
	v_ldexp_f32 v11, v11, v12
	v_mul_f32_e32 v12, 0x3fb8aa3b, v10
	v_exp_f32_e32 v15, v15
	s_lshl_b32 s4, s13, 3
	v_cndmask_b32_e32 v61, 0, v9, vcc_lo
	v_cndmask_b32_e64 v11, 0, v11, s5
	v_fma_f32 v16, 0x3fb8aa3b, v10, -v12
	v_rndne_f32_e32 v18, v12
	s_delay_alu instid0(VALU_DEP_4) | instskip(NEXT) | instid1(VALU_DEP_4)
	v_cvt_f16_f32_e32 v9, v61
	v_cndmask_b32_e64 v11, 0x7f800000, v11, s6
	s_delay_alu instid0(VALU_DEP_4) | instskip(NEXT) | instid1(VALU_DEP_4)
	v_fmac_f32_e32 v16, 0x32a5705f, v10
	v_sub_f32_e32 v12, v12, v18
	s_delay_alu instid0(VALU_DEP_3) | instskip(NEXT) | instid1(VALU_DEP_2)
	v_cndmask_b32_e32 v48, 0, v11, vcc_lo
	v_add_f32_e32 v12, v12, v16
	v_cvt_i32_f32_e32 v16, v17
	s_delay_alu instid0(VALU_DEP_2) | instskip(SKIP_1) | instid1(VALU_DEP_2)
	v_exp_f32_e32 v10, v12
	v_cvt_i32_f32_e32 v12, v18
	v_ldexp_f32 v15, v15, v16
	s_waitcnt_depctr 0xfff
	v_ldexp_f32 v10, v10, v12
	v_cndmask_b32_e64 v12, 0, v15, s7
	s_delay_alu instid0(VALU_DEP_2) | instskip(NEXT) | instid1(VALU_DEP_2)
	v_cndmask_b32_e64 v10, 0, v10, s9
	v_cndmask_b32_e64 v12, 0x7f800000, v12, s8
	s_mov_b64 s[8:9], src_shared_base
	s_delay_alu instid0(VALU_DEP_2) | instskip(NEXT) | instid1(VALU_DEP_1)
	v_cndmask_b32_e64 v10, 0x7f800000, v10, s10
	v_dual_cndmask_b32 v30, 0, v12 :: v_dual_cndmask_b32 v29, 0, v10
	v_cvt_f16_f32_e32 v10, v48
	v_cmp_gt_i32_e32 vcc_lo, s19, v43
	s_delay_alu instid0(VALU_DEP_3) | instskip(NEXT) | instid1(VALU_DEP_3)
	v_cvt_f16_f32_e32 v11, v29
	v_pack_b32_f16 v9, v9, v10
	v_cvt_f16_f32_e32 v10, v30
	s_delay_alu instid0(VALU_DEP_1) | instskip(SKIP_4) | instid1(VALU_DEP_1)
	v_pack_b32_f16 v10, v10, v11
	v_lshl_add_u32 v11, v67, 3, v47
	ds_store_b64 v11, v[9:10]
	v_mul_lo_u32 v9, s0, v40
	s_mul_i32 s0, s12, s13
	v_mad_u32_u24 v9, v43, s1, v9
	s_mul_hi_i32 s1, s12, s13
	s_delay_alu instid0(SALU_CYCLE_1) | instskip(NEXT) | instid1(VALU_DEP_1)
	s_lshl_b64 s[0:1], s[0:1], 2
	v_add_lshl_u32 v47, v9, v0, 4
	v_lshlrev_b64 v[9:10], 2, v[13:14]
	s_add_u32 s5, s15, s0
	s_addc_u32 s6, s16, s1
	ds_store_b32 v47, v66 offset:37888
	ds_store_b32 v47, v66 offset:37900
	v_add_nc_u32_e32 v65, 0x9400, v47
	v_add_co_u32 v0, s0, s5, v9
	s_delay_alu instid0(VALU_DEP_1) | instskip(SKIP_1) | instid1(VALU_DEP_3)
	v_add_co_ci_u32_e64 v11, s0, s6, v10, s0
	v_add_nc_u32_e32 v67, 0x9404, v47
	v_add_co_u32 v0, s1, v0, v45
	s_delay_alu instid0(VALU_DEP_1)
	v_add_co_ci_u32_e64 v11, s0, 0, v11, s1
	ds_store_2addr_b32 v67, v66, v66 offset1:1
	v_cndmask_b32_e32 v12, s9, v11, vcc_lo
	v_cndmask_b32_e32 v11, v65, v0, vcc_lo
	v_cmp_gt_i32_e32 vcc_lo, s19, v73
	flat_load_b128 v[14:17], v[11:12]
	s_waitcnt vmcnt(0) lgkmcnt(0)
	ds_store_b128 v68, v[14:17]
	v_add_nc_u32_e32 v17, s4, v13
	ds_store_b32 v47, v66 offset:37888
	ds_store_2addr_b32 v67, v66, v66 offset1:1
	ds_store_b32 v47, v66 offset:37900
	v_ashrrev_i32_e32 v18, 31, v17
	v_add_nc_u32_e32 v77, s4, v17
	s_delay_alu instid0(VALU_DEP_2) | instskip(NEXT) | instid1(VALU_DEP_2)
	v_lshlrev_b64 v[11:12], 2, v[17:18]
	v_ashrrev_i32_e32 v78, 31, v77
	s_delay_alu instid0(VALU_DEP_2) | instskip(NEXT) | instid1(VALU_DEP_1)
	v_add_co_u32 v0, s0, s5, v11
	v_add_co_ci_u32_e64 v13, s0, s6, v12, s0
	s_delay_alu instid0(VALU_DEP_2) | instskip(NEXT) | instid1(VALU_DEP_1)
	v_add_co_u32 v0, s1, v0, v45
	v_add_co_ci_u32_e64 v13, s0, 0, v13, s1
	s_delay_alu instid0(VALU_DEP_1) | instskip(NEXT) | instid1(VALU_DEP_3)
	v_cndmask_b32_e32 v14, s9, v13, vcc_lo
	v_cndmask_b32_e32 v13, v65, v0, vcc_lo
	v_cmp_gt_i32_e32 vcc_lo, s19, v75
	flat_load_b128 v[13:16], v[13:14]
	s_waitcnt vmcnt(0) lgkmcnt(0)
	ds_store_b128 v74, v[13:16]
	v_lshlrev_b64 v[13:14], 2, v[77:78]
	ds_store_b32 v47, v66 offset:37888
	ds_store_2addr_b32 v67, v66, v66 offset1:1
	ds_store_b32 v47, v66 offset:37900
	v_add_co_u32 v0, s0, s5, v13
	s_delay_alu instid0(VALU_DEP_1) | instskip(NEXT) | instid1(VALU_DEP_2)
	v_add_co_ci_u32_e64 v15, s0, s6, v14, s0
	v_add_co_u32 v0, s1, v0, v45
	s_delay_alu instid0(VALU_DEP_1) | instskip(NEXT) | instid1(VALU_DEP_1)
	v_add_co_ci_u32_e64 v15, s0, 0, v15, s1
	v_cndmask_b32_e32 v16, s9, v15, vcc_lo
	s_delay_alu instid0(VALU_DEP_3)
	v_cndmask_b32_e32 v15, v65, v0, vcc_lo
	flat_load_b128 v[15:18], v[15:16]
	s_waitcnt vmcnt(0) lgkmcnt(0)
	ds_store_b128 v76, v[15:18]
	v_add_nc_u32_e32 v15, s4, v77
	ds_store_b32 v47, v66 offset:37888
	ds_store_2addr_b32 v67, v66, v66 offset1:1
	ds_store_b32 v47, v66 offset:37900
	v_ashrrev_i32_e32 v16, 31, v15
	s_delay_alu instid0(VALU_DEP_1) | instskip(NEXT) | instid1(VALU_DEP_1)
	v_lshlrev_b64 v[15:16], 2, v[15:16]
	v_add_co_u32 v0, s0, s5, v15
	s_delay_alu instid0(VALU_DEP_1) | instskip(NEXT) | instid1(VALU_DEP_2)
	v_add_co_ci_u32_e64 v17, s0, s6, v16, s0
	v_add_co_u32 v0, s1, v0, v45
	s_delay_alu instid0(VALU_DEP_1) | instskip(SKIP_1) | instid1(VALU_DEP_1)
	v_add_co_ci_u32_e64 v17, s0, 0, v17, s1
	v_add_nc_u32_e32 v77, 24, v43
	v_cmp_gt_i32_e32 vcc_lo, s19, v77
	s_delay_alu instid0(VALU_DEP_3)
	v_cndmask_b32_e32 v18, s9, v17, vcc_lo
	v_cndmask_b32_e32 v17, v65, v0, vcc_lo
	v_dual_sub_f32 v0, v1, v5 :: v_dual_sub_f32 v1, v2, v6
	v_dual_sub_f32 v2, v3, v7 :: v_dual_sub_f32 v3, v4, v8
	flat_load_b128 v[80:83], v[17:18]
	v_mul_f32_e32 v4, 0x3fb8aa3b, v0
	v_cmp_ngt_f32_e32 vcc_lo, 0xc2ce8ed0, v0
	v_cmp_nlt_f32_e64 s0, 0x42b17218, v0
	v_cmp_ngt_f32_e64 s1, 0xc2ce8ed0, v1
	v_cmp_nlt_f32_e64 s4, 0x42b17218, v1
	v_fma_f32 v17, 0x3fb8aa3b, v0, -v4
	v_cmp_ngt_f32_e64 s5, 0xc2ce8ed0, v2
	v_cmp_nlt_f32_e64 s6, 0x42b17218, v2
	v_cmp_ngt_f32_e64 s7, 0xc2ce8ed0, v3
	v_cmp_nlt_f32_e64 s8, 0x42b17218, v3
	v_fmac_f32_e32 v17, 0x32a5705f, v0
	v_mul_f32_e32 v0, 0x3fb8aa3b, v1
	v_lshl_add_u32 v79, v77, 9, v45
	s_delay_alu instid0(VALU_DEP_2) | instskip(NEXT) | instid1(VALU_DEP_1)
	v_fma_f32 v18, 0x3fb8aa3b, v1, -v0
	v_fmac_f32_e32 v18, 0x32a5705f, v1
	v_mul_f32_e32 v1, 0x3fb8aa3b, v2
	s_delay_alu instid0(VALU_DEP_1) | instskip(NEXT) | instid1(VALU_DEP_1)
	v_fma_f32 v78, 0x3fb8aa3b, v2, -v1
	v_fmac_f32_e32 v78, 0x32a5705f, v2
	v_rndne_f32_e32 v2, v4
	s_delay_alu instid0(VALU_DEP_1) | instskip(SKIP_1) | instid1(VALU_DEP_2)
	v_sub_f32_e32 v4, v4, v2
	v_cvt_i32_f32_e32 v2, v2
	v_add_f32_e32 v4, v4, v17
	v_rndne_f32_e32 v17, v0
	s_delay_alu instid0(VALU_DEP_1) | instskip(NEXT) | instid1(VALU_DEP_1)
	v_sub_f32_e32 v0, v0, v17
	v_add_f32_e32 v0, v0, v18
	v_rndne_f32_e32 v18, v1
	s_delay_alu instid0(VALU_DEP_2) | instskip(NEXT) | instid1(VALU_DEP_1)
	v_exp_f32_e32 v0, v0
	v_sub_f32_e32 v1, v1, v18
	v_exp_f32_e32 v4, v4
	s_delay_alu instid0(VALU_DEP_1) | instskip(NEXT) | instid1(VALU_DEP_1)
	v_add_f32_e32 v1, v1, v78
	v_exp_f32_e32 v1, v1
	s_waitcnt_depctr 0xfff
	v_ldexp_f32 v2, v4, v2
	v_cvt_i32_f32_e32 v4, v17
	s_delay_alu instid0(VALU_DEP_2) | instskip(NEXT) | instid1(VALU_DEP_2)
	v_cndmask_b32_e32 v2, 0, v2, vcc_lo
	v_ldexp_f32 v0, v0, v4
	v_mul_f32_e32 v4, 0x3fb8aa3b, v3
	s_delay_alu instid0(VALU_DEP_2) | instskip(NEXT) | instid1(VALU_DEP_2)
	v_cndmask_b32_e64 v0, 0, v0, s1
	v_fma_f32 v17, 0x3fb8aa3b, v3, -v4
	v_rndne_f32_e32 v78, v4
	s_delay_alu instid0(VALU_DEP_1) | instskip(NEXT) | instid1(VALU_DEP_1)
	v_dual_fmac_f32 v17, 0x32a5705f, v3 :: v_dual_sub_f32 v4, v4, v78
	v_add_f32_e32 v4, v4, v17
	v_cvt_i32_f32_e32 v17, v18
	v_cndmask_b32_e64 v18, 0x7f800000, v0, s4
	s_delay_alu instid0(VALU_DEP_3) | instskip(NEXT) | instid1(VALU_DEP_2)
	v_exp_f32_e32 v4, v4
	v_ldexp_f32 v1, v1, v17
	v_cvt_i32_f32_e32 v17, v78
	v_cndmask_b32_e64 v78, 0x7f800000, v2, s0
	v_cvt_f16_f32_e32 v88, v18
	s_or_b32 s0, s12, 32
	v_cndmask_b32_e64 v1, 0, v1, s5
	s_mul_hi_i32 s1, s0, s13
	v_cvt_f16_f32_e32 v87, v78
	v_pk_mul_f16 v60, v88, v60 op_sel_hi:[0,1]
	v_ldexp_f32 v4, v4, v17
	v_cndmask_b32_e64 v17, 0x7f800000, v1, s6
	v_pk_mul_f16 v58, v88, v58 op_sel_hi:[0,1]
	v_pk_mul_f16 v62, v87, v62 op_sel_hi:[0,1]
	;; [unrolled: 1-line block ×3, first 2 shown]
	v_cndmask_b32_e64 v3, 0, v4, s7
	s_mul_i32 s0, s0, s13
	s_delay_alu instid0(SALU_CYCLE_1) | instskip(NEXT) | instid1(VALU_DEP_1)
	s_lshl_b64 s[0:1], s[0:1], 2
	v_cndmask_b32_e64 v4, 0x7f800000, v3, s8
	s_add_u32 s4, s15, s0
	s_addc_u32 s1, s16, s1
	v_add_co_u32 v9, vcc_lo, s4, v9
	s_delay_alu instid0(VALU_DEP_2) | instskip(SKIP_3) | instid1(VALU_DEP_3)
	v_cvt_f16_f32_e32 v3, v4
	s_sub_i32 s5, s19, 32
	v_add_co_ci_u32_e32 v10, vcc_lo, s1, v10, vcc_lo
	v_cmp_gt_i32_e32 vcc_lo, s5, v43
	v_pk_mul_f16 v51, v3, v51 op_sel_hi:[0,1]
	v_pk_mul_f16 v85, v3, v50 op_sel_hi:[0,1]
	;; [unrolled: 1-line block ×3, first 2 shown]
	v_cvt_f16_f32_e32 v49, v17
	v_add_co_u32 v9, s0, v9, v45
	s_delay_alu instid0(VALU_DEP_1) | instskip(NEXT) | instid1(VALU_DEP_3)
	v_add_co_ci_u32_e64 v10, s0, 0, v10, s0
	v_pk_mul_f16 v56, v49, v56 op_sel_hi:[0,1]
	v_pk_mul_f16 v89, v49, v55 op_sel_hi:[0,1]
	s_delay_alu instid0(VALU_DEP_4) | instskip(NEXT) | instid1(VALU_DEP_4)
	v_cndmask_b32_e32 v9, v65, v9, vcc_lo
	v_cndmask_b32_e32 v10, s9, v10, vcc_lo
	s_waitcnt vmcnt(0) lgkmcnt(0)
	ds_store_b128 v79, v[80:83]
	v_pk_mul_f16 v80, v3, v52 op_sel_hi:[0,1]
	s_waitcnt lgkmcnt(0)
	s_barrier
	buffer_gl0_inv
	ds_load_2addr_b64 v[81:84], v44 offset1:32
	ds_load_b128 v[0:3], v41 offset:33792
	v_pk_mul_f16 v52, v87, v64 op_sel_hi:[0,1]
	v_pk_mul_f16 v64, v88, v59 op_sel_hi:[0,1]
	;; [unrolled: 1-line block ×3, first 2 shown]
	s_waitcnt lgkmcnt(0)
	v_pk_fma_f16 v50, v81, v1, v51 op_sel:[0,1,0]
	v_pk_fma_f16 v51, v82, v0, v52 op_sel_hi:[1,0,1]
	v_pk_fma_f16 v52, v82, v0, v60 op_sel:[0,1,0]
	v_pk_fma_f16 v54, v82, v1, v56 op_sel_hi:[1,0,1]
	;; [unrolled: 2-line block ×4, first 2 shown]
	v_pk_fma_f16 v60, v83, v1, v85 op_sel:[0,1,0]
	v_pk_mul_f16 v82, v81, v0 op_sel_hi:[1,0]
	v_pk_mul_f16 v83, v81, v0 op_sel:[0,1]
	v_pk_fma_f16 v62, v84, v0, v63 op_sel_hi:[1,0,1]
	v_pk_fma_f16 v63, v84, v0, v64 op_sel:[0,1,0]
	v_pk_fma_f16 v64, v84, v1, v89 op_sel_hi:[1,0,1]
	v_pk_fma_f16 v80, v84, v1, v86 op_sel:[0,1,0]
	v_pk_mul_f16 v0, v81, v1 op_sel_hi:[1,0]
	v_pk_fma_f16 v1, v87, v57, v82 op_sel_hi:[0,1,1]
	v_pk_fma_f16 v53, v88, v53, v83 op_sel_hi:[0,1,1]
	ds_load_2addr_b64 v[81:84], v44 offset0:64 offset1:96
	v_pk_fma_f16 v0, v49, v46, v0 op_sel_hi:[0,1,1]
	s_waitcnt lgkmcnt(0)
	v_pk_fma_f16 v46, v81, v3, v50 op_sel:[0,1,0]
	v_pk_fma_f16 v57, v82, v2, v51 op_sel_hi:[1,0,1]
	v_pk_fma_f16 v85, v82, v2, v52 op_sel:[0,1,0]
	v_pk_fma_f16 v54, v82, v3, v54 op_sel_hi:[1,0,1]
	;; [unrolled: 2-line block ×8, first 2 shown]
	ds_load_b128 v[0:3], v41 offset:33808
	ds_load_2addr_b64 v[49:52], v44 offset0:128 offset1:160
	s_waitcnt lgkmcnt(0)
	v_pk_fma_f16 v46, v49, v1, v46 op_sel:[0,1,0]
	v_pk_fma_f16 v57, v50, v0, v57 op_sel_hi:[1,0,1]
	v_pk_fma_f16 v83, v50, v0, v85 op_sel:[0,1,0]
	v_pk_fma_f16 v54, v50, v1, v54 op_sel_hi:[1,0,1]
	;; [unrolled: 2-line block ×8, first 2 shown]
	ds_load_2addr_b64 v[49:52], v44 offset0:192 offset1:224
	s_waitcnt lgkmcnt(0)
	v_pk_fma_f16 v57, v50, v2, v57 op_sel_hi:[1,0,1]
	v_pk_fma_f16 v81, v50, v2, v83 op_sel:[0,1,0]
	v_pk_fma_f16 v85, v51, v2, v56 op_sel_hi:[1,0,1]
	v_pk_fma_f16 v58, v51, v2, v58 op_sel:[0,1,0]
	;; [unrolled: 2-line block ×4, first 2 shown]
	v_add_nc_u32_e32 v0, 0x800, v44
	v_pk_fma_f16 v46, v49, v3, v46 op_sel:[0,1,0]
	v_pk_fma_f16 v83, v50, v3, v54 op_sel_hi:[1,0,1]
	v_pk_fma_f16 v84, v50, v3, v55 op_sel:[0,1,0]
	v_pk_fma_f16 v59, v51, v3, v59 op_sel_hi:[1,0,1]
	;; [unrolled: 2-line block ×4, first 2 shown]
	ds_load_b128 v[49:52], v41 offset:33824
	ds_load_2addr_b64 v[53:56], v0 offset1:32
	s_waitcnt lgkmcnt(0)
	v_pk_fma_f16 v3, v53, v50, v46 op_sel:[0,1,0]
	v_pk_fma_f16 v46, v54, v49, v57 op_sel_hi:[1,0,1]
	v_pk_fma_f16 v57, v54, v49, v81 op_sel:[0,1,0]
	v_pk_fma_f16 v81, v54, v50, v83 op_sel_hi:[1,0,1]
	;; [unrolled: 2-line block ×8, first 2 shown]
	ds_load_2addr_b64 v[53:56], v0 offset0:64 offset1:96
	s_waitcnt lgkmcnt(0)
	v_pk_fma_f16 v3, v53, v52, v3 op_sel:[0,1,0]
	v_pk_fma_f16 v46, v54, v51, v46 op_sel_hi:[1,0,1]
	v_pk_fma_f16 v57, v54, v51, v57 op_sel:[0,1,0]
	v_pk_fma_f16 v81, v54, v52, v81 op_sel_hi:[1,0,1]
	;; [unrolled: 2-line block ×8, first 2 shown]
	ds_load_b128 v[49:52], v41 offset:33840
	ds_load_2addr_b64 v[53:56], v0 offset0:128 offset1:160
	s_waitcnt lgkmcnt(0)
	v_pk_fma_f16 v3, v53, v50, v3 op_sel:[0,1,0]
	v_pk_fma_f16 v46, v54, v49, v46 op_sel_hi:[1,0,1]
	v_pk_fma_f16 v57, v54, v49, v57 op_sel:[0,1,0]
	v_pk_fma_f16 v81, v54, v50, v81 op_sel_hi:[1,0,1]
	;; [unrolled: 2-line block ×8, first 2 shown]
	ds_load_2addr_b64 v[53:56], v0 offset0:192 offset1:224
	s_waitcnt lgkmcnt(0)
	v_pk_fma_f16 v85, v53, v52, v1 op_sel_hi:[1,0,1]
	v_add_nc_u32_e32 v1, 0x1000, v44
	v_pk_fma_f16 v3, v53, v52, v3 op_sel:[0,1,0]
	v_pk_fma_f16 v46, v54, v51, v46 op_sel_hi:[1,0,1]
	v_pk_fma_f16 v57, v54, v51, v57 op_sel:[0,1,0]
	v_pk_fma_f16 v81, v54, v52, v81 op_sel_hi:[1,0,1]
	;; [unrolled: 2-line block ×7, first 2 shown]
	v_pk_fma_f16 v2, v53, v51, v2 op_sel:[0,1,0]
	ds_load_2addr_b64 v[49:52], v1 offset1:32
	ds_load_b128 v[53:56], v41 offset:33856
	s_waitcnt lgkmcnt(0)
	v_pk_fma_f16 v3, v49, v54, v3 op_sel:[0,1,0]
	v_pk_fma_f16 v46, v50, v53, v46 op_sel_hi:[1,0,1]
	v_pk_fma_f16 v57, v50, v53, v57 op_sel:[0,1,0]
	v_pk_fma_f16 v81, v50, v54, v81 op_sel_hi:[1,0,1]
	;; [unrolled: 2-line block ×8, first 2 shown]
	ds_load_2addr_b64 v[49:52], v1 offset0:64 offset1:96
	s_waitcnt lgkmcnt(0)
	v_pk_fma_f16 v3, v49, v56, v3 op_sel:[0,1,0]
	v_pk_fma_f16 v46, v50, v55, v46 op_sel_hi:[1,0,1]
	v_pk_fma_f16 v57, v50, v55, v57 op_sel:[0,1,0]
	v_pk_fma_f16 v81, v50, v56, v81 op_sel_hi:[1,0,1]
	;; [unrolled: 2-line block ×8, first 2 shown]
	ds_load_2addr_b64 v[49:52], v1 offset0:128 offset1:160
	ds_load_b128 v[53:56], v41 offset:33872
	s_waitcnt lgkmcnt(0)
	v_pk_fma_f16 v3, v49, v54, v3 op_sel:[0,1,0]
	v_pk_fma_f16 v46, v50, v53, v46 op_sel_hi:[1,0,1]
	v_pk_fma_f16 v57, v50, v53, v57 op_sel:[0,1,0]
	v_pk_fma_f16 v81, v50, v54, v81 op_sel_hi:[1,0,1]
	;; [unrolled: 2-line block ×8, first 2 shown]
	ds_load_2addr_b64 v[49:52], v1 offset0:192 offset1:224
	s_waitcnt lgkmcnt(0)
	v_pk_fma_f16 v85, v49, v55, v2 op_sel:[0,1,0]
	v_add_nc_u32_e32 v2, 0x1800, v44
	v_pk_fma_f16 v3, v49, v56, v3 op_sel:[0,1,0]
	v_pk_fma_f16 v46, v50, v55, v46 op_sel_hi:[1,0,1]
	v_pk_fma_f16 v57, v50, v55, v57 op_sel:[0,1,0]
	v_pk_fma_f16 v81, v50, v56, v81 op_sel_hi:[1,0,1]
	;; [unrolled: 2-line block ×7, first 2 shown]
	v_pk_fma_f16 v86, v49, v56, v53 op_sel_hi:[1,0,1]
	ds_load_2addr_b64 v[49:52], v2 offset1:32
	ds_load_b128 v[53:56], v41 offset:33888
	s_waitcnt lgkmcnt(0)
	v_pk_fma_f16 v3, v49, v54, v3 op_sel:[0,1,0]
	v_pk_fma_f16 v46, v50, v53, v46 op_sel_hi:[1,0,1]
	v_pk_fma_f16 v57, v50, v53, v57 op_sel:[0,1,0]
	v_pk_fma_f16 v81, v50, v54, v81 op_sel_hi:[1,0,1]
	;; [unrolled: 2-line block ×8, first 2 shown]
	ds_load_2addr_b64 v[49:52], v2 offset0:64 offset1:96
	s_waitcnt lgkmcnt(0)
	v_pk_fma_f16 v3, v49, v56, v3 op_sel:[0,1,0]
	v_pk_fma_f16 v46, v50, v55, v46 op_sel_hi:[1,0,1]
	v_pk_fma_f16 v57, v50, v55, v57 op_sel:[0,1,0]
	v_pk_fma_f16 v81, v50, v56, v81 op_sel_hi:[1,0,1]
	;; [unrolled: 2-line block ×8, first 2 shown]
	ds_load_2addr_b64 v[49:52], v2 offset0:128 offset1:160
	ds_load_b128 v[53:56], v41 offset:33904
	s_waitcnt lgkmcnt(0)
	v_pk_fma_f16 v3, v49, v54, v3 op_sel:[0,1,0]
	v_pk_fma_f16 v46, v50, v53, v46 op_sel_hi:[1,0,1]
	v_pk_fma_f16 v57, v50, v53, v57 op_sel:[0,1,0]
	v_pk_fma_f16 v81, v50, v54, v81 op_sel_hi:[1,0,1]
	;; [unrolled: 2-line block ×8, first 2 shown]
	ds_load_2addr_b64 v[49:52], v2 offset0:192 offset1:224
	s_waitcnt lgkmcnt(0)
	v_pk_fma_f16 v85, v49, v56, v3 op_sel:[0,1,0]
	v_add_nc_u32_e32 v3, 0x2000, v44
	v_pk_fma_f16 v46, v50, v55, v46 op_sel_hi:[1,0,1]
	v_pk_fma_f16 v57, v50, v55, v57 op_sel:[0,1,0]
	v_pk_fma_f16 v81, v50, v56, v81 op_sel_hi:[1,0,1]
	v_pk_fma_f16 v83, v50, v56, v83 op_sel:[0,1,0]
	;; [unrolled: 2-line block ×7, first 2 shown]
	v_pk_fma_f16 v87, v49, v56, v54 op_sel_hi:[1,0,1]
	ds_load_2addr_b64 v[49:52], v3 offset1:32
	ds_load_b128 v[53:56], v41 offset:33920
	s_waitcnt lgkmcnt(0)
	v_pk_fma_f16 v85, v49, v54, v85 op_sel:[0,1,0]
	v_pk_fma_f16 v46, v50, v53, v46 op_sel_hi:[1,0,1]
	v_pk_fma_f16 v57, v50, v53, v57 op_sel:[0,1,0]
	v_pk_fma_f16 v81, v50, v54, v81 op_sel_hi:[1,0,1]
	;; [unrolled: 2-line block ×8, first 2 shown]
	ds_load_2addr_b64 v[49:52], v3 offset0:64 offset1:96
	s_waitcnt lgkmcnt(0)
	v_pk_fma_f16 v85, v49, v56, v85 op_sel:[0,1,0]
	v_pk_fma_f16 v46, v50, v55, v46 op_sel_hi:[1,0,1]
	v_pk_fma_f16 v57, v50, v55, v57 op_sel:[0,1,0]
	v_pk_fma_f16 v81, v50, v56, v81 op_sel_hi:[1,0,1]
	;; [unrolled: 2-line block ×8, first 2 shown]
	ds_load_2addr_b64 v[49:52], v3 offset0:128 offset1:160
	ds_load_b128 v[53:56], v41 offset:33936
	s_waitcnt lgkmcnt(0)
	v_pk_fma_f16 v85, v49, v54, v85 op_sel:[0,1,0]
	v_pk_fma_f16 v46, v50, v53, v46 op_sel_hi:[1,0,1]
	v_pk_fma_f16 v57, v50, v53, v57 op_sel:[0,1,0]
	v_pk_fma_f16 v81, v50, v54, v81 op_sel_hi:[1,0,1]
	;; [unrolled: 2-line block ×8, first 2 shown]
	ds_load_2addr_b64 v[49:52], v3 offset0:192 offset1:224
	s_waitcnt lgkmcnt(0)
	v_pk_fma_f16 v86, v50, v55, v46 op_sel_hi:[1,0,1]
	v_add_nc_u32_e32 v46, 0x2800, v44
	v_pk_fma_f16 v85, v49, v56, v85 op_sel:[0,1,0]
	v_pk_fma_f16 v57, v50, v55, v57 op_sel:[0,1,0]
	v_pk_fma_f16 v81, v50, v56, v81 op_sel_hi:[1,0,1]
	v_pk_fma_f16 v83, v50, v56, v83 op_sel:[0,1,0]
	v_pk_fma_f16 v84, v51, v55, v84 op_sel_hi:[1,0,1]
	;; [unrolled: 2-line block ×7, first 2 shown]
	ds_load_2addr_b64 v[49:52], v46 offset1:32
	ds_load_b128 v[53:56], v41 offset:33952
	s_waitcnt lgkmcnt(0)
	v_pk_fma_f16 v85, v49, v54, v85 op_sel:[0,1,0]
	v_pk_fma_f16 v86, v50, v53, v86 op_sel_hi:[1,0,1]
	v_pk_fma_f16 v57, v50, v53, v57 op_sel:[0,1,0]
	v_pk_fma_f16 v81, v50, v54, v81 op_sel_hi:[1,0,1]
	;; [unrolled: 2-line block ×8, first 2 shown]
	ds_load_2addr_b64 v[49:52], v46 offset0:64 offset1:96
	s_waitcnt lgkmcnt(0)
	v_pk_fma_f16 v85, v49, v56, v85 op_sel:[0,1,0]
	v_pk_fma_f16 v86, v50, v55, v86 op_sel_hi:[1,0,1]
	v_pk_fma_f16 v57, v50, v55, v57 op_sel:[0,1,0]
	v_pk_fma_f16 v81, v50, v56, v81 op_sel_hi:[1,0,1]
	;; [unrolled: 2-line block ×8, first 2 shown]
	ds_load_2addr_b64 v[49:52], v46 offset0:128 offset1:160
	ds_load_b128 v[53:56], v41 offset:33968
	s_waitcnt lgkmcnt(0)
	v_pk_fma_f16 v85, v49, v54, v85 op_sel:[0,1,0]
	v_pk_fma_f16 v86, v50, v53, v86 op_sel_hi:[1,0,1]
	v_pk_fma_f16 v57, v50, v53, v57 op_sel:[0,1,0]
	v_pk_fma_f16 v81, v50, v54, v81 op_sel_hi:[1,0,1]
	;; [unrolled: 2-line block ×8, first 2 shown]
	ds_load_2addr_b64 v[49:52], v46 offset0:192 offset1:224
	s_waitcnt lgkmcnt(0)
	v_pk_fma_f16 v85, v49, v56, v85 op_sel:[0,1,0]
	v_pk_fma_f16 v82, v49, v55, v82 op_sel_hi:[1,0,1]
	v_pk_fma_f16 v88, v49, v55, v53 op_sel:[0,1,0]
	v_pk_fma_f16 v89, v49, v56, v54 op_sel_hi:[1,0,1]
	v_add_nc_u32_e32 v49, 0x3000, v44
	v_pk_fma_f16 v86, v50, v55, v86 op_sel_hi:[1,0,1]
	v_pk_fma_f16 v87, v50, v55, v57 op_sel:[0,1,0]
	v_pk_fma_f16 v81, v50, v56, v81 op_sel_hi:[1,0,1]
	v_pk_fma_f16 v83, v50, v56, v83 op_sel:[0,1,0]
	;; [unrolled: 2-line block ×6, first 2 shown]
	ds_load_2addr_b64 v[50:53], v49 offset1:32
	ds_load_b128 v[54:57], v41 offset:33984
	s_waitcnt lgkmcnt(0)
	v_pk_fma_f16 v85, v50, v55, v85 op_sel:[0,1,0]
	v_pk_fma_f16 v86, v51, v54, v86 op_sel_hi:[1,0,1]
	v_pk_fma_f16 v87, v51, v54, v87 op_sel:[0,1,0]
	v_pk_fma_f16 v81, v51, v55, v81 op_sel_hi:[1,0,1]
	;; [unrolled: 2-line block ×8, first 2 shown]
	ds_load_2addr_b64 v[50:53], v49 offset0:64 offset1:96
	s_waitcnt lgkmcnt(0)
	v_pk_fma_f16 v85, v50, v57, v85 op_sel:[0,1,0]
	v_pk_fma_f16 v86, v51, v56, v86 op_sel_hi:[1,0,1]
	v_pk_fma_f16 v87, v51, v56, v87 op_sel:[0,1,0]
	v_pk_fma_f16 v81, v51, v57, v81 op_sel_hi:[1,0,1]
	;; [unrolled: 2-line block ×8, first 2 shown]
	ds_load_2addr_b64 v[50:53], v49 offset0:128 offset1:160
	ds_load_b128 v[54:57], v41 offset:34000
	s_waitcnt lgkmcnt(0)
	v_pk_fma_f16 v85, v50, v55, v85 op_sel:[0,1,0]
	v_pk_fma_f16 v86, v51, v54, v86 op_sel_hi:[1,0,1]
	v_pk_fma_f16 v87, v51, v54, v87 op_sel:[0,1,0]
	v_pk_fma_f16 v81, v51, v55, v81 op_sel_hi:[1,0,1]
	;; [unrolled: 2-line block ×8, first 2 shown]
	ds_load_2addr_b64 v[50:53], v49 offset0:192 offset1:224
	s_waitcnt lgkmcnt(0)
	v_pk_fma_f16 v85, v50, v57, v85 op_sel:[0,1,0]
	v_pk_fma_f16 v82, v50, v56, v82 op_sel_hi:[1,0,1]
	v_pk_fma_f16 v89, v50, v56, v54 op_sel:[0,1,0]
	v_pk_fma_f16 v90, v50, v57, v55 op_sel_hi:[1,0,1]
	v_add_nc_u32_e32 v50, 0x3800, v44
	v_pk_fma_f16 v86, v51, v56, v86 op_sel_hi:[1,0,1]
	v_pk_fma_f16 v87, v51, v56, v87 op_sel:[0,1,0]
	v_pk_fma_f16 v81, v51, v57, v81 op_sel_hi:[1,0,1]
	v_pk_fma_f16 v83, v51, v57, v83 op_sel:[0,1,0]
	;; [unrolled: 2-line block ×6, first 2 shown]
	ds_load_2addr_b64 v[51:54], v50 offset1:32
	ds_load_b128 v[55:58], v41 offset:34016
	s_waitcnt lgkmcnt(0)
	v_pk_fma_f16 v85, v51, v56, v85 op_sel:[0,1,0]
	v_pk_fma_f16 v86, v52, v55, v86 op_sel_hi:[1,0,1]
	v_pk_fma_f16 v87, v52, v55, v87 op_sel:[0,1,0]
	v_pk_fma_f16 v81, v52, v56, v81 op_sel_hi:[1,0,1]
	;; [unrolled: 2-line block ×8, first 2 shown]
	ds_load_2addr_b64 v[51:54], v50 offset0:64 offset1:96
	s_waitcnt lgkmcnt(0)
	v_pk_fma_f16 v85, v51, v58, v85 op_sel:[0,1,0]
	v_pk_fma_f16 v86, v52, v57, v86 op_sel_hi:[1,0,1]
	v_pk_fma_f16 v87, v52, v57, v87 op_sel:[0,1,0]
	v_pk_fma_f16 v81, v52, v58, v81 op_sel_hi:[1,0,1]
	;; [unrolled: 2-line block ×8, first 2 shown]
	ds_load_2addr_b64 v[51:54], v50 offset0:128 offset1:160
	ds_load_b128 v[55:58], v41 offset:34032
	s_waitcnt lgkmcnt(0)
	v_pk_fma_f16 v85, v51, v56, v85 op_sel:[0,1,0]
	v_pk_fma_f16 v86, v52, v55, v86 op_sel_hi:[1,0,1]
	v_pk_fma_f16 v87, v52, v55, v87 op_sel:[0,1,0]
	v_pk_fma_f16 v81, v52, v56, v81 op_sel_hi:[1,0,1]
	v_pk_fma_f16 v83, v52, v56, v83 op_sel:[0,1,0]
	v_pk_fma_f16 v84, v53, v55, v84 op_sel_hi:[1,0,1]
	v_pk_fma_f16 v88, v53, v55, v88 op_sel:[0,1,0]
	v_pk_fma_f16 v59, v53, v56, v59 op_sel_hi:[1,0,1]
	v_pk_fma_f16 v60, v53, v56, v60 op_sel:[0,1,0]
	v_pk_fma_f16 v62, v54, v55, v62 op_sel_hi:[1,0,1]
	v_pk_fma_f16 v63, v54, v55, v63 op_sel:[0,1,0]
	v_pk_fma_f16 v64, v54, v56, v64 op_sel_hi:[1,0,1]
	v_pk_fma_f16 v80, v54, v56, v80 op_sel:[0,1,0]
	v_pk_fma_f16 v82, v51, v55, v82 op_sel_hi:[1,0,1]
	v_pk_fma_f16 v55, v51, v55, v89 op_sel:[0,1,0]
	v_pk_fma_f16 v56, v51, v56, v90 op_sel_hi:[1,0,1]
	ds_load_2addr_b64 v[51:54], v50 offset0:192 offset1:224
	s_waitcnt lgkmcnt(0)
	s_barrier
	buffer_gl0_inv
	ds_store_b32 v47, v66 offset:37888
	ds_store_2addr_b32 v67, v66, v66 offset1:1
	ds_store_b32 v47, v66 offset:37900
	v_pk_fma_f16 v85, v51, v58, v85 op_sel:[0,1,0]
	v_pk_fma_f16 v86, v52, v57, v86 op_sel_hi:[1,0,1]
	v_pk_fma_f16 v87, v52, v57, v87 op_sel:[0,1,0]
	v_pk_fma_f16 v81, v52, v58, v81 op_sel_hi:[1,0,1]
	;; [unrolled: 2-line block ×8, first 2 shown]
	flat_load_b128 v[51:54], v[9:10]
	v_add_co_u32 v9, vcc_lo, s4, v11
	v_add_co_ci_u32_e32 v10, vcc_lo, s1, v12, vcc_lo
	v_cmp_gt_i32_e32 vcc_lo, s5, v73
	s_delay_alu instid0(VALU_DEP_3) | instskip(NEXT) | instid1(VALU_DEP_1)
	v_add_co_u32 v9, s0, v9, v45
	v_add_co_ci_u32_e64 v10, s0, 0, v10, s0
	s_delay_alu instid0(VALU_DEP_2) | instskip(NEXT) | instid1(VALU_DEP_2)
	v_cndmask_b32_e32 v9, v65, v9, vcc_lo
	v_cndmask_b32_e32 v10, s9, v10, vcc_lo
	s_waitcnt vmcnt(0) lgkmcnt(0)
	ds_store_b128 v68, v[51:54]
	ds_store_b32 v47, v66 offset:37888
	ds_store_2addr_b32 v67, v66, v66 offset1:1
	ds_store_b32 v47, v66 offset:37900
	flat_load_b128 v[9:12], v[9:10]
	s_waitcnt vmcnt(0) lgkmcnt(0)
	ds_store_b128 v74, v[9:12]
	v_add_co_u32 v9, vcc_lo, s4, v13
	v_add_co_ci_u32_e32 v10, vcc_lo, s1, v14, vcc_lo
	v_cmp_gt_i32_e32 vcc_lo, s5, v75
	s_delay_alu instid0(VALU_DEP_3) | instskip(NEXT) | instid1(VALU_DEP_1)
	v_add_co_u32 v9, s0, v9, v45
	v_add_co_ci_u32_e64 v10, s0, 0, v10, s0
	ds_store_b32 v47, v66 offset:37888
	ds_store_2addr_b32 v67, v66, v66 offset1:1
	ds_store_b32 v47, v66 offset:37900
	v_cndmask_b32_e32 v9, v65, v9, vcc_lo
	v_cndmask_b32_e32 v10, s9, v10, vcc_lo
	flat_load_b128 v[9:12], v[9:10]
	s_waitcnt vmcnt(0) lgkmcnt(0)
	ds_store_b128 v76, v[9:12]
	ds_store_2addr_b32 v67, v66, v66 offset1:1
	ds_store_b32 v47, v66 offset:37888
	ds_store_b32 v47, v66 offset:37900
	v_add_co_u32 v9, vcc_lo, s4, v15
	v_add_co_ci_u32_e32 v10, vcc_lo, s1, v16, vcc_lo
	v_cmp_gt_i32_e32 vcc_lo, s5, v77
	s_delay_alu instid0(VALU_DEP_3) | instskip(NEXT) | instid1(VALU_DEP_1)
	v_add_co_u32 v9, s0, v9, v45
	v_add_co_ci_u32_e64 v10, s0, 0, v10, s0
	s_delay_alu instid0(VALU_DEP_2) | instskip(NEXT) | instid1(VALU_DEP_2)
	v_cndmask_b32_e32 v9, v65, v9, vcc_lo
	v_cndmask_b32_e32 v10, s9, v10, vcc_lo
	flat_load_b128 v[9:12], v[9:10]
	s_waitcnt vmcnt(0) lgkmcnt(0)
	ds_store_b128 v79, v[9:12]
	s_waitcnt lgkmcnt(0)
	s_barrier
	buffer_gl0_inv
	ds_load_2addr_b64 v[9:12], v44 offset1:32
	ds_load_b128 v[13:16], v41 offset:34048
	s_waitcnt lgkmcnt(0)
	v_pk_fma_f16 v43, v9, v13, v82 op_sel_hi:[1,0,1]
	v_pk_fma_f16 v45, v9, v13, v55 op_sel:[0,1,0]
	v_pk_fma_f16 v47, v9, v14, v56 op_sel_hi:[1,0,1]
	v_pk_fma_f16 v51, v9, v14, v85 op_sel:[0,1,0]
	;; [unrolled: 2-line block ×8, first 2 shown]
	ds_load_2addr_b64 v[9:12], v44 offset0:64 offset1:96
	s_waitcnt lgkmcnt(0)
	v_pk_fma_f16 v43, v9, v15, v43 op_sel_hi:[1,0,1]
	v_pk_fma_f16 v45, v9, v15, v45 op_sel:[0,1,0]
	v_pk_fma_f16 v47, v9, v16, v47 op_sel_hi:[1,0,1]
	v_pk_fma_f16 v51, v9, v16, v51 op_sel:[0,1,0]
	;; [unrolled: 2-line block ×8, first 2 shown]
	ds_load_b128 v[9:12], v41 offset:34064
	ds_load_2addr_b64 v[13:16], v44 offset0:128 offset1:160
	s_waitcnt lgkmcnt(0)
	v_pk_fma_f16 v43, v13, v9, v43 op_sel_hi:[1,0,1]
	v_pk_fma_f16 v45, v13, v9, v45 op_sel:[0,1,0]
	v_pk_fma_f16 v47, v13, v10, v47 op_sel_hi:[1,0,1]
	v_pk_fma_f16 v51, v13, v10, v51 op_sel:[0,1,0]
	;; [unrolled: 2-line block ×8, first 2 shown]
	ds_load_2addr_b64 v[13:16], v44 offset0:192 offset1:224
	s_waitcnt lgkmcnt(0)
	v_pk_fma_f16 v43, v13, v11, v43 op_sel_hi:[1,0,1]
	v_pk_fma_f16 v44, v13, v11, v45 op_sel:[0,1,0]
	v_pk_fma_f16 v45, v13, v12, v47 op_sel_hi:[1,0,1]
	v_pk_fma_f16 v47, v13, v12, v51 op_sel:[0,1,0]
	;; [unrolled: 2-line block ×8, first 2 shown]
	ds_load_b128 v[9:12], v41 offset:34080
	ds_load_2addr_b64 v[13:16], v0 offset1:32
	s_waitcnt lgkmcnt(0)
	v_pk_fma_f16 v43, v13, v9, v43 op_sel_hi:[1,0,1]
	v_pk_fma_f16 v44, v13, v9, v44 op_sel:[0,1,0]
	v_pk_fma_f16 v45, v13, v10, v45 op_sel_hi:[1,0,1]
	v_pk_fma_f16 v47, v13, v10, v47 op_sel:[0,1,0]
	;; [unrolled: 2-line block ×8, first 2 shown]
	ds_load_2addr_b64 v[13:16], v0 offset0:64 offset1:96
	s_waitcnt lgkmcnt(0)
	v_pk_fma_f16 v43, v13, v11, v43 op_sel_hi:[1,0,1]
	v_pk_fma_f16 v44, v13, v11, v44 op_sel:[0,1,0]
	v_pk_fma_f16 v45, v13, v12, v45 op_sel_hi:[1,0,1]
	v_pk_fma_f16 v47, v13, v12, v47 op_sel:[0,1,0]
	v_pk_fma_f16 v51, v14, v11, v51 op_sel_hi:[1,0,1]
	v_pk_fma_f16 v52, v14, v11, v52 op_sel:[0,1,0]
	v_pk_fma_f16 v53, v14, v12, v53 op_sel_hi:[1,0,1]
	v_pk_fma_f16 v54, v14, v12, v54 op_sel:[0,1,0]
	v_pk_fma_f16 v55, v15, v11, v55 op_sel_hi:[1,0,1]
	v_pk_fma_f16 v56, v15, v11, v56 op_sel:[0,1,0]
	v_pk_fma_f16 v57, v15, v12, v57 op_sel_hi:[1,0,1]
	v_pk_fma_f16 v58, v15, v12, v58 op_sel:[0,1,0]
	v_pk_fma_f16 v59, v16, v11, v59 op_sel_hi:[1,0,1]
	v_pk_fma_f16 v62, v16, v11, v9 op_sel:[0,1,0]
	v_pk_fma_f16 v60, v16, v12, v60 op_sel_hi:[1,0,1]
	v_pk_fma_f16 v63, v16, v12, v10 op_sel:[0,1,0]
	ds_load_b128 v[9:12], v41 offset:34096
	ds_load_2addr_b64 v[13:16], v0 offset0:128 offset1:160
	s_waitcnt lgkmcnt(0)
	v_pk_fma_f16 v43, v13, v9, v43 op_sel_hi:[1,0,1]
	v_pk_fma_f16 v44, v13, v9, v44 op_sel:[0,1,0]
	v_pk_fma_f16 v45, v13, v10, v45 op_sel_hi:[1,0,1]
	v_pk_fma_f16 v47, v13, v10, v47 op_sel:[0,1,0]
	;; [unrolled: 2-line block ×8, first 2 shown]
	ds_load_2addr_b64 v[13:16], v0 offset0:192 offset1:224
	s_waitcnt lgkmcnt(0)
	v_pk_fma_f16 v0, v13, v11, v43 op_sel_hi:[1,0,1]
	v_pk_fma_f16 v43, v13, v11, v44 op_sel:[0,1,0]
	v_pk_fma_f16 v44, v13, v12, v45 op_sel_hi:[1,0,1]
	v_pk_fma_f16 v45, v13, v12, v47 op_sel:[0,1,0]
	v_pk_fma_f16 v47, v14, v11, v51 op_sel_hi:[1,0,1]
	v_pk_fma_f16 v51, v14, v11, v52 op_sel:[0,1,0]
	v_pk_fma_f16 v52, v14, v12, v53 op_sel_hi:[1,0,1]
	v_pk_fma_f16 v53, v14, v12, v54 op_sel:[0,1,0]
	v_pk_fma_f16 v54, v15, v11, v55 op_sel_hi:[1,0,1]
	v_pk_fma_f16 v55, v15, v11, v56 op_sel:[0,1,0]
	v_pk_fma_f16 v56, v15, v12, v57 op_sel_hi:[1,0,1]
	v_pk_fma_f16 v57, v15, v12, v58 op_sel:[0,1,0]
	v_pk_fma_f16 v58, v16, v11, v59 op_sel_hi:[1,0,1]
	v_pk_fma_f16 v59, v16, v11, v9 op_sel:[0,1,0]
	v_pk_fma_f16 v60, v16, v12, v60 op_sel_hi:[1,0,1]
	v_pk_fma_f16 v62, v16, v12, v10 op_sel:[0,1,0]
	ds_load_2addr_b64 v[9:12], v1 offset1:32
	ds_load_b128 v[13:16], v41 offset:34112
	s_waitcnt lgkmcnt(0)
	v_pk_fma_f16 v0, v9, v13, v0 op_sel_hi:[1,0,1]
	v_pk_fma_f16 v43, v9, v13, v43 op_sel:[0,1,0]
	v_pk_fma_f16 v44, v9, v14, v44 op_sel_hi:[1,0,1]
	v_pk_fma_f16 v45, v9, v14, v45 op_sel:[0,1,0]
	;; [unrolled: 2-line block ×8, first 2 shown]
	ds_load_2addr_b64 v[9:12], v1 offset0:64 offset1:96
	s_waitcnt lgkmcnt(0)
	v_pk_fma_f16 v0, v9, v15, v0 op_sel_hi:[1,0,1]
	v_pk_fma_f16 v43, v9, v15, v43 op_sel:[0,1,0]
	v_pk_fma_f16 v44, v9, v16, v44 op_sel_hi:[1,0,1]
	v_pk_fma_f16 v45, v9, v16, v45 op_sel:[0,1,0]
	v_pk_fma_f16 v47, v10, v15, v47 op_sel_hi:[1,0,1]
	v_pk_fma_f16 v51, v10, v15, v51 op_sel:[0,1,0]
	v_pk_fma_f16 v52, v10, v16, v52 op_sel_hi:[1,0,1]
	v_pk_fma_f16 v53, v10, v16, v53 op_sel:[0,1,0]
	v_pk_fma_f16 v54, v11, v15, v54 op_sel_hi:[1,0,1]
	v_pk_fma_f16 v55, v11, v15, v55 op_sel:[0,1,0]
	v_pk_fma_f16 v56, v11, v16, v56 op_sel_hi:[1,0,1]
	v_pk_fma_f16 v57, v11, v16, v57 op_sel:[0,1,0]
	v_pk_fma_f16 v58, v12, v15, v58 op_sel_hi:[1,0,1]
	v_pk_fma_f16 v60, v12, v15, v13 op_sel:[0,1,0]
	v_pk_fma_f16 v59, v12, v16, v59 op_sel_hi:[1,0,1]
	v_pk_fma_f16 v62, v12, v16, v14 op_sel:[0,1,0]
	ds_load_2addr_b64 v[9:12], v1 offset0:128 offset1:160
	ds_load_b128 v[13:16], v41 offset:34128
	s_waitcnt lgkmcnt(0)
	v_pk_fma_f16 v0, v9, v13, v0 op_sel_hi:[1,0,1]
	v_pk_fma_f16 v43, v9, v13, v43 op_sel:[0,1,0]
	v_pk_fma_f16 v44, v9, v14, v44 op_sel_hi:[1,0,1]
	v_pk_fma_f16 v45, v9, v14, v45 op_sel:[0,1,0]
	;; [unrolled: 2-line block ×8, first 2 shown]
	ds_load_2addr_b64 v[9:12], v1 offset0:192 offset1:224
	s_waitcnt lgkmcnt(0)
	v_pk_fma_f16 v0, v9, v15, v0 op_sel_hi:[1,0,1]
	v_pk_fma_f16 v1, v9, v15, v43 op_sel:[0,1,0]
	v_pk_fma_f16 v43, v9, v16, v44 op_sel_hi:[1,0,1]
	v_pk_fma_f16 v44, v9, v16, v45 op_sel:[0,1,0]
	;; [unrolled: 2-line block ×8, first 2 shown]
	ds_load_2addr_b64 v[9:12], v2 offset1:32
	ds_load_b128 v[13:16], v41 offset:34144
	s_waitcnt lgkmcnt(0)
	v_pk_fma_f16 v0, v9, v13, v0 op_sel_hi:[1,0,1]
	v_pk_fma_f16 v1, v9, v13, v1 op_sel:[0,1,0]
	v_pk_fma_f16 v43, v9, v14, v43 op_sel_hi:[1,0,1]
	v_pk_fma_f16 v44, v9, v14, v44 op_sel:[0,1,0]
	;; [unrolled: 2-line block ×8, first 2 shown]
	ds_load_2addr_b64 v[9:12], v2 offset0:64 offset1:96
	s_waitcnt lgkmcnt(0)
	v_pk_fma_f16 v0, v9, v15, v0 op_sel_hi:[1,0,1]
	v_pk_fma_f16 v1, v9, v15, v1 op_sel:[0,1,0]
	v_pk_fma_f16 v43, v9, v16, v43 op_sel_hi:[1,0,1]
	v_pk_fma_f16 v44, v9, v16, v44 op_sel:[0,1,0]
	;; [unrolled: 2-line block ×8, first 2 shown]
	ds_load_2addr_b64 v[9:12], v2 offset0:128 offset1:160
	ds_load_b128 v[13:16], v41 offset:34160
	s_waitcnt lgkmcnt(0)
	v_pk_fma_f16 v0, v9, v13, v0 op_sel_hi:[1,0,1]
	v_pk_fma_f16 v1, v9, v13, v1 op_sel:[0,1,0]
	v_pk_fma_f16 v43, v9, v14, v43 op_sel_hi:[1,0,1]
	v_pk_fma_f16 v44, v9, v14, v44 op_sel:[0,1,0]
	;; [unrolled: 2-line block ×8, first 2 shown]
	ds_load_2addr_b64 v[9:12], v2 offset0:192 offset1:224
	s_waitcnt lgkmcnt(0)
	v_pk_fma_f16 v0, v9, v15, v0 op_sel_hi:[1,0,1]
	v_pk_fma_f16 v1, v9, v15, v1 op_sel:[0,1,0]
	v_pk_fma_f16 v2, v9, v16, v43 op_sel_hi:[1,0,1]
	v_pk_fma_f16 v43, v9, v16, v44 op_sel:[0,1,0]
	;; [unrolled: 2-line block ×8, first 2 shown]
	ds_load_2addr_b64 v[9:12], v3 offset1:32
	ds_load_b128 v[13:16], v41 offset:34176
	s_waitcnt lgkmcnt(0)
	v_pk_fma_f16 v0, v9, v13, v0 op_sel_hi:[1,0,1]
	v_pk_fma_f16 v1, v9, v13, v1 op_sel:[0,1,0]
	v_pk_fma_f16 v2, v9, v14, v2 op_sel_hi:[1,0,1]
	v_pk_fma_f16 v43, v9, v14, v43 op_sel:[0,1,0]
	;; [unrolled: 2-line block ×8, first 2 shown]
	ds_load_2addr_b64 v[9:12], v3 offset0:64 offset1:96
	s_waitcnt lgkmcnt(0)
	v_pk_fma_f16 v0, v9, v15, v0 op_sel_hi:[1,0,1]
	v_pk_fma_f16 v1, v9, v15, v1 op_sel:[0,1,0]
	v_pk_fma_f16 v2, v9, v16, v2 op_sel_hi:[1,0,1]
	v_pk_fma_f16 v43, v9, v16, v43 op_sel:[0,1,0]
	;; [unrolled: 2-line block ×8, first 2 shown]
	ds_load_2addr_b64 v[9:12], v3 offset0:128 offset1:160
	ds_load_b128 v[13:16], v41 offset:34192
	s_waitcnt lgkmcnt(0)
	v_pk_fma_f16 v60, v9, v13, v0 op_sel_hi:[1,0,1]
	v_pk_fma_f16 v62, v9, v13, v1 op_sel:[0,1,0]
	v_pk_fma_f16 v63, v9, v14, v2 op_sel_hi:[1,0,1]
	ds_load_2addr_b64 v[0:3], v3 offset0:192 offset1:224
	v_pk_fma_f16 v9, v9, v14, v43 op_sel:[0,1,0]
	v_pk_fma_f16 v43, v10, v13, v44 op_sel_hi:[1,0,1]
	v_pk_fma_f16 v44, v10, v13, v45 op_sel:[0,1,0]
	v_pk_fma_f16 v45, v10, v14, v47 op_sel_hi:[1,0,1]
	;; [unrolled: 2-line block ×6, first 2 shown]
	v_pk_fma_f16 v12, v12, v14, v59 op_sel:[0,1,0]
	s_waitcnt lgkmcnt(0)
	v_pk_fma_f16 v14, v0, v15, v60 op_sel_hi:[1,0,1]
	v_pk_fma_f16 v55, v0, v15, v62 op_sel:[0,1,0]
	v_pk_fma_f16 v56, v0, v16, v63 op_sel_hi:[1,0,1]
	v_pk_fma_f16 v57, v0, v16, v9 op_sel:[0,1,0]
	;; [unrolled: 2-line block ×8, first 2 shown]
	ds_load_2addr_b64 v[0:3], v46 offset1:32
	ds_load_b128 v[9:12], v41 offset:34208
	s_waitcnt lgkmcnt(0)
	v_pk_fma_f16 v14, v0, v9, v14 op_sel_hi:[1,0,1]
	v_pk_fma_f16 v54, v0, v9, v55 op_sel:[0,1,0]
	v_pk_fma_f16 v55, v0, v10, v56 op_sel_hi:[1,0,1]
	v_pk_fma_f16 v56, v0, v10, v57 op_sel:[0,1,0]
	;; [unrolled: 2-line block ×8, first 2 shown]
	ds_load_2addr_b64 v[0:3], v46 offset0:64 offset1:96
	s_waitcnt lgkmcnt(0)
	v_pk_fma_f16 v14, v0, v11, v14 op_sel_hi:[1,0,1]
	v_pk_fma_f16 v15, v0, v11, v54 op_sel:[0,1,0]
	v_pk_fma_f16 v16, v0, v12, v55 op_sel_hi:[1,0,1]
	v_pk_fma_f16 v54, v0, v12, v56 op_sel:[0,1,0]
	;; [unrolled: 2-line block ×8, first 2 shown]
	ds_load_2addr_b64 v[0:3], v46 offset0:128 offset1:160
	ds_load_b128 v[9:12], v41 offset:34224
	s_waitcnt lgkmcnt(0)
	v_pk_fma_f16 v14, v0, v9, v14 op_sel_hi:[1,0,1]
	v_pk_fma_f16 v15, v0, v9, v15 op_sel:[0,1,0]
	v_pk_fma_f16 v16, v0, v10, v16 op_sel_hi:[1,0,1]
	v_pk_fma_f16 v54, v0, v10, v54 op_sel:[0,1,0]
	;; [unrolled: 2-line block ×8, first 2 shown]
	ds_load_2addr_b64 v[0:3], v46 offset0:192 offset1:224
	s_waitcnt lgkmcnt(0)
	v_pk_fma_f16 v14, v0, v11, v14 op_sel_hi:[1,0,1]
	v_pk_fma_f16 v15, v0, v11, v15 op_sel:[0,1,0]
	v_pk_fma_f16 v16, v0, v12, v16 op_sel_hi:[1,0,1]
	v_pk_fma_f16 v46, v0, v12, v54 op_sel:[0,1,0]
	;; [unrolled: 2-line block ×8, first 2 shown]
	ds_load_2addr_b64 v[0:3], v49 offset1:32
	ds_load_b128 v[9:12], v41 offset:34240
	s_waitcnt lgkmcnt(0)
	v_pk_fma_f16 v14, v0, v9, v14 op_sel_hi:[1,0,1]
	v_pk_fma_f16 v15, v0, v9, v15 op_sel:[0,1,0]
	v_pk_fma_f16 v16, v0, v10, v16 op_sel_hi:[1,0,1]
	v_pk_fma_f16 v46, v0, v10, v46 op_sel:[0,1,0]
	;; [unrolled: 2-line block ×8, first 2 shown]
	ds_load_2addr_b64 v[0:3], v49 offset0:64 offset1:96
	s_waitcnt lgkmcnt(0)
	v_pk_fma_f16 v14, v0, v11, v14 op_sel_hi:[1,0,1]
	v_pk_fma_f16 v15, v0, v11, v15 op_sel:[0,1,0]
	v_pk_fma_f16 v16, v0, v12, v16 op_sel_hi:[1,0,1]
	v_pk_fma_f16 v46, v0, v12, v46 op_sel:[0,1,0]
	;; [unrolled: 2-line block ×8, first 2 shown]
	ds_load_2addr_b64 v[0:3], v49 offset0:128 offset1:160
	ds_load_b128 v[9:12], v41 offset:34256
	s_waitcnt lgkmcnt(0)
	v_pk_fma_f16 v14, v0, v9, v14 op_sel_hi:[1,0,1]
	v_pk_fma_f16 v15, v0, v9, v15 op_sel:[0,1,0]
	v_pk_fma_f16 v16, v0, v10, v16 op_sel_hi:[1,0,1]
	v_pk_fma_f16 v46, v0, v10, v46 op_sel:[0,1,0]
	;; [unrolled: 2-line block ×8, first 2 shown]
	ds_load_2addr_b64 v[0:3], v49 offset0:192 offset1:224
	s_waitcnt lgkmcnt(0)
	v_pk_fma_f16 v14, v0, v11, v14 op_sel_hi:[1,0,1]
	v_pk_fma_f16 v15, v0, v11, v15 op_sel:[0,1,0]
	v_pk_fma_f16 v16, v0, v12, v16 op_sel_hi:[1,0,1]
	v_pk_fma_f16 v46, v0, v12, v46 op_sel:[0,1,0]
	v_pk_fma_f16 v43, v1, v11, v43 op_sel_hi:[1,0,1]
	v_pk_fma_f16 v44, v1, v11, v44 op_sel:[0,1,0]
	v_pk_fma_f16 v45, v1, v12, v45 op_sel_hi:[1,0,1]
	v_pk_fma_f16 v49, v1, v12, v54 op_sel:[0,1,0]
	v_pk_fma_f16 v47, v2, v11, v47 op_sel_hi:[1,0,1]
	v_pk_fma_f16 v51, v2, v11, v51 op_sel:[0,1,0]
	v_pk_fma_f16 v52, v2, v12, v52 op_sel_hi:[1,0,1]
	v_pk_fma_f16 v54, v2, v12, v55 op_sel:[0,1,0]
	v_pk_fma_f16 v53, v3, v11, v53 op_sel_hi:[1,0,1]
	v_pk_fma_f16 v55, v3, v11, v9 op_sel:[0,1,0]
	v_pk_fma_f16 v13, v3, v12, v13 op_sel_hi:[1,0,1]
	v_pk_fma_f16 v56, v3, v12, v10 op_sel:[0,1,0]
	ds_load_2addr_b64 v[0:3], v50 offset1:32
	ds_load_b128 v[9:12], v41 offset:34272
	s_waitcnt lgkmcnt(0)
	v_pk_fma_f16 v14, v0, v9, v14 op_sel_hi:[1,0,1]
	v_pk_fma_f16 v15, v0, v9, v15 op_sel:[0,1,0]
	v_pk_fma_f16 v16, v0, v10, v16 op_sel_hi:[1,0,1]
	v_pk_fma_f16 v46, v0, v10, v46 op_sel:[0,1,0]
	;; [unrolled: 2-line block ×8, first 2 shown]
	ds_load_2addr_b64 v[0:3], v50 offset0:64 offset1:96
	s_waitcnt lgkmcnt(0)
	v_pk_fma_f16 v14, v0, v11, v14 op_sel_hi:[1,0,1]
	v_pk_fma_f16 v15, v0, v11, v15 op_sel:[0,1,0]
	v_pk_fma_f16 v16, v0, v12, v16 op_sel_hi:[1,0,1]
	v_pk_fma_f16 v46, v0, v12, v46 op_sel:[0,1,0]
	;; [unrolled: 2-line block ×8, first 2 shown]
	ds_load_b128 v[0:3], v41 offset:34288
	ds_load_2addr_b64 v[9:12], v50 offset0:128 offset1:160
	s_waitcnt lgkmcnt(0)
	v_pk_fma_f16 v14, v9, v0, v14 op_sel_hi:[1,0,1]
	v_pk_fma_f16 v15, v9, v0, v15 op_sel:[0,1,0]
	v_pk_fma_f16 v16, v9, v1, v16 op_sel_hi:[1,0,1]
	v_pk_fma_f16 v41, v9, v1, v46 op_sel:[0,1,0]
	v_pk_fma_f16 v43, v10, v0, v43 op_sel_hi:[1,0,1]
	v_pk_fma_f16 v44, v10, v0, v44 op_sel:[0,1,0]
	v_pk_fma_f16 v45, v10, v1, v45 op_sel_hi:[1,0,1]
	v_pk_fma_f16 v49, v10, v1, v49 op_sel:[0,1,0]
	v_pk_fma_f16 v47, v11, v0, v47 op_sel_hi:[1,0,1]
	v_pk_fma_f16 v58, v11, v0, v51 op_sel:[0,1,0]
	v_pk_fma_f16 v59, v11, v1, v52 op_sel_hi:[1,0,1]
	v_pk_fma_f16 v63, v11, v1, v54 op_sel:[0,1,0]
	v_pk_fma_f16 v65, v12, v0, v53 op_sel_hi:[1,0,1]
	v_pk_fma_f16 v0, v12, v0, v55 op_sel:[0,1,0]
	v_pk_fma_f16 v13, v12, v1, v13 op_sel_hi:[1,0,1]
	v_pk_fma_f16 v1, v12, v1, v56 op_sel:[0,1,0]
	ds_load_2addr_b64 v[9:12], v50 offset0:192 offset1:224
	s_waitcnt lgkmcnt(0)
	s_barrier
	buffer_gl0_inv
	v_pk_fma_f16 v54, v11, v3, v59 op_sel_hi:[1,0,1]
	v_pk_fma_f16 v59, v12, v2, v0 op_sel:[0,1,0]
	v_add_f32_e32 v0, v27, v61
	v_pk_fma_f16 v57, v9, v2, v14 op_sel_hi:[1,0,1]
	v_pk_fma_f16 v53, v9, v2, v15 op_sel:[0,1,0]
	v_pk_fma_f16 v64, v10, v2, v43 op_sel_hi:[1,0,1]
	v_pk_fma_f16 v60, v10, v2, v44 op_sel:[0,1,0]
	v_pk_fma_f16 v52, v10, v3, v49 op_sel:[0,1,0]
	v_pk_fma_f16 v62, v11, v2, v47 op_sel_hi:[1,0,1]
	v_pk_fma_f16 v58, v11, v2, v58 op_sel:[0,1,0]
	;; [unrolled: 3-line block ×3, first 2 shown]
	v_dual_fmac_f32 v0, v71, v78 :: v_dual_add_f32 v1, v26, v48
	v_add_f32_e32 v2, v25, v30
	v_pk_fma_f16 v46, v9, v3, v16 op_sel_hi:[1,0,1]
	v_pk_fma_f16 v51, v9, v3, v41 op_sel:[0,1,0]
	s_delay_alu instid0(VALU_DEP_4) | instskip(SKIP_4) | instid1(VALU_DEP_3)
	v_mov_b32_e32 v71, v0
	v_add_f32_e32 v9, v28, v29
	v_dual_fmac_f32 v1, v70, v18 :: v_dual_fmac_f32 v2, v69, v17
	v_pk_fma_f16 v56, v10, v3, v45 op_sel_hi:[1,0,1]
	v_pk_fma_f16 v55, v12, v3, v13 op_sel_hi:[1,0,1]
	v_dual_fmac_f32 v9, v72, v4 :: v_dual_mov_b32 v70, v1
	s_delay_alu instid0(VALU_DEP_4) | instskip(SKIP_2) | instid1(VALU_DEP_4)
	v_mov_b32_e32 v69, v2
	v_dual_mov_b32 v1, v5 :: v_dual_mov_b32 v2, v6
	v_dual_mov_b32 v3, v7 :: v_dual_mov_b32 v4, v8
	;; [unrolled: 1-line block ×3, first 2 shown]
.LBB70_139:
	v_cmp_lt_i32_e32 vcc_lo, v24, v19
	s_cmp_eq_u64 s[24:25], 0
	s_cselect_b32 s0, -1, 0
	s_cmp_lg_u32 s14, 0
	v_cndmask_b32_e32 v0, v5, v24, vcc_lo
	v_cmp_lt_i32_e32 vcc_lo, v23, v19
	s_cselect_b32 s1, -1, 0
	s_delay_alu instid0(SALU_CYCLE_1) | instskip(SKIP_2) | instid1(VALU_DEP_2)
	s_or_b32 s0, s1, s0
	v_cndmask_b32_e32 v9, v5, v23, vcc_lo
	v_cmp_lt_i32_e32 vcc_lo, v22, v19
	v_lshlrev_b32_e32 v9, 2, v9
	v_dual_cndmask_b32 v13, v5, v22 :: v_dual_lshlrev_b32 v0, 2, v0
	v_cmp_lt_i32_e32 vcc_lo, v21, v19
	ds_bpermute_b32 v7, v0, v70
	v_lshlrev_b32_e32 v13, 2, v13
	s_waitcnt lgkmcnt(0)
	v_add_f32_e32 v7, v70, v7
	ds_bpermute_b32 v6, v0, v71
	ds_bpermute_b32 v8, v0, v69
	;; [unrolled: 1-line block ×4, first 2 shown]
	s_waitcnt lgkmcnt(3)
	v_add_f32_e32 v6, v71, v6
	s_waitcnt lgkmcnt(2)
	v_add_f32_e32 v8, v69, v8
	s_waitcnt lgkmcnt(0)
	v_dual_add_f32 v0, v72, v0 :: v_dual_add_f32 v7, v7, v11
	ds_bpermute_b32 v10, v9, v6
	ds_bpermute_b32 v12, v9, v8
	;; [unrolled: 1-line block ×3, first 2 shown]
	s_waitcnt lgkmcnt(2)
	v_add_f32_e32 v6, v6, v10
	s_waitcnt lgkmcnt(1)
	v_add_f32_e32 v8, v8, v12
	ds_bpermute_b32 v10, v13, v7
	s_waitcnt lgkmcnt(1)
	v_add_f32_e32 v0, v0, v9
	ds_bpermute_b32 v9, v13, v6
	ds_bpermute_b32 v11, v13, v8
	s_waitcnt lgkmcnt(2)
	v_add_f32_e32 v7, v7, v10
	ds_bpermute_b32 v12, v13, v0
	v_cndmask_b32_e32 v13, v5, v21, vcc_lo
	v_cmp_lt_i32_e32 vcc_lo, v20, v19
	s_waitcnt lgkmcnt(2)
	v_add_f32_e32 v6, v6, v9
	s_waitcnt lgkmcnt(1)
	v_dual_add_f32 v8, v8, v11 :: v_dual_lshlrev_b32 v13, 2, v13
	v_cndmask_b32_e32 v5, v5, v20, vcc_lo
	s_and_b32 vcc_lo, exec_lo, s0
	ds_bpermute_b32 v9, v13, v6
	ds_bpermute_b32 v10, v13, v7
	;; [unrolled: 1-line block ×3, first 2 shown]
	s_waitcnt lgkmcnt(3)
	v_dual_add_f32 v0, v0, v12 :: v_dual_lshlrev_b32 v5, 2, v5
	ds_bpermute_b32 v12, v13, v0
	s_waitcnt lgkmcnt(2)
	v_dual_add_f32 v6, v6, v9 :: v_dual_add_f32 v7, v7, v10
	ds_bpermute_b32 v9, v5, v6
	s_waitcnt lgkmcnt(2)
	v_add_f32_e32 v8, v8, v11
	ds_bpermute_b32 v10, v5, v7
	ds_bpermute_b32 v11, v5, v8
	s_waitcnt lgkmcnt(3)
	v_add_f32_e32 v0, v0, v12
	ds_bpermute_b32 v12, v5, v0
	s_waitcnt lgkmcnt(2)
	v_dual_add_f32 v5, v6, v9 :: v_dual_add_f32 v6, v7, v10
	s_waitcnt lgkmcnt(1)
	v_add_f32_e32 v7, v8, v11
	s_waitcnt lgkmcnt(0)
	v_add_f32_e32 v8, v0, v12
	s_cbranch_vccnz .LBB70_141
; %bb.140:
	s_lshl_b64 s[0:1], s[34:35], 2
	v_dual_mov_b32 v0, 0 :: v_dual_max_f32 v9, v1, v1
	s_add_u32 s0, s24, s0
	s_addc_u32 s1, s25, s1
	v_max_f32_e32 v11, v2, v2
	global_load_b32 v0, v0, s[0:1]
	s_waitcnt vmcnt(0)
	v_max_f32_e32 v10, v0, v0
	s_delay_alu instid0(VALU_DEP_1) | instskip(SKIP_1) | instid1(VALU_DEP_2)
	v_dual_max_f32 v12, v3, v3 :: v_dual_max_f32 v13, v9, v10
	v_max_f32_e32 v16, v4, v4
	v_dual_max_f32 v14, v11, v10 :: v_dual_sub_f32 v9, v0, v13
	v_sub_f32_e32 v1, v1, v13
	s_delay_alu instid0(VALU_DEP_4) | instskip(NEXT) | instid1(VALU_DEP_3)
	v_max_f32_e32 v15, v12, v10
	v_mul_f32_e32 v17, 0x3fb8aa3b, v9
	s_delay_alu instid0(VALU_DEP_3) | instskip(NEXT) | instid1(VALU_DEP_3)
	v_mul_f32_e32 v12, 0x3fb8aa3b, v1
	v_dual_max_f32 v16, v16, v10 :: v_dual_sub_f32 v3, v3, v15
	v_dual_sub_f32 v2, v2, v14 :: v_dual_sub_f32 v11, v0, v15
	v_sub_f32_e32 v10, v0, v14
	s_delay_alu instid0(VALU_DEP_3)
	v_sub_f32_e32 v0, v0, v16
	v_sub_f32_e32 v4, v4, v16
	v_fma_f32 v24, 0x3fb8aa3b, v1, -v12
	v_mul_f32_e32 v21, 0x3fb8aa3b, v11
	v_mul_f32_e32 v19, 0x3fb8aa3b, v10
	v_dual_mul_f32 v18, 0x3fb8aa3b, v2 :: v_dual_mul_f32 v23, 0x3fb8aa3b, v0
	v_rndne_f32_e32 v25, v12
	v_rndne_f32_e32 v27, v17
	v_mul_f32_e32 v22, 0x3fb8aa3b, v4
	v_fma_f32 v30, 0x3fb8aa3b, v10, -v19
	v_rndne_f32_e32 v41, v19
	v_mul_f32_e32 v20, 0x3fb8aa3b, v3
	v_fma_f32 v61, 0x3fb8aa3b, v0, -v23
	v_rndne_f32_e32 v65, v23
	v_fma_f32 v26, 0x3fb8aa3b, v9, -v17
	v_sub_f32_e32 v19, v19, v41
	v_rndne_f32_e32 v43, v20
	v_dual_sub_f32 v12, v12, v25 :: v_dual_fmac_f32 v61, 0x32a5705f, v0
	v_sub_f32_e32 v17, v17, v27
	v_fma_f32 v47, 0x3fb8aa3b, v4, -v22
	v_fmac_f32_e32 v24, 0x32a5705f, v1
	v_dual_fmac_f32 v30, 0x32a5705f, v10 :: v_dual_sub_f32 v23, v23, v65
	v_rndne_f32_e32 v29, v18
	v_fma_f32 v42, 0x3fb8aa3b, v3, -v20
	s_delay_alu instid0(VALU_DEP_3) | instskip(NEXT) | instid1(VALU_DEP_4)
	v_dual_fmac_f32 v26, 0x32a5705f, v9 :: v_dual_add_f32 v19, v19, v30
	v_dual_sub_f32 v20, v20, v43 :: v_dual_add_f32 v23, v23, v61
	v_fmac_f32_e32 v47, 0x32a5705f, v4
	v_add_f32_e32 v12, v12, v24
	v_fma_f32 v28, 0x3fb8aa3b, v2, -v18
	v_dual_sub_f32 v18, v18, v29 :: v_dual_add_f32 v17, v17, v26
	v_exp_f32_e32 v23, v23
	s_delay_alu instid0(VALU_DEP_3)
	v_exp_f32_e32 v12, v12
	v_rndne_f32_e32 v45, v21
	v_cvt_i32_f32_e32 v25, v25
	v_fmac_f32_e32 v28, 0x32a5705f, v2
	v_exp_f32_e32 v17, v17
	v_cvt_i32_f32_e32 v26, v65
	v_fma_f32 v44, 0x3fb8aa3b, v11, -v21
	v_sub_f32_e32 v21, v21, v45
	v_cvt_i32_f32_e32 v27, v27
	v_cmp_ngt_f32_e32 vcc_lo, 0xc2ce8ed0, v1
	v_ldexp_f32 v12, v12, v25
	v_ldexp_f32 v23, v23, v26
	v_add_f32_e32 v18, v18, v28
	v_cvt_i32_f32_e32 v29, v29
	v_ldexp_f32 v17, v17, v27
	v_cndmask_b32_e32 v12, 0, v12, vcc_lo
	v_cmp_ngt_f32_e32 vcc_lo, 0xc2ce8ed0, v9
	v_exp_f32_e32 v18, v18
	v_fmac_f32_e32 v44, 0x32a5705f, v11
	v_exp_f32_e32 v19, v19
	v_rndne_f32_e32 v48, v22
	v_dual_cndmask_b32 v17, 0, v17 :: v_dual_fmac_f32 v42, 0x32a5705f, v3
	s_delay_alu instid0(VALU_DEP_3)
	v_add_f32_e32 v21, v21, v44
	v_cvt_i32_f32_e32 v41, v41
	v_cmp_ngt_f32_e32 vcc_lo, 0xc2ce8ed0, v2
	v_cvt_i32_f32_e32 v43, v43
	v_add_f32_e32 v20, v20, v42
	v_ldexp_f32 v18, v18, v29
	s_delay_alu instid0(TRANS32_DEP_1)
	v_ldexp_f32 v19, v19, v41
	v_exp_f32_e32 v21, v21
	v_cvt_i32_f32_e32 v45, v45
	v_exp_f32_e32 v20, v20
	v_cndmask_b32_e32 v18, 0, v18, vcc_lo
	v_cmp_ngt_f32_e32 vcc_lo, 0xc2ce8ed0, v10
	v_sub_f32_e32 v22, v22, v48
	v_cvt_i32_f32_e32 v24, v48
	v_cndmask_b32_e32 v19, 0, v19, vcc_lo
	s_delay_alu instid0(VALU_DEP_3) | instskip(SKIP_1) | instid1(TRANS32_DEP_1)
	v_add_f32_e32 v22, v22, v47
	v_cmp_ngt_f32_e32 vcc_lo, 0xc2ce8ed0, v3
	v_ldexp_f32 v20, v20, v43
	v_ldexp_f32 v21, v21, v45
	s_delay_alu instid0(VALU_DEP_4) | instskip(NEXT) | instid1(VALU_DEP_2)
	v_exp_f32_e32 v22, v22
	v_cndmask_b32_e32 v20, 0, v20, vcc_lo
	v_cmp_ngt_f32_e32 vcc_lo, 0xc2ce8ed0, v11
	s_delay_alu instid0(VALU_DEP_3) | instskip(SKIP_3) | instid1(VALU_DEP_1)
	v_cndmask_b32_e32 v21, 0, v21, vcc_lo
	v_cmp_ngt_f32_e32 vcc_lo, 0xc2ce8ed0, v4
	s_waitcnt_depctr 0xfff
	v_ldexp_f32 v22, v22, v24
	v_cndmask_b32_e32 v22, 0, v22, vcc_lo
	v_cmp_ngt_f32_e32 vcc_lo, 0xc2ce8ed0, v0
	v_cndmask_b32_e32 v23, 0, v23, vcc_lo
	v_cmp_nlt_f32_e32 vcc_lo, 0x42b17218, v1
	v_cndmask_b32_e32 v1, 0x7f800000, v12, vcc_lo
	v_cmp_nlt_f32_e32 vcc_lo, 0x42b17218, v9
	;; [unrolled: 2-line block ×3, first 2 shown]
	s_delay_alu instid0(VALU_DEP_2) | instskip(SKIP_3) | instid1(VALU_DEP_2)
	v_dual_fmac_f32 v9, v5, v1 :: v_dual_cndmask_b32 v2, 0x7f800000, v18
	v_cmp_nlt_f32_e32 vcc_lo, 0x42b17218, v10
	v_cndmask_b32_e32 v10, 0x7f800000, v19, vcc_lo
	v_cmp_nlt_f32_e32 vcc_lo, 0x42b17218, v3
	v_dual_fmac_f32 v10, v6, v2 :: v_dual_cndmask_b32 v3, 0x7f800000, v20
	v_cmp_nlt_f32_e32 vcc_lo, 0x42b17218, v11
	v_cndmask_b32_e32 v11, 0x7f800000, v21, vcc_lo
	v_cmp_nlt_f32_e32 vcc_lo, 0x42b17218, v4
	v_cndmask_b32_e32 v4, 0x7f800000, v22, vcc_lo
	v_cmp_nlt_f32_e32 vcc_lo, 0x42b17218, v0
	v_cvt_f16_f32_e32 v0, v1
	v_cvt_f16_f32_e32 v1, v2
	v_cvt_f16_f32_e32 v2, v3
	v_cndmask_b32_e32 v12, 0x7f800000, v23, vcc_lo
	s_delay_alu instid0(VALU_DEP_4) | instskip(NEXT) | instid1(VALU_DEP_4)
	v_pk_mul_f16 v57, v0, v57 op_sel_hi:[0,1]
	v_pk_mul_f16 v53, v1, v53 op_sel_hi:[0,1]
	;; [unrolled: 1-line block ×4, first 2 shown]
	v_dual_fmac_f32 v12, v8, v4 :: v_dual_fmac_f32 v11, v7, v3
	v_cvt_f16_f32_e32 v3, v4
	v_pk_mul_f16 v59, v1, v59 op_sel_hi:[0,1]
	v_pk_mul_f16 v46, v2, v46 op_sel_hi:[0,1]
	;; [unrolled: 1-line block ×9, first 2 shown]
	v_mov_b32_e32 v5, v9
	v_mov_b32_e32 v1, v13
	v_pk_mul_f16 v64, v0, v64 op_sel_hi:[0,1]
	v_pk_mul_f16 v62, v0, v62 op_sel_hi:[0,1]
	;; [unrolled: 1-line block ×3, first 2 shown]
	v_dual_mov_b32 v6, v10 :: v_dual_mov_b32 v7, v11
	v_mov_b32_e32 v8, v12
	v_dual_mov_b32 v2, v14 :: v_dual_mov_b32 v3, v15
	v_mov_b32_e32 v4, v16
	s_mov_b32 s0, exec_lo
	v_cmpx_gt_i32_e64 s38, v39
	s_cbranch_execnz .LBB70_142
	s_branch .LBB70_161
.LBB70_141:
	v_dual_mov_b32 v9, v5 :: v_dual_mov_b32 v10, v6
	s_delay_alu instid0(VALU_DEP_2)
	v_dual_mov_b32 v11, v7 :: v_dual_mov_b32 v12, v8
	s_mov_b32 s0, exec_lo
	v_cmpx_gt_i32_e64 s38, v39
	s_cbranch_execz .LBB70_161
.LBB70_142:
	s_load_b32 s1, s[2:3], 0xd4
	v_mov_b32_e32 v0, 1.0
	s_waitcnt lgkmcnt(0)
	s_cmp_lg_u32 s1, 1
	s_cselect_b32 s4, -1, 0
	s_cmp_eq_u32 s1, 1
	s_cselect_b32 s3, -1, 0
	s_and_b32 vcc_lo, exec_lo, s4
	s_cbranch_vccnz .LBB70_144
; %bb.143:
	v_div_scale_f32 v0, null, v9, v9, 1.0
	s_delay_alu instid0(VALU_DEP_1) | instskip(SKIP_2) | instid1(VALU_DEP_1)
	v_rcp_f32_e32 v13, v0
	s_waitcnt_depctr 0xfff
	v_fma_f32 v14, -v0, v13, 1.0
	v_fmac_f32_e32 v13, v14, v13
	v_div_scale_f32 v14, vcc_lo, 1.0, v9, 1.0
	s_delay_alu instid0(VALU_DEP_1) | instskip(NEXT) | instid1(VALU_DEP_1)
	v_mul_f32_e32 v15, v14, v13
	v_fma_f32 v16, -v0, v15, v14
	s_delay_alu instid0(VALU_DEP_1) | instskip(NEXT) | instid1(VALU_DEP_1)
	v_fmac_f32_e32 v15, v16, v13
	v_fma_f32 v0, -v0, v15, v14
	s_delay_alu instid0(VALU_DEP_1) | instskip(NEXT) | instid1(VALU_DEP_1)
	v_div_fmas_f32 v0, v0, v13, v15
	v_div_fixup_f32 v0, v0, v9, 1.0
.LBB70_144:
	s_mul_i32 s2, s33, s38
	v_cvt_f32_f16_e32 v18, v57
	s_add_i32 s2, s2, s11
	v_mov_b32_e32 v23, 0
	v_add_nc_u32_e32 v9, s2, v37
	v_cvt_f32_f16_e32 v24, v62
	v_lshrrev_b32_e32 v17, 16, v57
	v_lshrrev_b32_e32 v19, 16, v63
	v_lshrrev_b32_e32 v21, 16, v62
	v_mad_u64_u32 v[15:16], null, v9, s39, s[34:35]
	v_lshrrev_b32_e32 v9, 16, v64
	v_cvt_f32_f16_e32 v26, v17
	v_cvt_f32_f16_e32 v16, v64
	;; [unrolled: 1-line block ×5, first 2 shown]
	v_mad_u64_u32 v[13:14], null, s1, v15, s[14:15]
	v_mul_f32_e32 v16, v0, v16
	v_mul_f32_e32 v14, v0, v18
	;; [unrolled: 1-line block ×3, first 2 shown]
	v_cvt_f32_f16_e32 v15, v63
	v_cmp_eq_u32_e32 vcc_lo, 0, v40
	v_mul_f32_e32 v21, v0, v19
	v_lshl_add_u32 v22, v13, 8, v33
	v_mul_f32_e32 v19, v0, v27
	v_mul_f32_e32 v20, v0, v15
	;; [unrolled: 1-line block ×4, first 2 shown]
	v_lshlrev_b64 v[24:25], 2, v[22:23]
	v_add_nc_u32_e32 v22, 0x80, v22
	s_delay_alu instid0(VALU_DEP_1) | instskip(NEXT) | instid1(VALU_DEP_3)
	v_lshlrev_b64 v[22:23], 2, v[22:23]
	v_add_co_u32 v24, s0, s28, v24
	s_delay_alu instid0(VALU_DEP_1) | instskip(NEXT) | instid1(VALU_DEP_3)
	v_add_co_ci_u32_e64 v25, s0, s29, v25, s0
	v_add_co_u32 v22, s0, s28, v22
	s_delay_alu instid0(VALU_DEP_1)
	v_add_co_ci_u32_e64 v23, s0, s29, v23, s0
	s_and_b32 s0, vcc_lo, s4
	s_clause 0x1
	global_store_b128 v[24:25], v[14:17], off
	global_store_b128 v[22:23], v[18:21], off
	s_and_saveexec_b32 s4, s0
	s_cbranch_execz .LBB70_146
; %bb.145:
	v_ashrrev_i32_e32 v14, 31, v13
	v_mov_b32_e32 v0, v1
	v_mov_b32_e32 v1, v5
	s_delay_alu instid0(VALU_DEP_3) | instskip(NEXT) | instid1(VALU_DEP_1)
	v_lshlrev_b64 v[13:14], 3, v[13:14]
	v_add_co_u32 v13, vcc_lo, s30, v13
	s_delay_alu instid0(VALU_DEP_2)
	v_add_co_ci_u32_e32 v14, vcc_lo, s31, v14, vcc_lo
	global_store_b64 v[13:14], v[0:1], off
.LBB70_146:
	s_or_b32 exec_lo, exec_lo, s4
	v_cmp_gt_i32_e32 vcc_lo, s38, v38
	s_and_b32 exec_lo, exec_lo, vcc_lo
	s_cbranch_execz .LBB70_161
; %bb.147:
	v_cndmask_b32_e64 v9, 0, 1, s3
	v_mov_b32_e32 v5, 1.0
	s_and_not1_b32 vcc_lo, exec_lo, s3
	s_cbranch_vccnz .LBB70_149
; %bb.148:
	v_div_scale_f32 v0, null, v10, v10, 1.0
	s_delay_alu instid0(VALU_DEP_1) | instskip(SKIP_2) | instid1(VALU_DEP_1)
	v_rcp_f32_e32 v1, v0
	s_waitcnt_depctr 0xfff
	v_fma_f32 v5, -v0, v1, 1.0
	v_fmac_f32_e32 v1, v5, v1
	v_div_scale_f32 v5, vcc_lo, 1.0, v10, 1.0
	s_delay_alu instid0(VALU_DEP_1) | instskip(NEXT) | instid1(VALU_DEP_1)
	v_mul_f32_e32 v13, v5, v1
	v_fma_f32 v14, -v0, v13, v5
	s_delay_alu instid0(VALU_DEP_1) | instskip(NEXT) | instid1(VALU_DEP_1)
	v_fmac_f32_e32 v13, v14, v1
	v_fma_f32 v0, -v0, v13, v5
	s_delay_alu instid0(VALU_DEP_1) | instskip(NEXT) | instid1(VALU_DEP_1)
	v_div_fmas_f32 v0, v0, v1, v13
	v_div_fixup_f32 v5, v0, v10, 1.0
.LBB70_149:
	v_add_nc_u32_e32 v0, s2, v36
	v_lshrrev_b32_e32 v10, 16, v60
	v_cvt_f32_f16_e32 v17, v53
	v_mov_b32_e32 v22, 0
	v_cvt_f32_f16_e32 v23, v58
	v_mad_u64_u32 v[13:14], null, v0, s39, s[34:35]
	v_cvt_f32_f16_e32 v14, v60
	v_lshrrev_b32_e32 v16, 16, v53
	v_cvt_f32_f16_e32 v10, v10
	v_lshrrev_b32_e32 v18, 16, v59
	v_lshrrev_b32_e32 v20, 16, v58
	v_mul_f32_e32 v15, v5, v14
	v_mad_u64_u32 v[0:1], null, s1, v13, s[14:15]
	v_mul_f32_e32 v13, v5, v17
	v_mul_f32_e32 v17, v5, v23
	v_cvt_f32_f16_e32 v1, v59
	v_cvt_f32_f16_e32 v14, v16
	;; [unrolled: 1-line block ×3, first 2 shown]
	v_mul_f32_e32 v16, v5, v10
	v_lshl_add_u32 v21, v0, 8, v33
	v_mul_f32_e32 v19, v5, v1
	v_cvt_f32_f16_e32 v1, v20
	v_mul_f32_e32 v14, v5, v14
	v_mul_f32_e32 v20, v5, v18
	v_lshlrev_b64 v[23:24], 2, v[21:22]
	v_add_nc_u32_e32 v21, 0x80, v21
	v_mul_f32_e32 v18, v5, v1
	s_delay_alu instid0(VALU_DEP_2) | instskip(NEXT) | instid1(VALU_DEP_4)
	v_lshlrev_b64 v[21:22], 2, v[21:22]
	v_add_co_u32 v23, vcc_lo, s28, v23
	v_add_co_ci_u32_e32 v24, vcc_lo, s29, v24, vcc_lo
	s_delay_alu instid0(VALU_DEP_3) | instskip(NEXT) | instid1(VALU_DEP_4)
	v_add_co_u32 v21, vcc_lo, s28, v21
	v_add_co_ci_u32_e32 v22, vcc_lo, s29, v22, vcc_lo
	s_clause 0x1
	global_store_b128 v[23:24], v[13:16], off
	global_store_b128 v[21:22], v[17:20], off
	s_and_saveexec_b32 s3, s0
	s_cbranch_execz .LBB70_151
; %bb.150:
	v_ashrrev_i32_e32 v1, 31, v0
	v_mov_b32_e32 v5, v2
	s_delay_alu instid0(VALU_DEP_2) | instskip(NEXT) | instid1(VALU_DEP_1)
	v_lshlrev_b64 v[0:1], 3, v[0:1]
	v_add_co_u32 v0, vcc_lo, s30, v0
	s_delay_alu instid0(VALU_DEP_2)
	v_add_co_ci_u32_e32 v1, vcc_lo, s31, v1, vcc_lo
	global_store_b64 v[0:1], v[5:6], off
.LBB70_151:
	s_or_b32 exec_lo, exec_lo, s3
	v_cmp_gt_i32_e32 vcc_lo, s38, v35
	s_and_b32 exec_lo, exec_lo, vcc_lo
	s_cbranch_execz .LBB70_161
; %bb.152:
	v_cmp_ne_u32_e32 vcc_lo, 1, v9
	v_mov_b32_e32 v2, 1.0
	s_cbranch_vccnz .LBB70_154
; %bb.153:
	v_div_scale_f32 v0, null, v11, v11, 1.0
	s_delay_alu instid0(VALU_DEP_1) | instskip(SKIP_2) | instid1(VALU_DEP_1)
	v_rcp_f32_e32 v1, v0
	s_waitcnt_depctr 0xfff
	v_fma_f32 v2, -v0, v1, 1.0
	v_fmac_f32_e32 v1, v2, v1
	v_div_scale_f32 v2, vcc_lo, 1.0, v11, 1.0
	s_delay_alu instid0(VALU_DEP_1) | instskip(NEXT) | instid1(VALU_DEP_1)
	v_mul_f32_e32 v5, v2, v1
	v_fma_f32 v6, -v0, v5, v2
	s_delay_alu instid0(VALU_DEP_1) | instskip(NEXT) | instid1(VALU_DEP_1)
	v_fmac_f32_e32 v5, v6, v1
	v_fma_f32 v0, -v0, v5, v2
	s_delay_alu instid0(VALU_DEP_1) | instskip(NEXT) | instid1(VALU_DEP_1)
	v_div_fmas_f32 v0, v0, v1, v5
	v_div_fixup_f32 v2, v0, v11, 1.0
.LBB70_154:
	v_cvt_f32_f16_e32 v11, v56
	v_add_nc_u32_e32 v0, s2, v34
	v_lshrrev_b32_e32 v10, 16, v56
	v_lshrrev_b32_e32 v13, 16, v46
	v_cvt_f32_f16_e32 v14, v46
	v_mul_f32_e32 v15, v2, v11
	v_mad_u64_u32 v[5:6], null, v0, s39, s[34:35]
	v_mov_b32_e32 v6, 0
	v_lshrrev_b32_e32 v16, 16, v55
	v_lshrrev_b32_e32 v17, 16, v54
	v_cvt_f32_f16_e32 v18, v54
	v_cvt_f32_f16_e32 v20, v10
	;; [unrolled: 1-line block ×3, first 2 shown]
	v_mul_f32_e32 v13, v2, v14
	v_mad_u64_u32 v[0:1], null, s1, v5, s[14:15]
	v_cvt_f32_f16_e32 v1, v55
	v_cvt_f32_f16_e32 v22, v16
	v_mul_f32_e32 v14, v2, v21
	v_mul_f32_e32 v16, v2, v20
	s_delay_alu instid0(VALU_DEP_4) | instskip(SKIP_4) | instid1(VALU_DEP_4)
	v_mul_f32_e32 v19, v2, v1
	v_lshl_add_u32 v5, v0, 8, v33
	v_cvt_f32_f16_e32 v1, v17
	v_mul_f32_e32 v17, v2, v18
	v_mul_f32_e32 v20, v2, v22
	v_lshlrev_b64 v[10:11], 2, v[5:6]
	v_add_nc_u32_e32 v5, 0x80, v5
	v_mul_f32_e32 v18, v2, v1
	s_delay_alu instid0(VALU_DEP_2) | instskip(NEXT) | instid1(VALU_DEP_4)
	v_lshlrev_b64 v[1:2], 2, v[5:6]
	v_add_co_u32 v5, vcc_lo, s28, v10
	v_add_co_ci_u32_e32 v6, vcc_lo, s29, v11, vcc_lo
	s_delay_alu instid0(VALU_DEP_3) | instskip(NEXT) | instid1(VALU_DEP_4)
	v_add_co_u32 v1, vcc_lo, s28, v1
	v_add_co_ci_u32_e32 v2, vcc_lo, s29, v2, vcc_lo
	s_clause 0x1
	global_store_b128 v[5:6], v[13:16], off
	global_store_b128 v[1:2], v[17:20], off
	s_and_saveexec_b32 s3, s0
	s_cbranch_execz .LBB70_156
; %bb.155:
	v_ashrrev_i32_e32 v1, 31, v0
	v_mov_b32_e32 v6, v3
	s_delay_alu instid0(VALU_DEP_2) | instskip(NEXT) | instid1(VALU_DEP_1)
	v_lshlrev_b64 v[0:1], 3, v[0:1]
	v_add_co_u32 v0, vcc_lo, s30, v0
	s_delay_alu instid0(VALU_DEP_2)
	v_add_co_ci_u32_e32 v1, vcc_lo, s31, v1, vcc_lo
	global_store_b64 v[0:1], v[6:7], off
.LBB70_156:
	s_or_b32 exec_lo, exec_lo, s3
	v_cmp_gt_i32_e32 vcc_lo, s38, v32
	s_and_b32 exec_lo, exec_lo, vcc_lo
	s_cbranch_execz .LBB70_161
; %bb.157:
	v_cmp_ne_u32_e32 vcc_lo, 1, v9
	v_mov_b32_e32 v2, 1.0
	s_cbranch_vccnz .LBB70_159
; %bb.158:
	v_div_scale_f32 v0, null, v12, v12, 1.0
	s_delay_alu instid0(VALU_DEP_1) | instskip(SKIP_2) | instid1(VALU_DEP_1)
	v_rcp_f32_e32 v1, v0
	s_waitcnt_depctr 0xfff
	v_fma_f32 v2, -v0, v1, 1.0
	v_fmac_f32_e32 v1, v2, v1
	v_div_scale_f32 v2, vcc_lo, 1.0, v12, 1.0
	s_delay_alu instid0(VALU_DEP_1) | instskip(NEXT) | instid1(VALU_DEP_1)
	v_mul_f32_e32 v3, v2, v1
	v_fma_f32 v5, -v0, v3, v2
	s_delay_alu instid0(VALU_DEP_1) | instskip(NEXT) | instid1(VALU_DEP_1)
	v_fmac_f32_e32 v3, v5, v1
	v_fma_f32 v0, -v0, v3, v2
	s_delay_alu instid0(VALU_DEP_1) | instskip(NEXT) | instid1(VALU_DEP_1)
	v_div_fmas_f32 v0, v0, v1, v3
	v_div_fixup_f32 v2, v0, v12, 1.0
.LBB70_159:
	v_cvt_f32_f16_e32 v7, v52
	v_lshrrev_b32_e32 v9, 16, v51
	v_cvt_f32_f16_e32 v10, v51
	v_add_nc_u32_e32 v0, s2, v31
	v_lshrrev_b32_e32 v3, 16, v52
	v_mul_f32_e32 v11, v2, v7
	v_cvt_f32_f16_e32 v7, v9
	v_mul_f32_e32 v9, v2, v10
	v_mad_u64_u32 v[5:6], null, v0, s39, s[34:35]
	v_lshrrev_b32_e32 v12, 16, v49
	v_lshrrev_b32_e32 v13, 16, v50
	v_cvt_f32_f16_e32 v14, v50
	v_cvt_f32_f16_e32 v3, v3
	v_mul_f32_e32 v10, v2, v7
	v_cvt_f32_f16_e32 v16, v12
	v_mad_u64_u32 v[0:1], null, s1, v5, s[14:15]
	v_cvt_f32_f16_e32 v1, v49
	v_mov_b32_e32 v6, 0
	s_delay_alu instid0(VALU_DEP_4) | instskip(SKIP_1) | instid1(VALU_DEP_4)
	v_mul_f32_e32 v16, v2, v16
	v_mul_f32_e32 v12, v2, v3
	;; [unrolled: 1-line block ×3, first 2 shown]
	v_lshl_add_u32 v5, v0, 8, v33
	v_cvt_f32_f16_e32 v1, v13
	v_mul_f32_e32 v13, v2, v14
	s_delay_alu instid0(VALU_DEP_3) | instskip(SKIP_1) | instid1(VALU_DEP_4)
	v_lshlrev_b64 v[17:18], 2, v[5:6]
	v_add_nc_u32_e32 v5, 0x80, v5
	v_mul_f32_e32 v14, v2, v1
	s_delay_alu instid0(VALU_DEP_2) | instskip(NEXT) | instid1(VALU_DEP_4)
	v_lshlrev_b64 v[1:2], 2, v[5:6]
	v_add_co_u32 v5, vcc_lo, s28, v17
	v_add_co_ci_u32_e32 v6, vcc_lo, s29, v18, vcc_lo
	s_delay_alu instid0(VALU_DEP_3) | instskip(NEXT) | instid1(VALU_DEP_4)
	v_add_co_u32 v1, vcc_lo, s28, v1
	v_add_co_ci_u32_e32 v2, vcc_lo, s29, v2, vcc_lo
	s_clause 0x1
	global_store_b128 v[5:6], v[9:12], off
	global_store_b128 v[1:2], v[13:16], off
	s_and_b32 exec_lo, exec_lo, s0
	s_cbranch_execz .LBB70_161
; %bb.160:
	v_ashrrev_i32_e32 v1, 31, v0
	v_mov_b32_e32 v7, v4
	s_delay_alu instid0(VALU_DEP_2) | instskip(NEXT) | instid1(VALU_DEP_1)
	v_lshlrev_b64 v[0:1], 3, v[0:1]
	v_add_co_u32 v0, vcc_lo, s30, v0
	s_delay_alu instid0(VALU_DEP_2)
	v_add_co_ci_u32_e32 v1, vcc_lo, s31, v1, vcc_lo
	global_store_b64 v[0:1], v[7:8], off
	s_nop 0
	s_sendmsg sendmsg(MSG_DEALLOC_VGPRS)
	s_endpgm
.LBB70_161:
	s_nop 0
	s_sendmsg sendmsg(MSG_DEALLOC_VGPRS)
	s_endpgm
	.section	.rodata,"a",@progbits
	.p2align	6, 0x0
	.amdhsa_kernel _ZL15flash_attn_tileILi256ELi256ELi32ELi1ELb1EEvPKcS1_S1_S1_S1_PKiPfP15HIP_vector_typeIfLj2EEffffjfiS5_IjLj3EEiiiiiiiiiiiliiliiiiil
		.amdhsa_group_segment_fixed_size 41984
		.amdhsa_private_segment_fixed_size 32
		.amdhsa_kernarg_size 464
		.amdhsa_user_sgpr_count 13
		.amdhsa_user_sgpr_dispatch_ptr 1
		.amdhsa_user_sgpr_queue_ptr 0
		.amdhsa_user_sgpr_kernarg_segment_ptr 1
		.amdhsa_user_sgpr_dispatch_id 0
		.amdhsa_user_sgpr_private_segment_size 0
		.amdhsa_wavefront_size32 1
		.amdhsa_uses_dynamic_stack 0
		.amdhsa_enable_private_segment 1
		.amdhsa_system_sgpr_workgroup_id_x 1
		.amdhsa_system_sgpr_workgroup_id_y 1
		.amdhsa_system_sgpr_workgroup_id_z 1
		.amdhsa_system_sgpr_workgroup_info 0
		.amdhsa_system_vgpr_workitem_id 2
		.amdhsa_next_free_vgpr 234
		.amdhsa_next_free_sgpr 50
		.amdhsa_reserve_vcc 1
		.amdhsa_float_round_mode_32 0
		.amdhsa_float_round_mode_16_64 0
		.amdhsa_float_denorm_mode_32 3
		.amdhsa_float_denorm_mode_16_64 3
		.amdhsa_dx10_clamp 1
		.amdhsa_ieee_mode 1
		.amdhsa_fp16_overflow 0
		.amdhsa_workgroup_processor_mode 1
		.amdhsa_memory_ordered 1
		.amdhsa_forward_progress 0
		.amdhsa_shared_vgpr_count 0
		.amdhsa_exception_fp_ieee_invalid_op 0
		.amdhsa_exception_fp_denorm_src 0
		.amdhsa_exception_fp_ieee_div_zero 0
		.amdhsa_exception_fp_ieee_overflow 0
		.amdhsa_exception_fp_ieee_underflow 0
		.amdhsa_exception_fp_ieee_inexact 0
		.amdhsa_exception_int_div_zero 0
	.end_amdhsa_kernel
	.section	.text._ZL15flash_attn_tileILi256ELi256ELi32ELi1ELb1EEvPKcS1_S1_S1_S1_PKiPfP15HIP_vector_typeIfLj2EEffffjfiS5_IjLj3EEiiiiiiiiiiiliiliiiiil,"axG",@progbits,_ZL15flash_attn_tileILi256ELi256ELi32ELi1ELb1EEvPKcS1_S1_S1_S1_PKiPfP15HIP_vector_typeIfLj2EEffffjfiS5_IjLj3EEiiiiiiiiiiiliiliiiiil,comdat
.Lfunc_end70:
	.size	_ZL15flash_attn_tileILi256ELi256ELi32ELi1ELb1EEvPKcS1_S1_S1_S1_PKiPfP15HIP_vector_typeIfLj2EEffffjfiS5_IjLj3EEiiiiiiiiiiiliiliiiiil, .Lfunc_end70-_ZL15flash_attn_tileILi256ELi256ELi32ELi1ELb1EEvPKcS1_S1_S1_S1_PKiPfP15HIP_vector_typeIfLj2EEffffjfiS5_IjLj3EEiiiiiiiiiiiliiliiiiil
                                        ; -- End function
	.section	.AMDGPU.csdata,"",@progbits
; Kernel info:
; codeLenInByte = 84020
; NumSgprs: 52
; NumVgprs: 234
; ScratchSize: 32
; MemoryBound: 0
; FloatMode: 240
; IeeeMode: 1
; LDSByteSize: 41984 bytes/workgroup (compile time only)
; SGPRBlocks: 6
; VGPRBlocks: 29
; NumSGPRsForWavesPerEU: 52
; NumVGPRsForWavesPerEU: 234
; Occupancy: 6
; WaveLimiterHint : 1
; COMPUTE_PGM_RSRC2:SCRATCH_EN: 1
; COMPUTE_PGM_RSRC2:USER_SGPR: 13
; COMPUTE_PGM_RSRC2:TRAP_HANDLER: 0
; COMPUTE_PGM_RSRC2:TGID_X_EN: 1
; COMPUTE_PGM_RSRC2:TGID_Y_EN: 1
; COMPUTE_PGM_RSRC2:TGID_Z_EN: 1
; COMPUTE_PGM_RSRC2:TIDIG_COMP_CNT: 2
	.section	.text._ZL15flash_attn_tileILi256ELi256ELi16ELi1ELb1EEvPKcS1_S1_S1_S1_PKiPfP15HIP_vector_typeIfLj2EEffffjfiS5_IjLj3EEiiiiiiiiiiiliiliiiiil,"axG",@progbits,_ZL15flash_attn_tileILi256ELi256ELi16ELi1ELb1EEvPKcS1_S1_S1_S1_PKiPfP15HIP_vector_typeIfLj2EEffffjfiS5_IjLj3EEiiiiiiiiiiiliiliiiiil,comdat
	.globl	_ZL15flash_attn_tileILi256ELi256ELi16ELi1ELb1EEvPKcS1_S1_S1_S1_PKiPfP15HIP_vector_typeIfLj2EEffffjfiS5_IjLj3EEiiiiiiiiiiiliiliiiiil ; -- Begin function _ZL15flash_attn_tileILi256ELi256ELi16ELi1ELb1EEvPKcS1_S1_S1_S1_PKiPfP15HIP_vector_typeIfLj2EEffffjfiS5_IjLj3EEiiiiiiiiiiiliiliiiiil
	.p2align	8
	.type	_ZL15flash_attn_tileILi256ELi256ELi16ELi1ELb1EEvPKcS1_S1_S1_S1_PKiPfP15HIP_vector_typeIfLj2EEffffjfiS5_IjLj3EEiiiiiiiiiiiliiliiiiil,@function
_ZL15flash_attn_tileILi256ELi256ELi16ELi1ELb1EEvPKcS1_S1_S1_S1_PKiPfP15HIP_vector_typeIfLj2EEffffjfiS5_IjLj3EEiiiiiiiiiiiliiliiiiil: ; @_ZL15flash_attn_tileILi256ELi256ELi16ELi1ELb1EEvPKcS1_S1_S1_S1_PKiPfP15HIP_vector_typeIfLj2EEffffjfiS5_IjLj3EEiiiiiiiiiiiliiliiiiil
; %bb.0:
	s_clause 0x3
	s_load_b128 s[8:11], s[0:1], 0x5c
	s_load_b64 s[42:43], s[0:1], 0x80
	s_load_b512 s[16:31], s[0:1], 0x0
	s_load_b64 s[44:45], s[0:1], 0xb8
	s_mov_b64 s[40:41], 0
	s_waitcnt lgkmcnt(0)
	v_cvt_f32_u32_e32 v1, s11
	s_sub_i32 s3, 0, s11
	s_delay_alu instid0(VALU_DEP_1) | instskip(SKIP_2) | instid1(VALU_DEP_1)
	v_rcp_iflag_f32_e32 v1, v1
	s_waitcnt_depctr 0xfff
	v_mul_f32_e32 v1, 0x4f7ffffe, v1
	v_cvt_u32_f32_e32 v1, v1
	s_delay_alu instid0(VALU_DEP_1) | instskip(NEXT) | instid1(VALU_DEP_1)
	v_readfirstlane_b32 s2, v1
	s_mul_i32 s3, s3, s2
	s_delay_alu instid0(SALU_CYCLE_1) | instskip(NEXT) | instid1(SALU_CYCLE_1)
	s_mul_hi_u32 s3, s2, s3
	s_add_i32 s2, s2, s3
	s_delay_alu instid0(SALU_CYCLE_1) | instskip(NEXT) | instid1(SALU_CYCLE_1)
	s_mul_hi_u32 s2, s15, s2
	s_mul_i32 s3, s2, s11
	s_add_i32 s4, s2, 1
	s_sub_i32 s3, s15, s3
	s_delay_alu instid0(SALU_CYCLE_1)
	s_sub_i32 s5, s3, s11
	s_cmp_ge_u32 s3, s11
	s_cselect_b32 s2, s4, s2
	s_cselect_b32 s3, s5, s3
	s_add_i32 s4, s2, 1
	s_cmp_ge_u32 s3, s11
	s_cselect_b32 s12, s4, s2
	s_abs_i32 s2, s43
	s_abs_i32 s6, s11
	v_cvt_f32_u32_e32 v1, s2
	s_sub_i32 s4, 0, s2
	s_mul_i32 s5, s12, s11
	s_delay_alu instid0(SALU_CYCLE_1) | instskip(NEXT) | instid1(VALU_DEP_1)
	s_sub_i32 s34, s15, s5
	v_rcp_iflag_f32_e32 v1, v1
	s_waitcnt_depctr 0xfff
	v_mul_f32_e32 v1, 0x4f7ffffe, v1
	s_delay_alu instid0(VALU_DEP_1) | instskip(NEXT) | instid1(VALU_DEP_1)
	v_cvt_u32_f32_e32 v1, v1
	v_readfirstlane_b32 s3, v1
	s_delay_alu instid0(VALU_DEP_1) | instskip(NEXT) | instid1(SALU_CYCLE_1)
	s_mul_i32 s4, s4, s3
	s_mul_hi_u32 s4, s3, s4
	s_delay_alu instid0(SALU_CYCLE_1) | instskip(SKIP_4) | instid1(SALU_CYCLE_1)
	s_add_i32 s3, s3, s4
	s_xor_b32 s4, s11, s43
	s_mul_hi_u32 s3, s6, s3
	s_ashr_i32 s4, s4, 31
	s_mul_i32 s5, s3, s2
	s_sub_i32 s5, s6, s5
	s_add_i32 s6, s3, 1
	s_sub_i32 s7, s5, s2
	s_cmp_ge_u32 s5, s2
	s_cselect_b32 s3, s6, s3
	s_cselect_b32 s5, s7, s5
	s_add_i32 s6, s3, 1
	s_cmp_ge_u32 s5, s2
	s_cselect_b32 s2, s6, s3
	s_abs_i32 s43, s34
	s_xor_b32 s2, s2, s4
	s_delay_alu instid0(SALU_CYCLE_1) | instskip(NEXT) | instid1(SALU_CYCLE_1)
	s_sub_i32 s46, s2, s4
	s_abs_i32 s33, s46
	s_delay_alu instid0(SALU_CYCLE_1) | instskip(SKIP_1) | instid1(VALU_DEP_1)
	v_cvt_f32_u32_e32 v1, s33
	s_sub_i32 s3, 0, s33
	v_rcp_iflag_f32_e32 v1, v1
	s_waitcnt_depctr 0xfff
	v_mul_f32_e32 v1, 0x4f7ffffe, v1
	s_delay_alu instid0(VALU_DEP_1) | instskip(NEXT) | instid1(VALU_DEP_1)
	v_cvt_u32_f32_e32 v1, v1
	v_readfirstlane_b32 s2, v1
	s_delay_alu instid0(VALU_DEP_1) | instskip(NEXT) | instid1(SALU_CYCLE_1)
	s_mul_i32 s3, s3, s2
	s_mul_hi_u32 s3, s2, s3
	s_delay_alu instid0(SALU_CYCLE_1)
	s_add_i32 s2, s2, s3
	s_cmp_eq_u64 s[22:23], 0
	s_cbranch_scc1 .LBB71_2
; %bb.1:
	s_abs_i32 s3, s44
	s_abs_i32 s6, s12
	v_cvt_f32_u32_e32 v1, s3
	s_sub_i32 s5, 0, s3
	s_delay_alu instid0(VALU_DEP_1) | instskip(SKIP_2) | instid1(VALU_DEP_1)
	v_rcp_iflag_f32_e32 v1, v1
	s_waitcnt_depctr 0xfff
	v_mul_f32_e32 v1, 0x4f7ffffe, v1
	v_cvt_u32_f32_e32 v1, v1
	s_delay_alu instid0(VALU_DEP_1) | instskip(NEXT) | instid1(VALU_DEP_1)
	v_readfirstlane_b32 s4, v1
	s_mul_i32 s5, s5, s4
	s_delay_alu instid0(SALU_CYCLE_1) | instskip(NEXT) | instid1(SALU_CYCLE_1)
	s_mul_hi_u32 s5, s4, s5
	s_add_i32 s7, s4, s5
	s_load_b64 s[4:5], s[0:1], 0xc8
	s_mul_hi_u32 s7, s6, s7
	s_delay_alu instid0(SALU_CYCLE_1) | instskip(NEXT) | instid1(SALU_CYCLE_1)
	s_mul_i32 s7, s7, s3
	s_sub_i32 s6, s6, s7
	s_ashr_i32 s7, s12, 31
	s_sub_i32 s15, s6, s3
	s_cmp_ge_u32 s6, s3
	s_cselect_b32 s6, s15, s6
	s_delay_alu instid0(SALU_CYCLE_1) | instskip(SKIP_2) | instid1(SALU_CYCLE_1)
	s_sub_i32 s15, s6, s3
	s_cmp_ge_u32 s6, s3
	s_cselect_b32 s3, s15, s6
	s_xor_b32 s3, s3, s7
	s_delay_alu instid0(SALU_CYCLE_1)
	s_sub_i32 s3, s3, s7
	s_waitcnt lgkmcnt(0)
	s_mul_i32 s5, s3, s5
	s_mul_hi_u32 s6, s3, s4
	s_ashr_i32 s7, s3, 31
	s_add_i32 s5, s6, s5
	s_mul_i32 s7, s7, s4
	s_mul_i32 s3, s3, s4
	s_add_i32 s5, s5, s7
	s_add_u32 s40, s22, s3
	s_addc_u32 s41, s23, s5
.LBB71_2:
	s_clause 0x1
	s_load_b128 s[36:39], s[0:1], 0x40
	s_load_b64 s[22:23], s[0:1], 0x50
	v_mov_b32_e32 v54, 1.0
	s_waitcnt lgkmcnt(0)
	v_cmp_le_f32_e64 s3, s37, 0
	s_mul_hi_u32 s37, s43, s2
	s_delay_alu instid0(VALU_DEP_1)
	s_and_b32 vcc_lo, exec_lo, s3
	s_cbranch_vccnz .LBB71_4
; %bb.3:
	s_sub_i32 s2, s34, s22
	s_add_i32 s3, s34, 1
	s_lshl_b32 s2, s2, 1
	v_mov_b32_e32 v1, s38
	s_or_b32 s2, s2, 1
	s_cmp_lt_u32 s34, s22
	s_cselect_b32 vcc_lo, -1, 0
	s_delay_alu instid0(VALU_DEP_1)
	v_cndmask_b32_e32 v3, s39, v1, vcc_lo
	s_and_b32 s4, vcc_lo, exec_lo
	s_cselect_b32 s2, s3, s2
	s_mov_b32 s3, 0x3e76c4e1
	v_cvt_f32_i32_e32 v1, s2
	v_cmp_neq_f32_e32 vcc_lo, 1.0, v3
	s_delay_alu instid0(VALU_DEP_2) | instskip(NEXT) | instid1(VALU_DEP_1)
	v_cndmask_b32_e32 v4, 1.0, v1, vcc_lo
	v_cmp_eq_f32_e32 vcc_lo, 0, v4
	v_cndmask_b32_e64 v5, |v3|, 1.0, vcc_lo
	s_delay_alu instid0(VALU_DEP_1) | instskip(NEXT) | instid1(VALU_DEP_1)
	v_frexp_mant_f32_e32 v1, v5
	v_cmp_gt_f32_e64 s2, 0x3f2aaaab, v1
	s_delay_alu instid0(VALU_DEP_1) | instskip(NEXT) | instid1(VALU_DEP_1)
	v_cndmask_b32_e64 v2, 1.0, 2.0, s2
	v_mul_f32_e32 v1, v1, v2
	s_delay_alu instid0(VALU_DEP_1) | instskip(SKIP_1) | instid1(VALU_DEP_2)
	v_add_f32_e32 v2, 1.0, v1
	v_add_f32_e32 v7, -1.0, v1
	v_rcp_f32_e32 v6, v2
	s_waitcnt_depctr 0xfff
	v_mul_f32_e32 v8, v7, v6
	s_delay_alu instid0(VALU_DEP_1) | instskip(NEXT) | instid1(VALU_DEP_1)
	v_dual_add_f32 v9, -1.0, v2 :: v_dual_mul_f32 v10, v2, v8
	v_sub_f32_e32 v1, v1, v9
	v_cndmask_b32_e64 v3, v3, 1.0, vcc_lo
	s_delay_alu instid0(VALU_DEP_3) | instskip(NEXT) | instid1(VALU_DEP_2)
	v_fma_f32 v2, v8, v2, -v10
	v_cmp_eq_f32_e64 s4, 0, v3
	s_delay_alu instid0(VALU_DEP_2) | instskip(NEXT) | instid1(VALU_DEP_1)
	v_fmac_f32_e32 v2, v8, v1
	v_add_f32_e32 v1, v10, v2
	s_delay_alu instid0(VALU_DEP_1) | instskip(NEXT) | instid1(VALU_DEP_1)
	v_dual_sub_f32 v10, v1, v10 :: v_dual_sub_f32 v9, v7, v1
	v_dual_sub_f32 v2, v10, v2 :: v_dual_sub_f32 v7, v7, v9
	s_delay_alu instid0(VALU_DEP_1) | instskip(NEXT) | instid1(VALU_DEP_1)
	v_sub_f32_e32 v1, v7, v1
	v_add_f32_e32 v1, v2, v1
	s_delay_alu instid0(VALU_DEP_1) | instskip(NEXT) | instid1(VALU_DEP_1)
	v_add_f32_e32 v1, v9, v1
	v_mul_f32_e32 v1, v6, v1
	s_delay_alu instid0(VALU_DEP_1) | instskip(NEXT) | instid1(VALU_DEP_1)
	v_add_f32_e32 v6, v8, v1
	v_sub_f32_e32 v2, v6, v8
	v_mul_f32_e32 v7, v6, v6
	s_delay_alu instid0(VALU_DEP_2) | instskip(NEXT) | instid1(VALU_DEP_2)
	v_sub_f32_e32 v8, v1, v2
	v_fma_f32 v9, v6, v6, -v7
	s_delay_alu instid0(VALU_DEP_2) | instskip(NEXT) | instid1(VALU_DEP_1)
	v_add_f32_e32 v1, v8, v8
	v_fmac_f32_e32 v9, v6, v1
	v_cvt_f64_f32_e32 v[1:2], v5
	s_delay_alu instid0(VALU_DEP_2) | instskip(NEXT) | instid1(VALU_DEP_1)
	v_add_f32_e32 v10, v7, v9
	v_fmaak_f32 v11, s3, v10, 0x3e91f4c4
	v_sub_f32_e32 v7, v10, v7
	v_mul_f32_e32 v14, v6, v10
	s_delay_alu instid0(VALU_DEP_3) | instskip(NEXT) | instid1(VALU_DEP_3)
	v_fmaak_f32 v11, v10, v11, 0x3ecccdef
	v_sub_f32_e32 v7, v9, v7
	s_delay_alu instid0(VALU_DEP_2) | instskip(NEXT) | instid1(VALU_DEP_1)
	v_mul_f32_e32 v12, v10, v11
	v_fma_f32 v9, v10, v11, -v12
	s_delay_alu instid0(VALU_DEP_1) | instskip(NEXT) | instid1(VALU_DEP_1)
	v_fmac_f32_e32 v9, v7, v11
	v_add_f32_e32 v11, v12, v9
	v_frexp_exp_i32_f64_e32 v1, v[1:2]
	s_delay_alu instid0(VALU_DEP_2) | instskip(NEXT) | instid1(VALU_DEP_1)
	v_sub_f32_e32 v12, v11, v12
	v_sub_f32_e32 v2, v9, v12
	v_fma_f32 v12, v10, v6, -v14
	s_delay_alu instid0(VALU_DEP_2) | instskip(NEXT) | instid1(VALU_DEP_2)
	v_add_f32_e32 v2, 0x31739010, v2
	v_dual_add_f32 v13, 0x3f2aaaaa, v11 :: v_dual_fmac_f32 v12, v10, v8
	v_ldexp_f32 v8, v8, 1
	s_delay_alu instid0(VALU_DEP_2) | instskip(NEXT) | instid1(VALU_DEP_1)
	v_dual_add_f32 v9, 0xbf2aaaaa, v13 :: v_dual_fmac_f32 v12, v7, v6
	v_sub_f32_e32 v9, v11, v9
	s_delay_alu instid0(VALU_DEP_1) | instskip(NEXT) | instid1(VALU_DEP_3)
	v_add_f32_e32 v2, v2, v9
	v_add_f32_e32 v9, v14, v12
	s_delay_alu instid0(VALU_DEP_2) | instskip(NEXT) | instid1(VALU_DEP_1)
	v_add_f32_e32 v7, v13, v2
	v_sub_f32_e32 v10, v13, v7
	s_delay_alu instid0(VALU_DEP_3) | instskip(SKIP_2) | instid1(VALU_DEP_4)
	v_mul_f32_e32 v11, v9, v7
	v_sub_f32_e32 v13, v9, v14
	v_subrev_co_ci_u32_e64 v1, s2, 0, v1, s2
	v_add_f32_e32 v2, v2, v10
	s_delay_alu instid0(VALU_DEP_4) | instskip(NEXT) | instid1(VALU_DEP_4)
	v_fma_f32 v10, v9, v7, -v11
	v_sub_f32_e32 v12, v12, v13
	s_delay_alu instid0(VALU_DEP_4) | instskip(NEXT) | instid1(VALU_DEP_3)
	v_cvt_f32_i32_e32 v1, v1
	v_fmac_f32_e32 v10, v9, v2
	v_ldexp_f32 v2, v6, 1
	s_delay_alu instid0(VALU_DEP_2) | instskip(NEXT) | instid1(VALU_DEP_1)
	v_fmac_f32_e32 v10, v12, v7
	v_add_f32_e32 v6, v11, v10
	s_delay_alu instid0(VALU_DEP_1) | instskip(NEXT) | instid1(VALU_DEP_1)
	v_add_f32_e32 v7, v2, v6
	v_dual_sub_f32 v2, v7, v2 :: v_dual_sub_f32 v9, v6, v11
	s_delay_alu instid0(VALU_DEP_1) | instskip(NEXT) | instid1(VALU_DEP_2)
	v_sub_f32_e32 v2, v6, v2
	v_sub_f32_e32 v9, v10, v9
	s_delay_alu instid0(VALU_DEP_1) | instskip(NEXT) | instid1(VALU_DEP_1)
	v_add_f32_e32 v6, v8, v9
	v_dual_mul_f32 v11, 0x3f317218, v1 :: v_dual_add_f32 v2, v6, v2
	s_delay_alu instid0(VALU_DEP_1) | instskip(NEXT) | instid1(VALU_DEP_2)
	v_fma_f32 v10, 0x3f317218, v1, -v11
	v_add_f32_e32 v8, v7, v2
	s_delay_alu instid0(VALU_DEP_1) | instskip(NEXT) | instid1(VALU_DEP_1)
	v_sub_f32_e32 v7, v8, v7
	v_dual_fmamk_f32 v1, v1, 0xb102e308, v10 :: v_dual_sub_f32 v2, v2, v7
	s_delay_alu instid0(VALU_DEP_1) | instskip(NEXT) | instid1(VALU_DEP_1)
	v_add_f32_e32 v6, v11, v1
	v_add_f32_e32 v9, v6, v8
	s_delay_alu instid0(VALU_DEP_1) | instskip(NEXT) | instid1(VALU_DEP_1)
	v_dual_sub_f32 v11, v6, v11 :: v_dual_sub_f32 v10, v9, v6
	v_sub_f32_e32 v12, v9, v10
	s_delay_alu instid0(VALU_DEP_2) | instskip(NEXT) | instid1(VALU_DEP_2)
	v_sub_f32_e32 v1, v1, v11
	v_dual_sub_f32 v7, v8, v10 :: v_dual_sub_f32 v6, v6, v12
	s_delay_alu instid0(VALU_DEP_2) | instskip(NEXT) | instid1(VALU_DEP_2)
	v_add_f32_e32 v8, v1, v2
	v_add_f32_e32 v6, v7, v6
	s_delay_alu instid0(VALU_DEP_1) | instskip(NEXT) | instid1(VALU_DEP_1)
	v_add_f32_e32 v6, v8, v6
	v_dual_sub_f32 v7, v8, v1 :: v_dual_add_f32 v10, v9, v6
	s_delay_alu instid0(VALU_DEP_1) | instskip(SKIP_1) | instid1(VALU_DEP_3)
	v_sub_f32_e32 v8, v8, v7
	v_sub_f32_e32 v2, v2, v7
	;; [unrolled: 1-line block ×3, first 2 shown]
	s_delay_alu instid0(VALU_DEP_3) | instskip(NEXT) | instid1(VALU_DEP_1)
	v_sub_f32_e32 v1, v1, v8
	v_add_f32_e32 v1, v2, v1
	s_delay_alu instid0(VALU_DEP_3) | instskip(NEXT) | instid1(VALU_DEP_1)
	v_sub_f32_e32 v2, v6, v7
	v_add_f32_e32 v1, v1, v2
	s_delay_alu instid0(VALU_DEP_1) | instskip(NEXT) | instid1(VALU_DEP_1)
	v_add_f32_e32 v2, v10, v1
	v_mul_f32_e32 v7, v4, v2
	v_sub_f32_e32 v6, v2, v10
	s_delay_alu instid0(VALU_DEP_2) | instskip(NEXT) | instid1(VALU_DEP_2)
	v_fma_f32 v2, v4, v2, -v7
	v_sub_f32_e32 v1, v1, v6
	v_cmp_class_f32_e64 s2, v7, 0x204
	s_delay_alu instid0(VALU_DEP_2) | instskip(NEXT) | instid1(VALU_DEP_1)
	v_fmac_f32_e32 v2, v4, v1
	v_add_f32_e32 v1, v7, v2
	s_delay_alu instid0(VALU_DEP_1) | instskip(NEXT) | instid1(VALU_DEP_1)
	v_cndmask_b32_e64 v6, v1, v7, s2
	v_cmp_eq_f32_e64 s2, 0x42b17218, v6
	s_delay_alu instid0(VALU_DEP_1) | instskip(SKIP_1) | instid1(VALU_DEP_2)
	v_cndmask_b32_e64 v8, 0, 0x37000000, s2
	v_cmp_neq_f32_e64 s2, 0x7f800000, |v6|
	v_sub_f32_e32 v9, v6, v8
	v_trunc_f32_e32 v6, v4
	s_delay_alu instid0(VALU_DEP_2) | instskip(NEXT) | instid1(VALU_DEP_1)
	v_mul_f32_e32 v10, 0x3fb8aa3b, v9
	v_fma_f32 v11, 0x3fb8aa3b, v9, -v10
	v_rndne_f32_e32 v12, v10
	s_delay_alu instid0(VALU_DEP_1) | instskip(NEXT) | instid1(VALU_DEP_1)
	v_dual_fmamk_f32 v11, v9, 0x32a5705f, v11 :: v_dual_sub_f32 v10, v10, v12
	v_add_f32_e32 v10, v10, v11
	v_sub_f32_e32 v1, v1, v7
	v_cvt_i32_f32_e32 v7, v12
	s_delay_alu instid0(VALU_DEP_3) | instskip(NEXT) | instid1(VALU_DEP_2)
	v_exp_f32_e32 v10, v10
	v_sub_f32_e32 v1, v2, v1
	s_delay_alu instid0(VALU_DEP_1)
	v_cndmask_b32_e64 v1, 0, v1, s2
	v_cmp_ngt_f32_e64 s2, 0xc2ce8ed0, v9
	s_waitcnt_depctr 0xfff
	v_ldexp_f32 v2, v10, v7
	v_mul_f32_e32 v7, 0.5, v4
	v_add_f32_e32 v1, v8, v1
	s_delay_alu instid0(VALU_DEP_3) | instskip(NEXT) | instid1(VALU_DEP_3)
	v_cndmask_b32_e64 v2, 0, v2, s2
	v_trunc_f32_e32 v10, v7
	v_cmp_nlt_f32_e64 s2, 0x42b17218, v9
	s_delay_alu instid0(VALU_DEP_2) | instskip(NEXT) | instid1(VALU_DEP_2)
	v_cmp_neq_f32_e64 s3, v10, v7
	v_cndmask_b32_e64 v2, 0x7f800000, v2, s2
	v_cmp_eq_f32_e64 s2, v6, v4
	s_delay_alu instid0(VALU_DEP_2) | instskip(NEXT) | instid1(VALU_DEP_2)
	v_fma_f32 v1, v2, v1, v2
	s_and_b32 vcc_lo, s2, s3
	v_cmp_class_f32_e64 s3, v2, 0x204
	v_cndmask_b32_e32 v6, 1.0, v3, vcc_lo
	s_delay_alu instid0(VALU_DEP_2) | instskip(SKIP_1) | instid1(VALU_DEP_2)
	v_cndmask_b32_e64 v1, v1, v2, s3
	v_cmp_gt_f32_e64 s3, 0, v4
	v_bfi_b32 v1, 0x7fffffff, v1, v6
	s_delay_alu instid0(VALU_DEP_2)
	s_xor_b32 s3, s3, s4
	v_cndmask_b32_e32 v6, 0, v3, vcc_lo
	v_cndmask_b32_e64 v2, 0x7f800000, 0, s3
	v_cmp_eq_f32_e32 vcc_lo, 0x7f800000, v5
	v_cndmask_b32_e64 v4, 0x7fc00000, v1, s2
	v_cmp_gt_f32_e64 s2, 0, v3
	s_delay_alu instid0(VALU_DEP_4) | instskip(SKIP_1) | instid1(VALU_DEP_2)
	v_bfi_b32 v2, 0x7fffffff, v2, v6
	s_or_b32 vcc_lo, vcc_lo, s4
	v_cndmask_b32_e64 v1, v1, v4, s2
	s_delay_alu instid0(VALU_DEP_1) | instskip(SKIP_1) | instid1(VALU_DEP_2)
	v_cndmask_b32_e32 v1, v1, v2, vcc_lo
	v_cmp_o_f32_e32 vcc_lo, v3, v3
	v_cndmask_b32_e32 v54, 0x7fc00000, v1, vcc_lo
.LBB71_4:
	v_bfe_u32 v49, v0, 10, 10
	s_lshl_b32 s15, s13, 4
	s_load_b128 s[4:7], s[0:1], 0x70
	s_ashr_i32 s35, s34, 31
	s_ashr_i32 s38, s46, 31
	v_lshlrev_b32_e32 v37, 1, v49
	v_and_b32_e32 v39, 0x3ff, v0
	v_lshlrev_b32_e32 v16, 8, v49
	s_delay_alu instid0(VALU_DEP_3) | instskip(NEXT) | instid1(VALU_DEP_3)
	v_or_b32_e32 v34, 1, v37
	v_lshlrev_b32_e32 v53, 1, v39
	v_lshlrev_b32_e32 v36, 2, v39
	s_delay_alu instid0(VALU_DEP_3) | instskip(SKIP_1) | instid1(VALU_DEP_4)
	v_add_nc_u32_e32 v35, s15, v34
	v_lshlrev_b32_e32 v17, 7, v34
	v_add_lshl_u32 v16, v16, v53, 2
	s_delay_alu instid0(VALU_DEP_3) | instskip(NEXT) | instid1(VALU_DEP_3)
	v_mul_hi_u32 v2, v35, s8
	v_add_lshl_u32 v18, v17, v53, 2
	s_waitcnt lgkmcnt(0)
	s_mul_i32 s2, s12, s6
	s_mul_i32 s3, s34, s5
	s_ashr_i32 s5, s2, 31
	s_add_u32 s2, s16, s2
	s_addc_u32 s5, s17, s5
	s_ashr_i32 s6, s3, 31
	v_add_nc_u32_e32 v2, v35, v2
	s_add_u32 s2, s2, s3
	s_addc_u32 s3, s5, s6
	s_ashr_i32 s5, s4, 31
	v_add_nc_u32_e32 v20, 0x4000, v16
	v_lshrrev_b32_e32 v2, s9, v2
	v_alignbit_b32 v5, s5, s4, 2
	s_lshr_b32 s4, s5, 2
	s_cmp_eq_u64 s[26:27], 0
	s_delay_alu instid0(VALU_DEP_2) | instskip(NEXT) | instid1(VALU_DEP_1)
	v_mul_lo_u32 v3, v2, s10
	v_sub_nc_u32_e32 v7, v35, v3
	s_delay_alu instid0(VALU_DEP_1) | instskip(NEXT) | instid1(VALU_DEP_1)
	v_mad_u64_u32 v[3:4], null, v5, v7, 0
	v_mov_b32_e32 v0, v4
	v_add_nc_u32_e32 v38, s15, v37
	s_delay_alu instid0(VALU_DEP_1) | instskip(NEXT) | instid1(VALU_DEP_1)
	v_mul_hi_u32 v1, v38, s8
	v_add_nc_u32_e32 v1, v38, v1
	s_delay_alu instid0(VALU_DEP_1) | instskip(NEXT) | instid1(VALU_DEP_1)
	v_lshrrev_b32_e32 v1, s9, v1
	v_mul_lo_u32 v1, v1, s10
	s_delay_alu instid0(VALU_DEP_1) | instskip(NEXT) | instid1(VALU_DEP_1)
	v_sub_nc_u32_e32 v55, v38, v1
	v_mad_u64_u32 v[1:2], null, v5, v55, 0
	s_delay_alu instid0(VALU_DEP_1) | instskip(SKIP_1) | instid1(VALU_DEP_1)
	v_mad_u64_u32 v[5:6], null, s4, v55, v[2:3]
	v_lshlrev_b32_e32 v6, 4, v39
	v_add_co_u32 v10, s2, s2, v6
	s_delay_alu instid0(VALU_DEP_3) | instskip(SKIP_2) | instid1(VALU_DEP_3)
	v_mov_b32_e32 v2, v5
	v_mad_u64_u32 v[4:5], null, s4, v7, v[0:1]
	v_add_co_ci_u32_e64 v11, null, s3, 0, s2
	v_lshlrev_b64 v[0:1], 2, v[1:2]
	s_mov_b32 s3, 0
	s_delay_alu instid0(VALU_DEP_3) | instskip(NEXT) | instid1(VALU_DEP_2)
	v_lshlrev_b64 v[8:9], 2, v[3:4]
	v_add_co_u32 v5, vcc_lo, v10, v0
	s_delay_alu instid0(VALU_DEP_3) | instskip(NEXT) | instid1(VALU_DEP_3)
	v_add_co_ci_u32_e32 v6, vcc_lo, v11, v1, vcc_lo
	v_add_co_u32 v12, vcc_lo, v10, v8
	s_delay_alu instid0(VALU_DEP_4)
	v_add_co_ci_u32_e32 v13, vcc_lo, v11, v9, vcc_lo
	s_clause 0x3
	global_load_b128 v[0:3], v[5:6], off
	global_load_b128 v[4:7], v[5:6], off offset:512
	global_load_b128 v[8:11], v[12:13], off
	global_load_b128 v[12:15], v[12:13], off offset:512
	s_waitcnt vmcnt(3)
	v_fma_mixlo_f16 v17, v2, s36, 0
	v_fma_mixlo_f16 v16, v0, s36, 0
	s_waitcnt vmcnt(2)
	v_fma_mixlo_f16 v19, v6, s36, 0
	v_add_nc_u32_e32 v6, 0x4000, v18
	v_fma_mixlo_f16 v18, v4, s36, 0
	v_fma_mixhi_f16 v17, v3, s36, 0
	v_fma_mixhi_f16 v16, v1, s36, 0
	s_waitcnt vmcnt(1)
	v_fma_mixlo_f16 v1, v10, s36, 0
	v_fma_mixlo_f16 v0, v8, s36, 0
	s_waitcnt vmcnt(0)
	v_fma_mixlo_f16 v3, v14, s36, 0
	v_fma_mixlo_f16 v2, v12, s36, 0
	v_fma_mixhi_f16 v19, v7, s36, 0
	v_fma_mixhi_f16 v18, v5, s36, 0
	;; [unrolled: 1-line block ×6, first 2 shown]
	ds_store_2addr_b64 v20, v[16:17], v[18:19] offset0:64 offset1:96
	ds_store_2addr_b64 v6, v[0:1], v[2:3] offset0:64 offset1:96
	s_waitcnt lgkmcnt(0)
	s_barrier
	buffer_gl0_inv
	s_cbranch_scc1 .LBB71_6
; %bb.5:
	s_load_b32 s2, s[0:1], 0xd0
	s_waitcnt lgkmcnt(0)
	s_mul_i32 s2, s2, s12
	s_delay_alu instid0(SALU_CYCLE_1) | instskip(NEXT) | instid1(SALU_CYCLE_1)
	s_add_i32 s2, s2, s13
	s_lshl_b64 s[2:3], s[2:3], 2
	s_delay_alu instid0(SALU_CYCLE_1)
	s_add_u32 s2, s26, s2
	s_addc_u32 s3, s27, s3
	s_load_b32 s42, s[2:3], 0x0
.LBB71_6:
	s_clause 0x2
	s_load_b64 s[2:3], s[0:1], 0x8c
	s_load_b128 s[4:7], s[0:1], 0x98
	s_load_b64 s[16:17], s[0:1], 0xa8
	s_mov_b32 s26, 0xfeffffff
	s_ashr_i32 s36, s12, 31
	s_mov_b32 s27, s26
	v_dual_mov_b32 v57, 0 :: v_dual_mov_b32 v14, s26
	v_mov_b32_e32 v15, s27
	s_ashr_i32 s22, s45, 1
	s_mul_i32 s39, s37, s33
	v_dual_mov_b32 v43, 0 :: v_dual_lshlrev_b32 v52, 2, v36
	v_mul_u32_u24_e32 v56, 0x210, v39
	v_lshlrev_b32_e32 v45, 2, v53
	v_mbcnt_lo_u32_b32 v40, -1, 0
	s_waitcnt lgkmcnt(0)
	s_ashr_i32 s26, s2, 2
	s_mul_i32 s2, s12, s5
	s_mul_hi_u32 s5, s12, s4
	s_ashr_i32 s13, s6, 2
	s_mul_i32 s6, s36, s4
	s_add_i32 s2, s5, s2
	s_mul_i32 s4, s12, s4
	s_add_i32 s2, s2, s6
	s_add_u32 s4, s18, s4
	s_addc_u32 s2, s19, s2
	s_sub_i32 s6, s43, s39
	s_xor_b32 s5, s35, s38
	s_add_i32 s18, s37, 1
	s_sub_i32 s19, s6, s33
	s_cmp_ge_u32 s6, s33
	v_mul_lo_u32 v16, s26, v49
	s_cselect_b32 s18, s18, s37
	s_cselect_b32 s6, s19, s6
	s_add_i32 s19, s18, 1
	s_cmp_ge_u32 s6, s33
	v_mul_lo_u32 v12, s13, v49
	s_cselect_b32 s18, s19, s18
	s_mul_i32 s17, s12, s17
	s_xor_b32 s18, s18, s5
	s_mul_hi_u32 s6, s12, s16
	s_sub_i32 s18, s18, s5
	s_mul_i32 s36, s36, s16
	s_mul_i32 s3, s18, s3
	;; [unrolled: 1-line block ×3, first 2 shown]
	s_ashr_i32 s5, s3, 31
	s_add_u32 s4, s4, s3
	s_addc_u32 s5, s2, s5
	s_add_i32 s2, s6, s17
	s_mul_i32 s18, s18, s7
	s_add_i32 s2, s2, s36
	s_add_u32 s3, s20, s16
	s_addc_u32 s2, s21, s2
	s_ashr_i32 s6, s18, 31
	s_add_u32 s16, s3, s18
	v_ashrrev_i32_e32 v17, 31, v16
	v_ashrrev_i32_e32 v13, 31, v12
	s_addc_u32 s17, s2, s6
	s_lshl_b32 s7, s14, 5
	s_sub_i32 s6, s42, 32
	s_delay_alu instid0(SALU_CYCLE_1)
	s_cmp_ge_i32 s7, s6
	s_cbranch_scc1 .LBB71_24
; %bb.7:
	v_or_b32_e32 v5, 1, v38
	s_lshl_b32 s2, s26, 3
	s_cmp_lg_u64 s[40:41], 0
	v_dual_mov_b32 v47, 0 :: v_dual_add_nc_u32 v0, s2, v16
	s_delay_alu instid0(VALU_DEP_2)
	v_mul_hi_u32 v1, s8, v5
	v_mov_b32_e32 v46, 0
	s_cselect_b32 s18, -1, 0
	s_lshl_b32 s3, s13, 3
	v_dual_mov_b32 v73, 0xfeffffff :: v_dual_add_nc_u32 v4, s2, v0
	v_dual_mov_b32 v43, 0 :: v_dual_add_nc_u32 v2, s3, v12
	s_delay_alu instid0(VALU_DEP_4) | instskip(NEXT) | instid1(VALU_DEP_3)
	v_add_nc_u32_e32 v1, v5, v1
	v_add_nc_u32_e32 v8, s2, v4
	v_mad_u32_u24 v58, 0x210, v49, v52
	s_delay_alu instid0(VALU_DEP_4)
	v_add_nc_u32_e32 v6, s3, v2
	v_ashrrev_i32_e32 v3, 31, v2
	v_lshrrev_b32_e32 v1, s9, v1
	v_ashrrev_i32_e32 v9, 31, v8
	v_lshl_add_u32 v61, v49, 7, 0x6200
	v_add_nc_u32_e32 v10, s3, v6
	v_lshl_add_u32 v62, v49, 9, v52
	v_mul_lo_u32 v7, v1, s10
	v_ashrrev_i32_e32 v1, 31, v0
	v_mul_lo_u32 v60, v55, s22
	v_ashrrev_i32_e32 v11, 31, v10
	v_lshlrev_b64 v[18:19], 2, v[16:17]
	v_lshlrev_b64 v[24:25], 2, v[8:9]
	v_lshlrev_b64 v[20:21], 2, v[0:1]
	v_lshlrev_b64 v[26:27], 2, v[12:13]
	v_sub_nc_u32_e32 v14, v5, v7
	v_ashrrev_i32_e32 v5, 31, v4
	v_ashrrev_i32_e32 v7, 31, v6
	v_lshlrev_b64 v[28:29], 2, v[2:3]
	v_lshlrev_b64 v[32:33], 2, v[10:11]
	v_mul_lo_u32 v70, v14, s22
	v_lshlrev_b64 v[22:23], 2, v[4:5]
	v_lshlrev_b64 v[30:31], 2, v[6:7]
	v_lshl_add_u32 v59, v49, 10, 0x4200
	v_dual_mov_b32 v74, 0xfeffffff :: v_dual_mov_b32 v41, 0
	v_dual_mov_b32 v48, 0 :: v_dual_add_nc_u32 v63, 0x1080, v58
	v_dual_mov_b32 v51, 0 :: v_dual_add_nc_u32 v64, 0x2100, v58
	;; [unrolled: 1-line block ×3, first 2 shown]
	v_lshl_add_u32 v66, v53, 1, v61
	v_dual_mov_b32 v50, 0 :: v_dual_add_nc_u32 v67, 0x1000, v62
	v_add_nc_u32_e32 v68, 0x2000, v62
	v_dual_mov_b32 v44, 0 :: v_dual_add_nc_u32 v69, 0x3000, v62
	v_mbcnt_lo_u32_b32 v71, -1, 0
	v_mov_b32_e32 v72, 0
	s_add_u32 s2, s0, 0xd0
	s_addc_u32 s3, s1, 0
	s_mov_b32 s19, 0xbbbac73d
.LBB71_8:                               ; =>This Inner Loop Header: Depth=1
	s_mul_hi_i32 s21, s7, s26
	s_mul_i32 s20, s7, s26
	s_delay_alu instid0(SALU_CYCLE_1) | instskip(NEXT) | instid1(SALU_CYCLE_1)
	s_lshl_b64 s[20:21], s[20:21], 2
	s_add_u32 s20, s4, s20
	s_addc_u32 s21, s5, s21
	v_add_co_u32 v0, vcc_lo, s20, v18
	v_add_co_ci_u32_e32 v1, vcc_lo, s21, v19, vcc_lo
	v_add_co_u32 v2, vcc_lo, s20, v20
	v_add_co_ci_u32_e32 v3, vcc_lo, s21, v21, vcc_lo
	s_delay_alu instid0(VALU_DEP_4) | instskip(NEXT) | instid1(VALU_DEP_4)
	v_add_co_u32 v0, vcc_lo, v0, v52
	v_add_co_ci_u32_e32 v1, vcc_lo, 0, v1, vcc_lo
	s_delay_alu instid0(VALU_DEP_4) | instskip(NEXT) | instid1(VALU_DEP_4)
	v_add_co_u32 v4, vcc_lo, v2, v52
	v_add_co_ci_u32_e32 v5, vcc_lo, 0, v3, vcc_lo
	v_add_co_u32 v2, vcc_lo, s20, v22
	v_add_co_ci_u32_e32 v3, vcc_lo, s21, v23, vcc_lo
	;; [unrolled: 2-line block ×3, first 2 shown]
	s_delay_alu instid0(VALU_DEP_4) | instskip(NEXT) | instid1(VALU_DEP_4)
	v_add_co_u32 v8, vcc_lo, v2, v52
	v_add_co_ci_u32_e32 v9, vcc_lo, 0, v3, vcc_lo
	s_delay_alu instid0(VALU_DEP_4) | instskip(NEXT) | instid1(VALU_DEP_4)
	v_add_co_u32 v14, vcc_lo, v6, v52
	v_add_co_ci_u32_e32 v15, vcc_lo, 0, v7, vcc_lo
	s_clause 0x3
	global_load_b128 v[0:3], v[0:1], off
	global_load_b128 v[4:7], v[4:5], off
	;; [unrolled: 1-line block ×4, first 2 shown]
	v_mov_b32_e32 v14, 0
	s_waitcnt vmcnt(3)
	ds_store_b128 v58, v[0:3]
	s_waitcnt vmcnt(2)
	ds_store_b128 v63, v[4:7]
	;; [unrolled: 2-line block ×4, first 2 shown]
	s_waitcnt lgkmcnt(0)
	s_barrier
	buffer_gl0_inv
	ds_load_b128 v[1:4], v56
	ds_load_b128 v[5:8], v59
	ds_load_b128 v[75:78], v59 offset:512
	v_mov_b32_e32 v0, 0
	s_waitcnt lgkmcnt(1)
	;;#ASMSTART
	v_dot2_f32_f16 v0, v1, v5, v0
	;;#ASMEND
	;;#ASMSTART
	v_dot2_f32_f16 v0, v2, v6, v0
	;;#ASMEND
	;;#ASMSTART
	v_dot2_f32_f16 v0, v3, v7, v0
	;;#ASMEND
	;;#ASMSTART
	v_dot2_f32_f16 v0, v4, v8, v0
	;;#ASMEND
	s_waitcnt lgkmcnt(0)
	;;#ASMSTART
	v_dot2_f32_f16 v14, v1, v75, v14
	;;#ASMEND
	;;#ASMSTART
	v_dot2_f32_f16 v14, v2, v76, v14
	;;#ASMEND
	;;#ASMSTART
	v_dot2_f32_f16 v14, v3, v77, v14
	;;#ASMEND
	;;#ASMSTART
	v_dot2_f32_f16 v14, v4, v78, v14
	;;#ASMEND
	ds_load_b128 v[1:4], v56 offset:16
	ds_load_b128 v[5:8], v59 offset:16
	ds_load_b128 v[75:78], v59 offset:528
	s_waitcnt lgkmcnt(1)
	;;#ASMSTART
	v_dot2_f32_f16 v0, v1, v5, v0
	;;#ASMEND
	;;#ASMSTART
	v_dot2_f32_f16 v0, v2, v6, v0
	;;#ASMEND
	;;#ASMSTART
	v_dot2_f32_f16 v0, v3, v7, v0
	;;#ASMEND
	;;#ASMSTART
	v_dot2_f32_f16 v0, v4, v8, v0
	;;#ASMEND
	s_waitcnt lgkmcnt(0)
	;;#ASMSTART
	v_dot2_f32_f16 v14, v1, v75, v14
	;;#ASMEND
	;;#ASMSTART
	v_dot2_f32_f16 v14, v2, v76, v14
	;;#ASMEND
	;;#ASMSTART
	v_dot2_f32_f16 v14, v3, v77, v14
	;;#ASMEND
	;;#ASMSTART
	v_dot2_f32_f16 v14, v4, v78, v14
	;;#ASMEND
	ds_load_b128 v[1:4], v56 offset:32
	ds_load_b128 v[5:8], v59 offset:32
	ds_load_b128 v[75:78], v59 offset:544
	;; [unrolled: 29-line block ×31, first 2 shown]
	s_waitcnt lgkmcnt(1)
	;;#ASMSTART
	v_dot2_f32_f16 v0, v1, v5, v0
	;;#ASMEND
	;;#ASMSTART
	v_dot2_f32_f16 v0, v2, v6, v0
	;;#ASMEND
	;; [unrolled: 3-line block ×4, first 2 shown]
	v_cmp_ngt_f32_e64 s20, 0x3f200000, |v0|
	s_waitcnt lgkmcnt(0)
	;;#ASMSTART
	v_dot2_f32_f16 v14, v1, v75, v14
	;;#ASMEND
	;;#ASMSTART
	v_dot2_f32_f16 v14, v2, v76, v14
	;;#ASMEND
	;; [unrolled: 3-line block ×4, first 2 shown]
                                        ; implicit-def: $vgpr2
	s_and_saveexec_b32 s21, s20
	s_delay_alu instid0(SALU_CYCLE_1)
	s_xor_b32 s20, exec_lo, s21
	s_cbranch_execnz .LBB71_12
; %bb.9:                                ;   in Loop: Header=BB71_8 Depth=1
	s_and_not1_saveexec_b32 s20, s20
	s_cbranch_execnz .LBB71_13
.LBB71_10:                              ;   in Loop: Header=BB71_8 Depth=1
	s_or_b32 exec_lo, exec_lo, s20
	v_add_nc_u32_e32 v1, s7, v39
	s_and_not1_b32 vcc_lo, exec_lo, s18
	s_cbranch_vccnz .LBB71_14
.LBB71_11:                              ;   in Loop: Header=BB71_8 Depth=1
	s_waitcnt_depctr 0xfff
	v_add_nc_u32_e32 v3, v1, v60
	s_delay_alu instid0(VALU_DEP_1) | instskip(NEXT) | instid1(VALU_DEP_1)
	v_ashrrev_i32_e32 v4, 31, v3
	v_lshlrev_b64 v[3:4], 1, v[3:4]
	s_delay_alu instid0(VALU_DEP_1) | instskip(NEXT) | instid1(VALU_DEP_2)
	v_add_co_u32 v3, vcc_lo, s40, v3
	v_add_co_ci_u32_e32 v4, vcc_lo, s41, v4, vcc_lo
	flat_load_u16 v3, v[3:4]
	s_waitcnt vmcnt(0) lgkmcnt(0)
	v_cvt_f32_f16_e32 v3, v3
	s_delay_alu instid0(VALU_DEP_1)
	v_mul_f32_e32 v15, v54, v3
	s_branch .LBB71_15
.LBB71_12:                              ;   in Loop: Header=BB71_8 Depth=1
	v_add_f32_e64 v1, |v0|, |v0|
	s_delay_alu instid0(VALU_DEP_1) | instskip(SKIP_1) | instid1(VALU_DEP_2)
	v_mul_f32_e32 v2, 0x3fb8aa3b, v1
	v_cmp_ngt_f32_e32 vcc_lo, 0xc2ce8ed0, v1
	v_rndne_f32_e32 v3, v2
	v_fma_f32 v4, 0x3fb8aa3b, v1, -v2
	s_delay_alu instid0(VALU_DEP_2) | instskip(NEXT) | instid1(VALU_DEP_2)
	v_sub_f32_e32 v2, v2, v3
	v_fmac_f32_e32 v4, 0x32a5705f, v1
	v_cvt_i32_f32_e32 v3, v3
	s_delay_alu instid0(VALU_DEP_2) | instskip(NEXT) | instid1(VALU_DEP_1)
	v_add_f32_e32 v2, v2, v4
	v_exp_f32_e32 v2, v2
	s_waitcnt_depctr 0xfff
	v_ldexp_f32 v2, v2, v3
	s_delay_alu instid0(VALU_DEP_1) | instskip(SKIP_1) | instid1(VALU_DEP_2)
	v_cndmask_b32_e32 v2, 0, v2, vcc_lo
	v_cmp_nlt_f32_e32 vcc_lo, 0x42b17218, v1
	v_cndmask_b32_e32 v1, 0x7f800000, v2, vcc_lo
	s_delay_alu instid0(VALU_DEP_1) | instskip(NEXT) | instid1(VALU_DEP_1)
	v_add_f32_e32 v1, 1.0, v1
	v_rcp_f32_e32 v1, v1
	s_waitcnt_depctr 0xfff
	v_fma_f32 v2, v1, -2.0, 1.0
	s_and_not1_saveexec_b32 s20, s20
	s_cbranch_execz .LBB71_10
.LBB71_13:                              ;   in Loop: Header=BB71_8 Depth=1
	v_mul_f32_e32 v1, v0, v0
	s_delay_alu instid0(VALU_DEP_1) | instskip(NEXT) | instid1(VALU_DEP_1)
	v_fmaak_f32 v2, s19, v1, 0x3ca908c9
	v_fmaak_f32 v2, v1, v2, 0xbd5c1c4e
	s_delay_alu instid0(VALU_DEP_1) | instskip(NEXT) | instid1(VALU_DEP_1)
	v_fmaak_f32 v2, v1, v2, 0x3e088382
	v_fmaak_f32 v2, v1, v2, 0xbeaaaa99
	s_delay_alu instid0(VALU_DEP_1) | instskip(NEXT) | instid1(VALU_DEP_1)
	v_mul_f32_e64 v2, |v0|, v2
	v_fma_f32 v2, v1, v2, |v0|
	s_or_b32 exec_lo, exec_lo, s20
	v_add_nc_u32_e32 v1, s7, v39
	s_and_not1_b32 vcc_lo, exec_lo, s18
	s_cbranch_vccz .LBB71_11
.LBB71_14:                              ;   in Loop: Header=BB71_8 Depth=1
	v_mov_b32_e32 v15, 0
.LBB71_15:                              ;   in Loop: Header=BB71_8 Depth=1
	v_bfi_b32 v0, 0x7fffffff, v2, v0
	v_xor_b32_e32 v2, 16, v71
	v_cmp_ngt_f32_e64 s20, 0x3f200000, |v14|
                                        ; implicit-def: $vgpr82
	v_max_f32_e32 v3, v74, v74
	s_delay_alu instid0(VALU_DEP_3) | instskip(SKIP_1) | instid1(VALU_DEP_1)
	v_cmp_gt_i32_e32 vcc_lo, 32, v2
	v_dual_fmac_f32 v15, s23, v0 :: v_dual_cndmask_b32 v0, v71, v2
	v_dual_add_f32 v2, 0x40051340, v15 :: v_dual_lshlrev_b32 v75, 2, v0
	s_delay_alu instid0(VALU_DEP_1)
	v_max_f32_e32 v0, v3, v2
	v_xor_b32_e32 v3, 8, v71
	ds_bpermute_b32 v2, v75, v0
	v_cmp_gt_i32_e32 vcc_lo, 32, v3
	s_waitcnt lgkmcnt(0)
	v_dual_cndmask_b32 v3, v71, v3 :: v_dual_max_f32 v2, v2, v2
	s_delay_alu instid0(VALU_DEP_1) | instskip(SKIP_1) | instid1(VALU_DEP_1)
	v_lshlrev_b32_e32 v76, 2, v3
	v_xor_b32_e32 v3, 4, v71
	v_cmp_gt_i32_e32 vcc_lo, 32, v3
	s_delay_alu instid0(VALU_DEP_4) | instskip(SKIP_3) | instid1(VALU_DEP_1)
	v_dual_max_f32 v0, v0, v2 :: v_dual_cndmask_b32 v3, v71, v3
	ds_bpermute_b32 v2, v76, v0
	v_lshlrev_b32_e32 v77, 2, v3
	v_xor_b32_e32 v3, 2, v71
	v_cmp_gt_i32_e32 vcc_lo, 32, v3
	s_waitcnt lgkmcnt(0)
	v_dual_cndmask_b32 v3, v71, v3 :: v_dual_max_f32 v2, v2, v2
	s_delay_alu instid0(VALU_DEP_1) | instskip(SKIP_1) | instid1(VALU_DEP_3)
	v_lshlrev_b32_e32 v78, 2, v3
	v_xor_b32_e32 v3, 1, v71
	v_max_f32_e32 v0, v0, v2
	s_delay_alu instid0(VALU_DEP_2) | instskip(SKIP_2) | instid1(VALU_DEP_1)
	v_cmp_gt_i32_e32 vcc_lo, 32, v3
	ds_bpermute_b32 v2, v77, v0
	v_cndmask_b32_e32 v3, v71, v3, vcc_lo
	v_lshlrev_b32_e32 v80, 2, v3
	s_waitcnt lgkmcnt(0)
	v_max_f32_e32 v2, v2, v2
	s_delay_alu instid0(VALU_DEP_1) | instskip(SKIP_3) | instid1(VALU_DEP_1)
	v_max_f32_e32 v0, v0, v2
	ds_bpermute_b32 v2, v78, v0
	s_waitcnt lgkmcnt(0)
	v_max_f32_e32 v2, v2, v2
	v_max_f32_e32 v79, v0, v2
	ds_bpermute_b32 v81, v80, v79
	s_and_saveexec_b32 s21, s20
	s_delay_alu instid0(SALU_CYCLE_1)
	s_xor_b32 s20, exec_lo, s21
	s_cbranch_execnz .LBB71_19
; %bb.16:                               ;   in Loop: Header=BB71_8 Depth=1
	s_and_not1_saveexec_b32 s20, s20
	s_cbranch_execnz .LBB71_20
.LBB71_17:                              ;   in Loop: Header=BB71_8 Depth=1
	s_or_b32 exec_lo, exec_lo, s20
	s_delay_alu instid0(SALU_CYCLE_1)
	s_and_not1_b32 vcc_lo, exec_lo, s18
	s_cbranch_vccnz .LBB71_21
.LBB71_18:                              ;   in Loop: Header=BB71_8 Depth=1
	v_add_nc_u32_e32 v0, v1, v70
	s_waitcnt_depctr 0xfff
	v_ashrrev_i32_e32 v1, 31, v0
	s_delay_alu instid0(VALU_DEP_1) | instskip(NEXT) | instid1(VALU_DEP_1)
	v_lshlrev_b64 v[0:1], 1, v[0:1]
	v_add_co_u32 v0, vcc_lo, s40, v0
	s_delay_alu instid0(VALU_DEP_2) | instskip(SKIP_3) | instid1(VALU_DEP_1)
	v_add_co_ci_u32_e32 v1, vcc_lo, s41, v1, vcc_lo
	flat_load_u16 v0, v[0:1]
	s_waitcnt vmcnt(0) lgkmcnt(0)
	v_cvt_f32_f16_e32 v0, v0
	v_mul_f32_e32 v57, v54, v0
	s_branch .LBB71_22
.LBB71_19:                              ;   in Loop: Header=BB71_8 Depth=1
	v_add_f32_e64 v0, |v14|, |v14|
	s_delay_alu instid0(VALU_DEP_1) | instskip(SKIP_1) | instid1(VALU_DEP_2)
	v_mul_f32_e32 v2, 0x3fb8aa3b, v0
	v_cmp_ngt_f32_e32 vcc_lo, 0xc2ce8ed0, v0
	v_rndne_f32_e32 v3, v2
	v_fma_f32 v4, 0x3fb8aa3b, v0, -v2
	s_delay_alu instid0(VALU_DEP_2) | instskip(NEXT) | instid1(VALU_DEP_2)
	v_sub_f32_e32 v2, v2, v3
	v_fmac_f32_e32 v4, 0x32a5705f, v0
	v_cvt_i32_f32_e32 v3, v3
	s_delay_alu instid0(VALU_DEP_2) | instskip(NEXT) | instid1(VALU_DEP_1)
	v_add_f32_e32 v2, v2, v4
	v_exp_f32_e32 v2, v2
	s_waitcnt_depctr 0xfff
	v_ldexp_f32 v2, v2, v3
	s_delay_alu instid0(VALU_DEP_1) | instskip(SKIP_1) | instid1(VALU_DEP_2)
	v_cndmask_b32_e32 v2, 0, v2, vcc_lo
	v_cmp_nlt_f32_e32 vcc_lo, 0x42b17218, v0
	v_cndmask_b32_e32 v0, 0x7f800000, v2, vcc_lo
	s_delay_alu instid0(VALU_DEP_1) | instskip(NEXT) | instid1(VALU_DEP_1)
	v_add_f32_e32 v0, 1.0, v0
	v_rcp_f32_e32 v0, v0
	s_waitcnt_depctr 0xfff
	v_fma_f32 v82, v0, -2.0, 1.0
	s_and_not1_saveexec_b32 s20, s20
	s_cbranch_execz .LBB71_17
.LBB71_20:                              ;   in Loop: Header=BB71_8 Depth=1
	v_mul_f32_e32 v0, v14, v14
	s_delay_alu instid0(VALU_DEP_1) | instskip(NEXT) | instid1(VALU_DEP_1)
	v_fmaak_f32 v2, s19, v0, 0x3ca908c9
	v_fmaak_f32 v2, v0, v2, 0xbd5c1c4e
	s_delay_alu instid0(VALU_DEP_1) | instskip(NEXT) | instid1(VALU_DEP_1)
	v_fmaak_f32 v2, v0, v2, 0x3e088382
	v_fmaak_f32 v2, v0, v2, 0xbeaaaa99
	s_delay_alu instid0(VALU_DEP_1) | instskip(NEXT) | instid1(VALU_DEP_1)
	v_mul_f32_e64 v2, |v14|, v2
	v_fma_f32 v82, v0, v2, |v14|
	s_or_b32 exec_lo, exec_lo, s20
	s_delay_alu instid0(SALU_CYCLE_1)
	s_and_not1_b32 vcc_lo, exec_lo, s18
	s_cbranch_vccz .LBB71_18
.LBB71_21:                              ;   in Loop: Header=BB71_8 Depth=1
	v_mov_b32_e32 v57, 0
.LBB71_22:                              ;   in Loop: Header=BB71_8 Depth=1
	s_mul_hi_i32 s21, s7, s13
	s_mul_i32 s20, s7, s13
	s_waitcnt lgkmcnt(0)
	s_lshl_b64 s[20:21], s[20:21], 2
	s_barrier
	s_add_u32 s20, s16, s20
	s_addc_u32 s21, s17, s21
	v_add_co_u32 v0, vcc_lo, s20, v26
	v_add_co_ci_u32_e32 v1, vcc_lo, s21, v27, vcc_lo
	v_add_co_u32 v2, vcc_lo, s20, v28
	v_add_co_ci_u32_e32 v3, vcc_lo, s21, v29, vcc_lo
	s_delay_alu instid0(VALU_DEP_4) | instskip(NEXT) | instid1(VALU_DEP_4)
	v_add_co_u32 v0, vcc_lo, v0, v52
	v_add_co_ci_u32_e32 v1, vcc_lo, 0, v1, vcc_lo
	s_delay_alu instid0(VALU_DEP_4) | instskip(NEXT) | instid1(VALU_DEP_4)
	v_add_co_u32 v4, vcc_lo, v2, v52
	v_add_co_ci_u32_e32 v5, vcc_lo, 0, v3, vcc_lo
	v_add_co_u32 v2, vcc_lo, s20, v30
	v_add_co_ci_u32_e32 v3, vcc_lo, s21, v31, vcc_lo
	;; [unrolled: 2-line block ×3, first 2 shown]
	s_delay_alu instid0(VALU_DEP_4) | instskip(NEXT) | instid1(VALU_DEP_4)
	v_add_co_u32 v8, vcc_lo, v2, v52
	v_add_co_ci_u32_e32 v9, vcc_lo, 0, v3, vcc_lo
	s_delay_alu instid0(VALU_DEP_4) | instskip(NEXT) | instid1(VALU_DEP_4)
	v_add_co_u32 v83, vcc_lo, v6, v52
	v_add_co_ci_u32_e32 v84, vcc_lo, 0, v7, vcc_lo
	buffer_gl0_inv
	s_clause 0x3
	global_load_b128 v[0:3], v[0:1], off
	global_load_b128 v[4:7], v[4:5], off
	;; [unrolled: 1-line block ×4, first 2 shown]
	v_bfi_b32 v14, 0x7fffffff, v82, v14
	v_add_nc_u32_e32 v192, 0x3000, v45
	v_add_nc_u32_e32 v212, 0x3800, v45
	s_delay_alu instid0(VALU_DEP_3) | instskip(SKIP_1) | instid1(VALU_DEP_2)
	v_dual_fmac_f32 v57, s23, v14 :: v_dual_add_nc_u32 v104, 0x800, v45
	v_max_f32_e32 v14, v73, v73
	v_add_f32_e32 v82, 0x40051340, v57
	s_delay_alu instid0(VALU_DEP_1) | instskip(SKIP_3) | instid1(VALU_DEP_1)
	v_max_f32_e32 v14, v14, v82
	ds_bpermute_b32 v75, v75, v14
	s_waitcnt lgkmcnt(0)
	v_max_f32_e32 v75, v75, v75
	v_max_f32_e32 v14, v14, v75
	ds_bpermute_b32 v75, v76, v14
	s_waitcnt lgkmcnt(0)
	v_max_f32_e32 v75, v75, v75
	s_delay_alu instid0(VALU_DEP_1) | instskip(SKIP_4) | instid1(VALU_DEP_1)
	v_max_f32_e32 v14, v14, v75
	ds_bpermute_b32 v75, v77, v14
	v_max_f32_e32 v77, v79, v79
	s_waitcnt lgkmcnt(0)
	v_max_f32_e32 v75, v75, v75
	v_max_f32_e32 v14, v14, v75
	ds_bpermute_b32 v75, v78, v14
	s_waitcnt lgkmcnt(0)
	v_max_f32_e32 v75, v75, v75
	s_delay_alu instid0(VALU_DEP_1) | instskip(SKIP_2) | instid1(VALU_DEP_1)
	v_dual_max_f32 v75, v14, v75 :: v_dual_max_f32 v14, v81, v81
	ds_bpermute_b32 v76, v80, v75
	v_max_f32_e32 v14, v77, v14
	v_dual_sub_f32 v77, v15, v14 :: v_dual_add_nc_u32 v120, 0x1000, v45
	v_sub_f32_e32 v74, v74, v14
	s_delay_alu instid0(VALU_DEP_1) | instskip(SKIP_2) | instid1(VALU_DEP_1)
	v_cmp_ngt_f32_e32 vcc_lo, 0xc2ce8ed0, v74
	s_waitcnt lgkmcnt(0)
	v_dual_max_f32 v15, v76, v76 :: v_dual_add_nc_u32 v136, 0x1800, v45
	v_dual_max_f32 v15, v75, v15 :: v_dual_add_nc_u32 v152, 0x2000, v45
	s_delay_alu instid0(VALU_DEP_1) | instskip(SKIP_1) | instid1(VALU_DEP_2)
	v_dual_mul_f32 v76, 0x3fb8aa3b, v74 :: v_dual_sub_f32 v57, v57, v15
	v_sub_f32_e32 v73, v73, v15
	v_fma_f32 v75, 0x3fb8aa3b, v74, -v76
	v_rndne_f32_e32 v79, v76
	s_delay_alu instid0(VALU_DEP_3) | instskip(NEXT) | instid1(VALU_DEP_3)
	v_mul_f32_e32 v87, 0x3fb8aa3b, v73
	v_fmac_f32_e32 v75, 0x32a5705f, v74
	s_delay_alu instid0(VALU_DEP_2) | instskip(NEXT) | instid1(VALU_DEP_4)
	v_fma_f32 v89, 0x3fb8aa3b, v73, -v87
	v_sub_f32_e32 v76, v76, v79
	v_cvt_i32_f32_e32 v79, v79
	v_rndne_f32_e32 v90, v87
	s_delay_alu instid0(VALU_DEP_4) | instskip(NEXT) | instid1(VALU_DEP_4)
	v_fmac_f32_e32 v89, 0x32a5705f, v73
	v_dual_mul_f32 v78, 0x3fb8aa3b, v77 :: v_dual_add_f32 v75, v76, v75
	s_delay_alu instid0(VALU_DEP_1) | instskip(SKIP_1) | instid1(VALU_DEP_3)
	v_fma_f32 v80, 0x3fb8aa3b, v77, -v78
	v_rndne_f32_e32 v81, v78
	v_exp_f32_e32 v75, v75
	s_delay_alu instid0(VALU_DEP_2) | instskip(NEXT) | instid1(VALU_DEP_2)
	v_fmac_f32_e32 v80, 0x32a5705f, v77
	v_sub_f32_e32 v78, v78, v81
	v_cvt_i32_f32_e32 v81, v81
	s_delay_alu instid0(VALU_DEP_2) | instskip(SKIP_4) | instid1(VALU_DEP_2)
	v_add_f32_e32 v78, v78, v80
	s_waitcnt_depctr 0xfff
	v_ldexp_f32 v75, v75, v79
	v_add_nc_u32_e32 v176, 0x2800, v45
	v_exp_f32_e32 v78, v78
	v_cndmask_b32_e32 v75, 0, v75, vcc_lo
	v_cmp_ngt_f32_e32 vcc_lo, 0xc2ce8ed0, v77
	s_waitcnt_depctr 0xfff
	v_ldexp_f32 v78, v78, v81
	v_cvt_i32_f32_e32 v81, v90
	s_delay_alu instid0(VALU_DEP_2) | instskip(SKIP_4) | instid1(VALU_DEP_3)
	v_cndmask_b32_e32 v78, 0, v78, vcc_lo
	v_cmp_nlt_f32_e32 vcc_lo, 0x42b17218, v74
	v_cndmask_b32_e32 v74, 0x7f800000, v75, vcc_lo
	v_cmp_ngt_f32_e32 vcc_lo, 0xc2ce8ed0, v57
	v_mul_f32_e32 v82, 0x3fb8aa3b, v57
	v_cvt_f16_f32_e64 v216, v74
	s_delay_alu instid0(VALU_DEP_2) | instskip(SKIP_1) | instid1(VALU_DEP_3)
	v_fma_f32 v76, 0x3fb8aa3b, v57, -v82
	v_rndne_f32_e32 v88, v82
	v_pk_mul_f16 v50, v216, v50 op_sel_hi:[0,1]
	v_pk_mul_f16 v51, v216, v51 op_sel_hi:[0,1]
	s_delay_alu instid0(VALU_DEP_4) | instskip(NEXT) | instid1(VALU_DEP_4)
	v_fmac_f32_e32 v76, 0x32a5705f, v57
	v_sub_f32_e32 v80, v82, v88
	v_sub_f32_e32 v82, v87, v90
	v_cvt_i32_f32_e32 v79, v88
	s_delay_alu instid0(VALU_DEP_3) | instskip(NEXT) | instid1(VALU_DEP_3)
	v_add_f32_e32 v76, v80, v76
	v_add_f32_e32 v80, v82, v89
	s_delay_alu instid0(VALU_DEP_2) | instskip(NEXT) | instid1(VALU_DEP_1)
	v_exp_f32_e32 v76, v76
	v_exp_f32_e32 v80, v80
	s_waitcnt_depctr 0xfff
	v_ldexp_f32 v76, v76, v79
	v_ldexp_f32 v79, v80, v81
	s_delay_alu instid0(VALU_DEP_2) | instskip(SKIP_1) | instid1(VALU_DEP_3)
	v_cndmask_b32_e32 v75, 0, v76, vcc_lo
	v_cmp_ngt_f32_e32 vcc_lo, 0xc2ce8ed0, v73
	v_cndmask_b32_e32 v76, 0, v79, vcc_lo
	v_cmp_nlt_f32_e32 vcc_lo, 0x42b17218, v77
	v_cndmask_b32_e32 v77, 0x7f800000, v78, vcc_lo
	v_cmp_nlt_f32_e32 vcc_lo, 0x42b17218, v57
	s_delay_alu instid0(VALU_DEP_2) | instskip(SKIP_4) | instid1(VALU_DEP_4)
	v_fma_f32 v41, v41, v74, v77
	v_cndmask_b32_e32 v57, 0x7f800000, v75, vcc_lo
	v_cmp_nlt_f32_e32 vcc_lo, 0x42b17218, v73
	v_cvt_f16_f32_e32 v75, v77
	v_cndmask_b32_e32 v73, 0x7f800000, v76, vcc_lo
	v_cvt_f16_f32_e32 v76, v57
	s_delay_alu instid0(VALU_DEP_2) | instskip(NEXT) | instid1(VALU_DEP_2)
	v_cvt_f16_f32_e64 v213, v73
	v_pack_b32_f16 v74, v75, v76
	v_fmac_f32_e32 v57, v72, v73
	ds_store_b32 v66, v74
	s_waitcnt vmcnt(3)
	ds_store_b128 v62, v[0:3]
	s_waitcnt vmcnt(2)
	ds_store_b128 v67, v[4:7]
	;; [unrolled: 2-line block ×4, first 2 shown]
	v_pk_mul_f16 v48, v213, v48 op_sel_hi:[0,1]
	v_pk_mul_f16 v47, v213, v47 op_sel_hi:[0,1]
	v_pk_mul_f16 v46, v213, v46 op_sel_hi:[0,1]
	s_waitcnt lgkmcnt(0)
	s_barrier
	buffer_gl0_inv
	ds_load_2addr_b64 v[0:3], v45 offset1:32
	ds_load_b128 v[4:7], v61
	ds_load_b128 v[8:11], v61 offset:16
	ds_load_b128 v[72:75], v61 offset:32
	ds_load_b128 v[76:79], v61 offset:48
	ds_load_2addr_b64 v[80:83], v45 offset0:64 offset1:96
	ds_load_2addr_b64 v[84:87], v45 offset0:128 offset1:160
	ds_load_2addr_b64 v[88:91], v45 offset0:192 offset1:224
	ds_load_2addr_b64 v[92:95], v104 offset1:32
	ds_load_2addr_b64 v[96:99], v104 offset0:64 offset1:96
	ds_load_2addr_b64 v[100:103], v104 offset0:128 offset1:160
	ds_load_2addr_b64 v[104:107], v104 offset0:192 offset1:224
	ds_load_2addr_b64 v[108:111], v120 offset1:32
	;; [unrolled: 4-line block ×5, first 2 shown]
	ds_load_b128 v[160:163], v61 offset:64
	ds_load_b128 v[164:167], v61 offset:80
	ds_load_2addr_b64 v[168:171], v176 offset0:64 offset1:96
	ds_load_2addr_b64 v[172:175], v176 offset0:128 offset1:160
	;; [unrolled: 1-line block ×3, first 2 shown]
	ds_load_2addr_b64 v[180:183], v192 offset1:32
	ds_load_2addr_b64 v[184:187], v192 offset0:64 offset1:96
	ds_load_2addr_b64 v[188:191], v192 offset0:128 offset1:160
	;; [unrolled: 1-line block ×3, first 2 shown]
	ds_load_2addr_b64 v[196:199], v212 offset1:32
	ds_load_b128 v[200:203], v61 offset:96
	ds_load_b128 v[204:207], v61 offset:112
	ds_load_2addr_b64 v[208:211], v212 offset0:64 offset1:96
	s_waitcnt lgkmcnt(36)
	v_pk_mul_f16 v217, v0, v4 op_sel_hi:[1,0]
	v_pk_mul_f16 v214, v0, v4 op_sel:[0,1]
	v_pk_mul_f16 v218, v1, v4 op_sel_hi:[1,0]
	v_pk_fma_f16 v48, v1, v4, v48 op_sel:[0,1,0]
	v_pk_fma_f16 v50, v2, v4, v50 op_sel_hi:[1,0,1]
	v_pk_fma_f16 v47, v2, v4, v47 op_sel:[0,1,0]
	v_pk_fma_f16 v51, v3, v4, v51 op_sel_hi:[1,0,1]
	;; [unrolled: 2-line block ×3, first 2 shown]
	v_pk_fma_f16 v43, v216, v43, v217 op_sel_hi:[0,1,1]
	v_pk_fma_f16 v44, v216, v44, v218 op_sel_hi:[0,1,1]
	s_waitcnt lgkmcnt(32)
	v_pk_fma_f16 v46, v81, v5, v48 op_sel:[0,1,0]
	v_pk_fma_f16 v48, v82, v5, v50 op_sel_hi:[1,0,1]
	v_pk_fma_f16 v47, v82, v5, v47 op_sel:[0,1,0]
	v_pk_fma_f16 v50, v83, v5, v51 op_sel_hi:[1,0,1]
	v_pk_fma_f16 v4, v83, v5, v4 op_sel:[0,1,0]
	v_pk_fma_f16 v43, v80, v5, v43 op_sel_hi:[1,0,1]
	v_pk_fma_f16 v42, v80, v5, v42 op_sel:[0,1,0]
	v_pk_fma_f16 v5, v81, v5, v44 op_sel_hi:[1,0,1]
	s_waitcnt lgkmcnt(31)
	v_pk_fma_f16 v44, v85, v6, v46 op_sel:[0,1,0]
	v_pk_fma_f16 v46, v86, v6, v48 op_sel_hi:[1,0,1]
	v_pk_fma_f16 v47, v86, v6, v47 op_sel:[0,1,0]
	v_pk_fma_f16 v48, v87, v6, v50 op_sel_hi:[1,0,1]
	v_pk_fma_f16 v4, v87, v6, v4 op_sel:[0,1,0]
	v_pk_fma_f16 v43, v84, v6, v43 op_sel_hi:[1,0,1]
	v_pk_fma_f16 v42, v84, v6, v42 op_sel:[0,1,0]
	;; [unrolled: 9-line block ×16, first 2 shown]
	v_pk_fma_f16 v5, v141, v160, v5 op_sel_hi:[1,0,1]
	v_pk_fma_f16 v6, v145, v161, v6 op_sel:[0,1,0]
	v_pk_fma_f16 v7, v146, v161, v7 op_sel_hi:[1,0,1]
	v_pk_fma_f16 v8, v146, v161, v8 op_sel:[0,1,0]
	;; [unrolled: 2-line block ×12, first 2 shown]
	v_pk_fma_f16 v5, v153, v163, v5 op_sel_hi:[1,0,1]
	s_waitcnt lgkmcnt(11)
	v_pk_fma_f16 v6, v157, v164, v6 op_sel:[0,1,0]
	v_pk_fma_f16 v7, v158, v164, v7 op_sel_hi:[1,0,1]
	v_pk_fma_f16 v8, v158, v164, v8 op_sel:[0,1,0]
	v_pk_fma_f16 v9, v159, v164, v9 op_sel_hi:[1,0,1]
	v_pk_fma_f16 v4, v159, v164, v4 op_sel:[0,1,0]
	v_pk_fma_f16 v10, v156, v164, v10 op_sel_hi:[1,0,1]
	v_pk_fma_f16 v11, v156, v164, v11 op_sel:[0,1,0]
	v_pk_fma_f16 v5, v157, v164, v5 op_sel_hi:[1,0,1]
	s_waitcnt lgkmcnt(10)
	v_pk_fma_f16 v6, v169, v165, v6 op_sel:[0,1,0]
	v_pk_fma_f16 v7, v170, v165, v7 op_sel_hi:[1,0,1]
	v_pk_fma_f16 v8, v170, v165, v8 op_sel:[0,1,0]
	v_pk_fma_f16 v9, v171, v165, v9 op_sel_hi:[1,0,1]
	v_pk_fma_f16 v4, v171, v165, v4 op_sel:[0,1,0]
	v_pk_fma_f16 v10, v168, v165, v10 op_sel_hi:[1,0,1]
	v_pk_fma_f16 v11, v168, v165, v11 op_sel:[0,1,0]
	;; [unrolled: 9-line block ×5, first 2 shown]
	v_pk_fma_f16 v5, v181, v200, v5 op_sel_hi:[1,0,1]
	v_pk_fma_f16 v6, v185, v201, v6 op_sel:[0,1,0]
	v_pk_fma_f16 v7, v186, v201, v7 op_sel_hi:[1,0,1]
	v_pk_fma_f16 v8, v186, v201, v8 op_sel:[0,1,0]
	;; [unrolled: 2-line block ×4, first 2 shown]
	v_pk_fma_f16 v5, v185, v201, v5 op_sel_hi:[1,0,1]
	ds_load_2addr_b64 v[0:3], v212 offset0:128 offset1:160
	v_pk_fma_f16 v6, v189, v202, v6 op_sel:[0,1,0]
	v_pk_fma_f16 v7, v190, v202, v7 op_sel_hi:[1,0,1]
	v_pk_fma_f16 v8, v190, v202, v8 op_sel:[0,1,0]
	v_pk_fma_f16 v9, v191, v202, v9 op_sel_hi:[1,0,1]
	;; [unrolled: 2-line block ×4, first 2 shown]
	ds_load_2addr_b64 v[212:215], v212 offset0:192 offset1:224
	s_waitcnt lgkmcnt(0)
	s_barrier
	buffer_gl0_inv
	s_load_b32 s20, s[2:3], 0x4
	v_pk_fma_f16 v6, v193, v203, v6 op_sel:[0,1,0]
	v_pk_fma_f16 v7, v194, v203, v7 op_sel_hi:[1,0,1]
	v_pk_fma_f16 v8, v194, v203, v8 op_sel:[0,1,0]
	v_pk_fma_f16 v9, v195, v203, v9 op_sel_hi:[1,0,1]
	;; [unrolled: 2-line block ×16, first 2 shown]
	s_waitcnt lgkmcnt(0)
	s_lshl_b32 s20, s20, 5
	v_pk_fma_f16 v48, v213, v207, v6 op_sel:[0,1,0]
	v_pk_fma_f16 v50, v214, v207, v7 op_sel_hi:[1,0,1]
	v_pk_fma_f16 v47, v214, v207, v2 op_sel:[0,1,0]
	v_pk_fma_f16 v51, v215, v207, v8 op_sel_hi:[1,0,1]
	v_pk_fma_f16 v46, v215, v207, v3 op_sel:[0,1,0]
	v_pk_fma_f16 v43, v212, v207, v4 op_sel_hi:[1,0,1]
	v_pk_fma_f16 v42, v212, v207, v0 op_sel:[0,1,0]
	v_pk_fma_f16 v44, v213, v207, v1 op_sel_hi:[1,0,1]
	s_add_i32 s7, s20, s7
	s_delay_alu instid0(SALU_CYCLE_1)
	s_cmp_lt_i32 s7, s6
	s_cbranch_scc0 .LBB71_25
; %bb.23:                               ;   in Loop: Header=BB71_8 Depth=1
	v_dual_mov_b32 v74, v14 :: v_dual_mov_b32 v73, v15
	v_mov_b32_e32 v72, v57
	s_branch .LBB71_8
.LBB71_24:
	v_dual_mov_b32 v41, 0 :: v_dual_mov_b32 v44, 0
	v_dual_mov_b32 v50, 0 :: v_dual_mov_b32 v51, 0
	;; [unrolled: 1-line block ×3, first 2 shown]
	v_mov_b32_e32 v48, 0
	v_mov_b32_e32 v46, 0
.LBB71_25:
	s_cmp_gt_i32 s42, s7
	s_cbranch_scc1 .LBB71_27
; %bb.26:
	v_mbcnt_lo_u32_b32 v0, -1, 0
	v_mov_b32_e32 v9, 32
	s_delay_alu instid0(VALU_DEP_2)
	v_xor_b32_e32 v7, 16, v0
	v_xor_b32_e32 v2, 8, v0
	;; [unrolled: 1-line block ×5, first 2 shown]
	s_cbranch_execz .LBB71_28
	s_branch .LBB71_47
.LBB71_27:
                                        ; implicit-def: $vgpr0
                                        ; implicit-def: $vgpr9
                                        ; implicit-def: $vgpr7
                                        ; implicit-def: $vgpr2
                                        ; implicit-def: $vgpr8
                                        ; implicit-def: $vgpr10
                                        ; implicit-def: $vgpr11
.LBB71_28:
	s_mul_hi_i32 s3, s7, s26
	s_mul_i32 s2, s7, s26
	v_lshlrev_b64 v[0:1], 2, v[16:17]
	s_lshl_b64 s[2:3], s[2:3], 2
	s_sub_i32 s18, s42, s7
	s_add_u32 s19, s4, s2
	s_addc_u32 s27, s5, s3
	s_mov_b32 s4, 0
	v_add_co_u32 v0, vcc_lo, s19, v0
	v_add_co_ci_u32_e32 v1, vcc_lo, s27, v1, vcc_lo
	v_cmp_gt_i32_e64 s2, s18, v49
	s_delay_alu instid0(VALU_DEP_3) | instskip(NEXT) | instid1(VALU_DEP_3)
	v_add_co_u32 v3, vcc_lo, v0, v52
	v_add_co_ci_u32_e32 v1, vcc_lo, 0, v1, vcc_lo
	s_mov_b32 s6, s4
	s_mov_b64 s[20:21], src_private_base
	s_mov_b32 s5, s4
	v_dual_mov_b32 v0, 0 :: v_dual_mov_b32 v19, s6
	v_dual_mov_b32 v18, s5 :: v_dual_mov_b32 v17, s4
	v_cndmask_b32_e64 v2, s21, v1, s2
	v_cndmask_b32_e64 v1, 0, v3, s2
	s_clause 0x1
	scratch_store_b32 off, v0, off
	scratch_store_b96 off, v[17:19], off offset:4
	s_lshl_b32 s5, s26, 3
	v_add_nc_u32_e32 v5, 8, v49
	flat_load_b128 v[1:4], v[1:2]
	v_add_nc_u32_e32 v6, s5, v16
	v_mad_u32_u24 v11, 0x210, v49, v52
	s_clause 0x1
	scratch_store_b32 off, v0, off
	scratch_store_b96 off, v[17:19], off offset:4
	v_cmp_gt_i32_e64 s3, s18, v5
	v_ashrrev_i32_e32 v7, 31, v6
	v_add_nc_u32_e32 v20, s5, v6
	s_delay_alu instid0(VALU_DEP_2) | instskip(NEXT) | instid1(VALU_DEP_2)
	v_lshlrev_b64 v[7:8], 2, v[6:7]
	v_ashrrev_i32_e32 v21, 31, v20
	s_delay_alu instid0(VALU_DEP_2) | instskip(NEXT) | instid1(VALU_DEP_3)
	v_add_co_u32 v7, vcc_lo, s19, v7
	v_add_co_ci_u32_e32 v8, vcc_lo, s27, v8, vcc_lo
	s_delay_alu instid0(VALU_DEP_2) | instskip(NEXT) | instid1(VALU_DEP_2)
	v_add_co_u32 v7, vcc_lo, v7, v52
	v_add_co_ci_u32_e32 v8, vcc_lo, 0, v8, vcc_lo
	s_delay_alu instid0(VALU_DEP_2) | instskip(NEXT) | instid1(VALU_DEP_2)
	v_cndmask_b32_e64 v7, 0, v7, s3
	v_cndmask_b32_e64 v8, s21, v8, s3
	s_waitcnt vmcnt(0) lgkmcnt(0)
	ds_store_b128 v11, v[1:4]
	flat_load_b128 v[1:4], v[7:8]
	v_lshlrev_b64 v[6:7], 2, v[20:21]
	s_clause 0x1
	scratch_store_b32 off, v0, off
	scratch_store_b96 off, v[17:19], off offset:4
	v_add_co_u32 v8, vcc_lo, s19, v6
	v_add_co_ci_u32_e32 v7, vcc_lo, s27, v7, vcc_lo
	v_add_nc_u32_e32 v6, 16, v49
	s_delay_alu instid0(VALU_DEP_3) | instskip(NEXT) | instid1(VALU_DEP_3)
	v_add_co_u32 v9, vcc_lo, v8, v52
	v_add_co_ci_u32_e32 v7, vcc_lo, 0, v7, vcc_lo
	s_delay_alu instid0(VALU_DEP_3) | instskip(NEXT) | instid1(VALU_DEP_1)
	v_cmp_gt_i32_e64 s4, s18, v6
	v_cndmask_b32_e64 v8, s21, v7, s4
	s_delay_alu instid0(VALU_DEP_4)
	v_cndmask_b32_e64 v7, 0, v9, s4
	s_waitcnt vmcnt(0) lgkmcnt(0)
	ds_store_b128 v11, v[1:4] offset:4224
	flat_load_b128 v[7:10], v[7:8]
	v_add_nc_u32_e32 v1, s5, v20
	v_add_nc_u32_e32 v4, 24, v49
	s_clause 0x1
	scratch_store_b32 off, v0, off
	scratch_store_b96 off, v[17:19], off offset:4
	v_ashrrev_i32_e32 v2, 31, v1
	v_cmp_gt_i32_e64 s5, s18, v4
	s_delay_alu instid0(VALU_DEP_2) | instskip(NEXT) | instid1(VALU_DEP_1)
	v_lshlrev_b64 v[1:2], 2, v[1:2]
	v_add_co_u32 v1, vcc_lo, s19, v1
	s_delay_alu instid0(VALU_DEP_2) | instskip(NEXT) | instid1(VALU_DEP_2)
	v_add_co_ci_u32_e32 v2, vcc_lo, s27, v2, vcc_lo
	v_add_co_u32 v1, vcc_lo, v1, v52
	s_delay_alu instid0(VALU_DEP_2) | instskip(NEXT) | instid1(VALU_DEP_2)
	v_add_co_ci_u32_e32 v2, vcc_lo, 0, v2, vcc_lo
	v_cndmask_b32_e64 v1, 0, v1, s5
	s_delay_alu instid0(VALU_DEP_2)
	v_cndmask_b32_e64 v2, s21, v2, s5
	s_waitcnt vmcnt(0) lgkmcnt(0)
	ds_store_b128 v11, v[7:10] offset:8448
	flat_load_b128 v[7:10], v[1:2]
	v_dual_mov_b32 v1, 0 :: v_dual_lshlrev_b32 v2, 10, v49
	s_waitcnt vmcnt(0) lgkmcnt(0)
	ds_store_b128 v11, v[7:10] offset:12672
	s_waitcnt lgkmcnt(0)
	s_waitcnt_vscnt null, 0x0
	s_barrier
	buffer_gl0_inv
	ds_load_b128 v[7:10], v56
	ds_load_b128 v[16:19], v2 offset:16896
	ds_load_b128 v[20:23], v2 offset:17408
	s_waitcnt lgkmcnt(1)
	;;#ASMSTART
	v_dot2_f32_f16 v1, v7, v16, v1
	;;#ASMEND
	;;#ASMSTART
	v_dot2_f32_f16 v1, v8, v17, v1
	;;#ASMEND
	;;#ASMSTART
	v_dot2_f32_f16 v1, v9, v18, v1
	;;#ASMEND
	;;#ASMSTART
	v_dot2_f32_f16 v1, v10, v19, v1
	;;#ASMEND
	s_waitcnt lgkmcnt(0)
	;;#ASMSTART
	v_dot2_f32_f16 v0, v7, v20, v0
	;;#ASMEND
	;;#ASMSTART
	v_dot2_f32_f16 v0, v8, v21, v0
	;;#ASMEND
	;;#ASMSTART
	v_dot2_f32_f16 v0, v9, v22, v0
	;;#ASMEND
	;;#ASMSTART
	v_dot2_f32_f16 v0, v10, v23, v0
	;;#ASMEND
	ds_load_b128 v[7:10], v56 offset:16
	ds_load_b128 v[16:19], v2 offset:16912
	ds_load_b128 v[20:23], v2 offset:17424
	s_waitcnt lgkmcnt(1)
	;;#ASMSTART
	v_dot2_f32_f16 v1, v7, v16, v1
	;;#ASMEND
	;;#ASMSTART
	v_dot2_f32_f16 v1, v8, v17, v1
	;;#ASMEND
	;;#ASMSTART
	v_dot2_f32_f16 v1, v9, v18, v1
	;;#ASMEND
	;;#ASMSTART
	v_dot2_f32_f16 v1, v10, v19, v1
	;;#ASMEND
	s_waitcnt lgkmcnt(0)
	;;#ASMSTART
	v_dot2_f32_f16 v0, v7, v20, v0
	;;#ASMEND
	;;#ASMSTART
	v_dot2_f32_f16 v0, v8, v21, v0
	;;#ASMEND
	;;#ASMSTART
	v_dot2_f32_f16 v0, v9, v22, v0
	;;#ASMEND
	;;#ASMSTART
	v_dot2_f32_f16 v0, v10, v23, v0
	;;#ASMEND
	ds_load_b128 v[7:10], v56 offset:32
	;; [unrolled: 29-line block ×31, first 2 shown]
	ds_load_b128 v[16:19], v2 offset:17392
	ds_load_b128 v[20:23], v2 offset:17904
	s_waitcnt lgkmcnt(1)
	;;#ASMSTART
	v_dot2_f32_f16 v1, v7, v16, v1
	;;#ASMEND
	;;#ASMSTART
	v_dot2_f32_f16 v1, v8, v17, v1
	;;#ASMEND
	;; [unrolled: 3-line block ×4, first 2 shown]
	v_cmp_ngt_f32_e64 s6, 0x3f200000, |v1|
	s_waitcnt lgkmcnt(0)
	;;#ASMSTART
	v_dot2_f32_f16 v0, v7, v20, v0
	;;#ASMEND
	;;#ASMSTART
	v_dot2_f32_f16 v0, v8, v21, v0
	;;#ASMEND
	;; [unrolled: 3-line block ×4, first 2 shown]
                                        ; implicit-def: $vgpr2
	s_and_saveexec_b32 s19, s6
	s_delay_alu instid0(SALU_CYCLE_1)
	s_xor_b32 s6, exec_lo, s19
	s_cbranch_execz .LBB71_30
; %bb.29:
	v_add_f32_e64 v2, |v1|, |v1|
	s_delay_alu instid0(VALU_DEP_1) | instskip(SKIP_1) | instid1(VALU_DEP_2)
	v_mul_f32_e32 v3, 0x3fb8aa3b, v2
	v_cmp_ngt_f32_e32 vcc_lo, 0xc2ce8ed0, v2
	v_rndne_f32_e32 v7, v3
	v_fma_f32 v8, 0x3fb8aa3b, v2, -v3
	s_delay_alu instid0(VALU_DEP_1) | instskip(SKIP_1) | instid1(VALU_DEP_2)
	v_dual_sub_f32 v3, v3, v7 :: v_dual_fmamk_f32 v8, v2, 0x32a5705f, v8
	v_cvt_i32_f32_e32 v7, v7
	v_add_f32_e32 v3, v3, v8
	s_delay_alu instid0(VALU_DEP_1) | instskip(SKIP_2) | instid1(VALU_DEP_1)
	v_exp_f32_e32 v3, v3
	s_waitcnt_depctr 0xfff
	v_ldexp_f32 v3, v3, v7
	v_cndmask_b32_e32 v3, 0, v3, vcc_lo
	v_cmp_nlt_f32_e32 vcc_lo, 0x42b17218, v2
	s_delay_alu instid0(VALU_DEP_2) | instskip(NEXT) | instid1(VALU_DEP_1)
	v_cndmask_b32_e32 v2, 0x7f800000, v3, vcc_lo
	v_add_f32_e32 v2, 1.0, v2
	s_delay_alu instid0(VALU_DEP_1)
	v_rcp_f32_e32 v2, v2
	s_waitcnt_depctr 0xfff
	v_fma_f32 v2, v2, -2.0, 1.0
.LBB71_30:
	s_and_not1_saveexec_b32 s6, s6
; %bb.31:
	v_mul_f32_e32 v2, v1, v1
	s_mov_b32 s19, 0xbbbac73d
	s_delay_alu instid0(VALU_DEP_1) | instid1(SALU_CYCLE_1)
	v_fmaak_f32 v3, s19, v2, 0x3ca908c9
	s_delay_alu instid0(VALU_DEP_1) | instskip(NEXT) | instid1(VALU_DEP_1)
	v_fmaak_f32 v3, v2, v3, 0xbd5c1c4e
	v_fmaak_f32 v3, v2, v3, 0x3e088382
	s_delay_alu instid0(VALU_DEP_1) | instskip(NEXT) | instid1(VALU_DEP_1)
	v_fmaak_f32 v3, v2, v3, 0xbeaaaa99
	v_mul_f32_e64 v3, |v1|, v3
	s_delay_alu instid0(VALU_DEP_1)
	v_fma_f32 v2, v2, v3, |v1|
; %bb.32:
	s_or_b32 exec_lo, exec_lo, s6
	s_delay_alu instid0(VALU_DEP_1) | instskip(SKIP_3) | instid1(VALU_DEP_2)
	v_bfi_b32 v2, 0x7fffffff, v2, v1
	s_cmp_lg_u64 s[40:41], 0
	v_cmp_gt_i32_e64 s6, s18, v39
	s_cselect_b32 s20, -1, 0
	v_dual_mul_f32 v16, s23, v2 :: v_dual_add_nc_u32 v1, s7, v39
	v_cndmask_b32_e64 v17, 0, 1, s20
	v_dual_mov_b32 v2, v14 :: v_dual_mov_b32 v3, v15
	v_mov_b32_e32 v8, v14
	s_and_saveexec_b32 s19, s6
	s_cbranch_execz .LBB71_37
; %bb.33:
	s_and_not1_b32 vcc_lo, exec_lo, s20
	s_cbranch_vccnz .LBB71_35
; %bb.34:
	v_mad_u64_u32 v[2:3], null, v55, s22, v[1:2]
	s_delay_alu instid0(VALU_DEP_1) | instskip(NEXT) | instid1(VALU_DEP_1)
	v_ashrrev_i32_e32 v3, 31, v2
	v_lshlrev_b64 v[2:3], 1, v[2:3]
	s_delay_alu instid0(VALU_DEP_1) | instskip(NEXT) | instid1(VALU_DEP_2)
	v_add_co_u32 v2, vcc_lo, s40, v2
	v_add_co_ci_u32_e32 v3, vcc_lo, s41, v3, vcc_lo
	flat_load_u16 v2, v[2:3]
	s_waitcnt vmcnt(0) lgkmcnt(0)
	v_cvt_f32_f16_e32 v2, v2
	s_delay_alu instid0(VALU_DEP_1)
	v_mul_f32_e32 v2, v54, v2
	s_branch .LBB71_36
.LBB71_35:
	v_mov_b32_e32 v2, 0
.LBB71_36:
	s_delay_alu instid0(VALU_DEP_1) | instskip(NEXT) | instid1(VALU_DEP_1)
	v_add_f32_e32 v16, v16, v2
	v_dual_max_f32 v2, v14, v14 :: v_dual_add_f32 v3, 0x40051340, v16
	s_delay_alu instid0(VALU_DEP_1)
	v_max_f32_e32 v8, v2, v3
	v_dual_mov_b32 v2, v14 :: v_dual_mov_b32 v3, v15
.LBB71_37:
	s_or_b32 exec_lo, exec_lo, s19
	v_xor_b32_e32 v7, 16, v40
	v_cmp_ngt_f32_e64 s19, 0x3f200000, |v0|
                                        ; implicit-def: $vgpr25
	s_delay_alu instid0(VALU_DEP_2) | instskip(SKIP_1) | instid1(VALU_DEP_1)
	v_cmp_gt_i32_e32 vcc_lo, 32, v7
	v_cndmask_b32_e32 v2, v40, v7, vcc_lo
	v_lshlrev_b32_e32 v18, 2, v2
	v_xor_b32_e32 v2, 8, v40
	ds_bpermute_b32 v9, v18, v8
	v_cmp_gt_i32_e32 vcc_lo, 32, v2
	v_cndmask_b32_e32 v10, v40, v2, vcc_lo
	s_delay_alu instid0(VALU_DEP_1) | instskip(SKIP_2) | instid1(VALU_DEP_1)
	v_dual_max_f32 v8, v8, v8 :: v_dual_lshlrev_b32 v19, 2, v10
	s_waitcnt lgkmcnt(0)
	v_max_f32_e32 v9, v9, v9
	v_max_f32_e32 v9, v8, v9
	v_xor_b32_e32 v8, 4, v40
	ds_bpermute_b32 v10, v19, v9
	v_cmp_gt_i32_e32 vcc_lo, 32, v8
	s_waitcnt lgkmcnt(0)
	v_dual_cndmask_b32 v11, v40, v8 :: v_dual_max_f32 v10, v10, v10
	s_delay_alu instid0(VALU_DEP_1) | instskip(SKIP_4) | instid1(VALU_DEP_1)
	v_dual_max_f32 v9, v9, v10 :: v_dual_lshlrev_b32 v20, 2, v11
	v_xor_b32_e32 v10, 2, v40
	ds_bpermute_b32 v11, v20, v9
	v_cmp_gt_i32_e32 vcc_lo, 32, v10
	v_cndmask_b32_e32 v21, v40, v10, vcc_lo
	v_lshlrev_b32_e32 v21, 2, v21
	s_waitcnt lgkmcnt(0)
	v_max_f32_e32 v11, v11, v11
	s_delay_alu instid0(VALU_DEP_1)
	v_max_f32_e32 v9, v9, v11
	v_xor_b32_e32 v11, 1, v40
	ds_bpermute_b32 v22, v21, v9
	v_cmp_gt_i32_e32 vcc_lo, 32, v11
	s_waitcnt lgkmcnt(0)
	v_dual_max_f32 v22, v22, v22 :: v_dual_cndmask_b32 v23, v40, v11
	s_delay_alu instid0(VALU_DEP_1) | instskip(SKIP_3) | instid1(SALU_CYCLE_1)
	v_dual_max_f32 v22, v9, v22 :: v_dual_lshlrev_b32 v23, 2, v23
	v_mov_b32_e32 v9, 32
	ds_bpermute_b32 v24, v23, v22
	s_and_saveexec_b32 s20, s19
	s_xor_b32 s19, exec_lo, s20
	s_cbranch_execz .LBB71_39
; %bb.38:
	v_add_f32_e64 v25, |v0|, |v0|
	s_delay_alu instid0(VALU_DEP_1) | instskip(SKIP_1) | instid1(VALU_DEP_2)
	v_mul_f32_e32 v26, 0x3fb8aa3b, v25
	v_cmp_ngt_f32_e32 vcc_lo, 0xc2ce8ed0, v25
	v_rndne_f32_e32 v27, v26
	v_fma_f32 v28, 0x3fb8aa3b, v25, -v26
	s_delay_alu instid0(VALU_DEP_2) | instskip(NEXT) | instid1(VALU_DEP_2)
	v_sub_f32_e32 v26, v26, v27
	v_fmamk_f32 v28, v25, 0x32a5705f, v28
	v_cvt_i32_f32_e32 v27, v27
	s_delay_alu instid0(VALU_DEP_2) | instskip(NEXT) | instid1(VALU_DEP_1)
	v_add_f32_e32 v26, v26, v28
	v_exp_f32_e32 v26, v26
	s_waitcnt_depctr 0xfff
	v_ldexp_f32 v26, v26, v27
	s_delay_alu instid0(VALU_DEP_1) | instskip(SKIP_1) | instid1(VALU_DEP_2)
	v_cndmask_b32_e32 v26, 0, v26, vcc_lo
	v_cmp_nlt_f32_e32 vcc_lo, 0x42b17218, v25
	v_cndmask_b32_e32 v25, 0x7f800000, v26, vcc_lo
	s_delay_alu instid0(VALU_DEP_1) | instskip(NEXT) | instid1(VALU_DEP_1)
	v_add_f32_e32 v25, 1.0, v25
	v_rcp_f32_e32 v25, v25
	s_waitcnt_depctr 0xfff
	v_fma_f32 v25, v25, -2.0, 1.0
.LBB71_39:
	s_and_not1_saveexec_b32 s19, s19
; %bb.40:
	v_mul_f32_e32 v25, v0, v0
	s_mov_b32 s20, 0xbbbac73d
	s_delay_alu instid0(VALU_DEP_1) | instid1(SALU_CYCLE_1)
	v_fmaak_f32 v26, s20, v25, 0x3ca908c9
	s_delay_alu instid0(VALU_DEP_1) | instskip(NEXT) | instid1(VALU_DEP_1)
	v_fmaak_f32 v26, v25, v26, 0xbd5c1c4e
	v_fmaak_f32 v26, v25, v26, 0x3e088382
	s_delay_alu instid0(VALU_DEP_1) | instskip(NEXT) | instid1(VALU_DEP_1)
	v_fmaak_f32 v26, v25, v26, 0xbeaaaa99
	v_mul_f32_e64 v26, |v0|, v26
	s_delay_alu instid0(VALU_DEP_1)
	v_fma_f32 v25, v25, v26, |v0|
; %bb.41:
	s_or_b32 exec_lo, exec_lo, s19
	s_waitcnt lgkmcnt(0)
	v_max_f32_e32 v24, v24, v24
	v_max_f32_e32 v22, v22, v22
	v_bfi_b32 v25, 0x7fffffff, v25, v0
	s_delay_alu instid0(VALU_DEP_2) | instskip(NEXT) | instid1(VALU_DEP_2)
	v_max_f32_e32 v0, v22, v24
	v_mul_f32_e32 v22, s23, v25
	s_and_saveexec_b32 s19, s6
	s_cbranch_execz .LBB71_46
; %bb.42:
	v_cmp_ne_u32_e32 vcc_lo, 1, v17
	s_cbranch_vccnz .LBB71_44
; %bb.43:
	v_or_b32_e32 v17, 1, v38
	s_delay_alu instid0(VALU_DEP_1) | instskip(NEXT) | instid1(VALU_DEP_1)
	v_mul_hi_u32 v24, s8, v17
	v_add_nc_u32_e32 v24, v17, v24
	s_delay_alu instid0(VALU_DEP_1) | instskip(NEXT) | instid1(VALU_DEP_1)
	v_lshrrev_b32_e32 v24, s9, v24
	v_mul_lo_u32 v24, v24, s10
	s_delay_alu instid0(VALU_DEP_1) | instskip(NEXT) | instid1(VALU_DEP_1)
	v_sub_nc_u32_e32 v17, v17, v24
	v_mad_u64_u32 v[24:25], null, v17, s22, v[1:2]
	s_delay_alu instid0(VALU_DEP_1) | instskip(NEXT) | instid1(VALU_DEP_1)
	v_ashrrev_i32_e32 v25, 31, v24
	v_lshlrev_b64 v[24:25], 1, v[24:25]
	s_delay_alu instid0(VALU_DEP_1) | instskip(NEXT) | instid1(VALU_DEP_2)
	v_add_co_u32 v24, vcc_lo, s40, v24
	v_add_co_ci_u32_e32 v25, vcc_lo, s41, v25, vcc_lo
	flat_load_u16 v1, v[24:25]
	s_waitcnt vmcnt(0) lgkmcnt(0)
	v_cvt_f32_f16_e32 v1, v1
	s_delay_alu instid0(VALU_DEP_1)
	v_mul_f32_e32 v1, v54, v1
	s_branch .LBB71_45
.LBB71_44:
	v_mov_b32_e32 v1, 0
.LBB71_45:
	s_delay_alu instid0(VALU_DEP_1) | instskip(NEXT) | instid1(VALU_DEP_1)
	v_dual_add_f32 v22, v22, v1 :: v_dual_max_f32 v3, v3, v3
	v_add_f32_e32 v1, 0x40051340, v22
	s_delay_alu instid0(VALU_DEP_1)
	v_max_f32_e32 v3, v3, v1
.LBB71_46:
	s_or_b32 exec_lo, exec_lo, s19
	ds_bpermute_b32 v1, v18, v3
	v_dual_max_f32 v3, v3, v3 :: v_dual_sub_f32 v18, v16, v0
	s_mov_b32 s20, 0
	s_mul_hi_i32 s9, s7, s13
	s_mov_b32 s21, s20
	s_mov_b32 s22, s20
	v_cmp_ngt_f32_e32 vcc_lo, 0xc2ce8ed0, v18
	s_mul_i32 s8, s7, s13
	s_mov_b64 s[6:7], src_private_base
	s_lshl_b64 s[8:9], s[8:9], 2
	v_dual_mov_b32 v25, 0 :: v_dual_add_nc_u32 v32, 0x800, v45
	s_add_u32 s6, s16, s8
	s_addc_u32 s8, s17, s9
	s_waitcnt lgkmcnt(0)
	s_barrier
	buffer_gl0_inv
	v_lshl_add_u32 v28, v49, 9, v52
	v_lshl_add_u32 v5, v5, 9, v52
	v_max_f32_e32 v1, v1, v1
	v_lshl_add_u32 v4, v4, 9, v52
	v_add_nc_u32_e32 v33, 0x1000, v45
	v_add_nc_u32_e32 v55, 0x2800, v45
	;; [unrolled: 1-line block ×3, first 2 shown]
	v_max_f32_e32 v1, v3, v1
	v_add_nc_u32_e32 v186, 0x3800, v45
	ds_bpermute_b32 v3, v19, v1
	s_waitcnt lgkmcnt(0)
	v_max_f32_e32 v3, v3, v3
	s_delay_alu instid0(VALU_DEP_1) | instskip(SKIP_3) | instid1(VALU_DEP_1)
	v_max_f32_e32 v1, v1, v3
	ds_bpermute_b32 v3, v20, v1
	s_waitcnt lgkmcnt(0)
	v_max_f32_e32 v3, v3, v3
	v_max_f32_e32 v1, v1, v3
	ds_bpermute_b32 v3, v21, v1
	s_waitcnt lgkmcnt(0)
	v_max_f32_e32 v3, v3, v3
	s_delay_alu instid0(VALU_DEP_1) | instskip(SKIP_4) | instid1(VALU_DEP_1)
	v_max_f32_e32 v1, v1, v3
	ds_bpermute_b32 v3, v23, v1
	v_lshlrev_b32_e32 v23, 1, v53
	s_waitcnt lgkmcnt(0)
	v_max_f32_e32 v3, v3, v3
	v_max_f32_e32 v1, v1, v3
	v_mul_f32_e32 v3, 0x3fb8aa3b, v18
	s_delay_alu instid0(VALU_DEP_2) | instskip(NEXT) | instid1(VALU_DEP_2)
	v_sub_f32_e32 v19, v22, v1
	v_fma_f32 v17, 0x3fb8aa3b, v18, -v3
	v_rndne_f32_e32 v20, v3
	s_delay_alu instid0(VALU_DEP_3) | instskip(NEXT) | instid1(VALU_DEP_3)
	v_mul_f32_e32 v16, 0x3fb8aa3b, v19
	v_fmac_f32_e32 v17, 0x32a5705f, v18
	s_delay_alu instid0(VALU_DEP_3) | instskip(SKIP_1) | instid1(VALU_DEP_4)
	v_sub_f32_e32 v3, v3, v20
	v_cvt_i32_f32_e32 v20, v20
	v_fma_f32 v21, 0x3fb8aa3b, v19, -v16
	v_rndne_f32_e32 v22, v16
	s_delay_alu instid0(VALU_DEP_4) | instskip(SKIP_1) | instid1(VALU_DEP_3)
	v_add_f32_e32 v17, v3, v17
	v_lshlrev_b32_e32 v3, 7, v49
	v_dual_fmac_f32 v21, 0x32a5705f, v19 :: v_dual_sub_f32 v16, v16, v22
	v_cvt_i32_f32_e32 v22, v22
	s_delay_alu instid0(VALU_DEP_3) | instskip(NEXT) | instid1(VALU_DEP_3)
	v_add3_u32 v23, 0x6200, v3, v23
	v_add_f32_e32 v16, v16, v21
	v_exp_f32_e32 v21, v17
	s_delay_alu instid0(VALU_DEP_1) | instskip(SKIP_4) | instid1(VALU_DEP_2)
	v_exp_f32_e32 v24, v16
	v_lshlrev_b64 v[16:17], 2, v[12:13]
	s_waitcnt_depctr 0xfff
	v_ldexp_f32 v13, v21, v20
	v_ldexp_f32 v20, v24, v22
	v_cndmask_b32_e32 v13, 0, v13, vcc_lo
	v_cmp_ngt_f32_e32 vcc_lo, 0xc2ce8ed0, v19
	s_delay_alu instid0(VALU_DEP_3) | instskip(SKIP_1) | instid1(VALU_DEP_4)
	v_cndmask_b32_e32 v20, 0, v20, vcc_lo
	v_cmp_nlt_f32_e32 vcc_lo, 0x42b17218, v18
	v_cndmask_b32_e32 v13, 0x7f800000, v13, vcc_lo
	v_cmp_nlt_f32_e32 vcc_lo, 0x42b17218, v19
	s_delay_alu instid0(VALU_DEP_4)
	v_cndmask_b32_e32 v18, 0x7f800000, v20, vcc_lo
	v_cmp_gt_u32_e32 vcc_lo, s18, v39
	v_dual_mov_b32 v20, s20 :: v_dual_mov_b32 v21, s21
	v_mov_b32_e32 v22, s22
	s_clause 0x1
	scratch_store_b32 off, v25, off
	scratch_store_b96 off, v[20:22], off offset:4
	v_dual_cndmask_b32 v26, 0, v13 :: v_dual_cndmask_b32 v27, 0, v18
	v_add_co_u32 v13, vcc_lo, s6, v16
	v_add_co_ci_u32_e32 v16, vcc_lo, s8, v17, vcc_lo
	s_delay_alu instid0(VALU_DEP_3) | instskip(NEXT) | instid1(VALU_DEP_3)
	v_cvt_f16_f32_e32 v17, v26
	v_add_co_u32 v13, vcc_lo, v13, v52
	v_cvt_f16_f32_e32 v18, v27
	s_delay_alu instid0(VALU_DEP_4) | instskip(NEXT) | instid1(VALU_DEP_3)
	v_add_co_ci_u32_e32 v19, vcc_lo, 0, v16, vcc_lo
	v_cndmask_b32_e64 v16, 0, v13, s2
	s_delay_alu instid0(VALU_DEP_3) | instskip(NEXT) | instid1(VALU_DEP_3)
	v_pack_b32_f16 v13, v17, v18
	v_cndmask_b32_e64 v17, s7, v19, s2
	s_lshl_b32 s2, s13, 3
	s_delay_alu instid0(SALU_CYCLE_1)
	v_add_nc_u32_e32 v12, s2, v12
	ds_store_b32 v23, v13
	flat_load_b128 v[16:19], v[16:17]
	s_clause 0x1
	scratch_store_b32 off, v25, off
	scratch_store_b96 off, v[20:22], off offset:4
	v_ashrrev_i32_e32 v13, 31, v12
	s_delay_alu instid0(VALU_DEP_1) | instskip(SKIP_1) | instid1(VALU_DEP_2)
	v_lshlrev_b64 v[23:24], 2, v[12:13]
	v_add_nc_u32_e32 v12, s2, v12
	v_add_co_u32 v13, vcc_lo, s6, v23
	s_delay_alu instid0(VALU_DEP_3) | instskip(NEXT) | instid1(VALU_DEP_2)
	v_add_co_ci_u32_e32 v23, vcc_lo, s8, v24, vcc_lo
	v_add_co_u32 v13, vcc_lo, v13, v52
	s_delay_alu instid0(VALU_DEP_2) | instskip(NEXT) | instid1(VALU_DEP_1)
	v_add_co_ci_u32_e32 v23, vcc_lo, 0, v23, vcc_lo
	v_cndmask_b32_e64 v24, s7, v23, s3
	s_delay_alu instid0(VALU_DEP_3)
	v_cndmask_b32_e64 v23, 0, v13, s3
	v_ashrrev_i32_e32 v13, 31, v12
	s_waitcnt vmcnt(0) lgkmcnt(0)
	ds_store_b128 v28, v[16:19]
	flat_load_b128 v[16:19], v[23:24]
	v_lshlrev_b64 v[23:24], 2, v[12:13]
	s_clause 0x1
	scratch_store_b32 off, v25, off
	scratch_store_b96 off, v[20:22], off offset:4
	v_add_nc_u32_e32 v12, s2, v12
	v_add_co_u32 v13, vcc_lo, s6, v23
	v_add_co_ci_u32_e32 v23, vcc_lo, s8, v24, vcc_lo
	s_delay_alu instid0(VALU_DEP_2) | instskip(NEXT) | instid1(VALU_DEP_2)
	v_add_co_u32 v13, vcc_lo, v13, v52
	v_add_co_ci_u32_e32 v23, vcc_lo, 0, v23, vcc_lo
	s_delay_alu instid0(VALU_DEP_1) | instskip(NEXT) | instid1(VALU_DEP_3)
	v_cndmask_b32_e64 v24, s7, v23, s4
	v_cndmask_b32_e64 v23, 0, v13, s4
	v_ashrrev_i32_e32 v13, 31, v12
	s_delay_alu instid0(VALU_DEP_1)
	v_lshlrev_b64 v[12:13], 2, v[12:13]
	s_waitcnt vmcnt(0) lgkmcnt(0)
	ds_store_b128 v5, v[16:19]
	flat_load_b128 v[16:19], v[23:24]
	v_add_co_u32 v5, vcc_lo, s6, v12
	v_add_co_ci_u32_e32 v12, vcc_lo, s8, v13, vcc_lo
	v_lshl_add_u32 v13, v6, 9, v52
	s_delay_alu instid0(VALU_DEP_3) | instskip(NEXT) | instid1(VALU_DEP_3)
	v_add_co_u32 v5, vcc_lo, v5, v52
	v_add_co_ci_u32_e32 v12, vcc_lo, 0, v12, vcc_lo
	s_clause 0x1
	scratch_store_b32 off, v25, off
	scratch_store_b96 off, v[20:22], off offset:4
	v_cndmask_b32_e64 v5, 0, v5, s5
	v_cndmask_b32_e64 v6, s7, v12, s5
	v_sub_f32_e32 v12, v15, v1
	s_waitcnt vmcnt(0) lgkmcnt(0)
	ds_store_b128 v13, v[16:19]
	flat_load_b128 v[16:19], v[5:6]
	v_sub_f32_e32 v5, v14, v0
	s_delay_alu instid0(VALU_DEP_1) | instskip(SKIP_1) | instid1(VALU_DEP_2)
	v_mul_f32_e32 v6, 0x3fb8aa3b, v5
	v_cmp_ngt_f32_e32 vcc_lo, 0xc2ce8ed0, v5
	v_fma_f32 v13, 0x3fb8aa3b, v5, -v6
	v_rndne_f32_e32 v14, v6
	s_delay_alu instid0(VALU_DEP_1) | instskip(SKIP_1) | instid1(VALU_DEP_2)
	v_dual_fmac_f32 v13, 0x32a5705f, v5 :: v_dual_sub_f32 v6, v6, v14
	v_cvt_i32_f32_e32 v14, v14
	v_add_f32_e32 v6, v6, v13
	s_delay_alu instid0(VALU_DEP_1) | instskip(SKIP_2) | instid1(VALU_DEP_1)
	v_exp_f32_e32 v6, v6
	s_waitcnt_depctr 0xfff
	v_ldexp_f32 v6, v6, v14
	v_cndmask_b32_e32 v6, 0, v6, vcc_lo
	v_cmp_nlt_f32_e32 vcc_lo, 0x42b17218, v5
	s_delay_alu instid0(VALU_DEP_2) | instskip(SKIP_2) | instid1(VALU_DEP_3)
	v_cndmask_b32_e32 v5, 0x7f800000, v6, vcc_lo
	v_mul_f32_e32 v15, 0x3fb8aa3b, v12
	v_cmp_ngt_f32_e32 vcc_lo, 0xc2ce8ed0, v12
	v_fmac_f32_e32 v26, v41, v5
	s_delay_alu instid0(VALU_DEP_3) | instskip(SKIP_2) | instid1(VALU_DEP_3)
	v_fma_f32 v20, 0x3fb8aa3b, v12, -v15
	v_rndne_f32_e32 v21, v15
	v_cvt_f16_f32_e32 v56, v5
	v_dual_mov_b32 v41, v26 :: v_dual_fmac_f32 v20, 0x32a5705f, v12
	s_delay_alu instid0(VALU_DEP_3) | instskip(SKIP_1) | instid1(VALU_DEP_4)
	v_sub_f32_e32 v13, v15, v21
	v_cvt_i32_f32_e32 v14, v21
	v_pk_mul_f16 v190, v56, v50 op_sel_hi:[0,1]
	v_pk_mul_f16 v192, v56, v51 op_sel_hi:[0,1]
	s_delay_alu instid0(VALU_DEP_4) | instskip(NEXT) | instid1(VALU_DEP_1)
	v_add_f32_e32 v13, v13, v20
	v_exp_f32_e32 v13, v13
	s_waitcnt_depctr 0xfff
	v_ldexp_f32 v13, v13, v14
	v_dual_mov_b32 v15, v1 :: v_dual_mov_b32 v14, v0
	s_delay_alu instid0(VALU_DEP_2) | instskip(SKIP_3) | instid1(VALU_DEP_4)
	v_cndmask_b32_e32 v6, 0, v13, vcc_lo
	v_cmp_nlt_f32_e32 vcc_lo, 0x42b17218, v12
	v_add_nc_u32_e32 v13, 0x2000, v45
	v_add_nc_u32_e32 v12, 0x3000, v45
	v_cndmask_b32_e32 v6, 0x7f800000, v6, vcc_lo
	s_delay_alu instid0(VALU_DEP_1) | instskip(SKIP_1) | instid1(VALU_DEP_2)
	v_cvt_f16_f32_e64 v191, v6
	v_fmac_f32_e32 v27, v57, v6
	v_pk_mul_f16 v0, v191, v48 op_sel_hi:[0,1]
	v_pk_mul_f16 v1, v191, v47 op_sel_hi:[0,1]
	;; [unrolled: 1-line block ×3, first 2 shown]
	s_delay_alu instid0(VALU_DEP_4)
	v_mov_b32_e32 v57, v27
	s_waitcnt vmcnt(0) lgkmcnt(0)
	ds_store_b128 v4, v[16:19]
	s_waitcnt lgkmcnt(0)
	s_waitcnt_vscnt null, 0x0
	s_barrier
	buffer_gl0_inv
	ds_load_2addr_b64 v[16:19], v45 offset1:32
	ds_load_b128 v[20:23], v3 offset:25088
	ds_load_b128 v[24:27], v3 offset:25104
	ds_load_b128 v[28:31], v3 offset:25120
	ds_load_b128 v[46:49], v3 offset:25136
	ds_load_2addr_b64 v[50:53], v45 offset0:64 offset1:96
	ds_load_2addr_b64 v[58:61], v45 offset0:128 offset1:160
	ds_load_2addr_b64 v[62:65], v45 offset0:192 offset1:224
	ds_load_2addr_b64 v[66:69], v32 offset1:32
	ds_load_2addr_b64 v[70:73], v32 offset0:64 offset1:96
	ds_load_2addr_b64 v[74:77], v32 offset0:128 offset1:160
	ds_load_2addr_b64 v[78:81], v32 offset0:192 offset1:224
	ds_load_2addr_b64 v[82:85], v33 offset1:32
	;; [unrolled: 4-line block ×5, first 2 shown]
	ds_load_b128 v[134:137], v3 offset:25152
	ds_load_b128 v[138:141], v3 offset:25168
	ds_load_2addr_b64 v[142:145], v55 offset0:64 offset1:96
	ds_load_2addr_b64 v[146:149], v55 offset0:128 offset1:160
	;; [unrolled: 1-line block ×3, first 2 shown]
	ds_load_2addr_b64 v[154:157], v12 offset1:32
	ds_load_2addr_b64 v[158:161], v12 offset0:64 offset1:96
	ds_load_2addr_b64 v[162:165], v12 offset0:128 offset1:160
	;; [unrolled: 1-line block ×3, first 2 shown]
	ds_load_2addr_b64 v[170:173], v186 offset1:32
	ds_load_b128 v[174:177], v3 offset:25184
	ds_load_b128 v[3:6], v3 offset:25200
	ds_load_2addr_b64 v[178:181], v186 offset0:64 offset1:96
	ds_load_2addr_b64 v[182:185], v186 offset0:128 offset1:160
	;; [unrolled: 1-line block ×3, first 2 shown]
	s_waitcnt lgkmcnt(38)
	v_pk_mul_f16 v12, v16, v20 op_sel_hi:[1,0]
	v_pk_mul_f16 v13, v16, v20 op_sel:[0,1]
	v_pk_mul_f16 v16, v17, v20 op_sel_hi:[1,0]
	v_pk_fma_f16 v0, v17, v20, v0 op_sel:[0,1,0]
	v_pk_fma_f16 v17, v18, v20, v190 op_sel_hi:[1,0,1]
	v_pk_fma_f16 v1, v18, v20, v1 op_sel:[0,1,0]
	v_pk_fma_f16 v18, v19, v20, v192 op_sel_hi:[1,0,1]
	v_pk_fma_f16 v19, v19, v20, v193 op_sel:[0,1,0]
	v_pk_fma_f16 v12, v56, v43, v12 op_sel_hi:[0,1,1]
	v_pk_fma_f16 v13, v191, v42, v13 op_sel_hi:[0,1,1]
	v_pk_fma_f16 v16, v56, v44, v16 op_sel_hi:[0,1,1]
	s_waitcnt lgkmcnt(34)
	v_pk_fma_f16 v0, v51, v21, v0 op_sel:[0,1,0]
	v_pk_fma_f16 v17, v52, v21, v17 op_sel_hi:[1,0,1]
	v_pk_fma_f16 v1, v52, v21, v1 op_sel:[0,1,0]
	v_pk_fma_f16 v18, v53, v21, v18 op_sel_hi:[1,0,1]
	v_pk_fma_f16 v19, v53, v21, v19 op_sel:[0,1,0]
	v_pk_fma_f16 v12, v50, v21, v12 op_sel_hi:[1,0,1]
	v_pk_fma_f16 v13, v50, v21, v13 op_sel:[0,1,0]
	v_pk_fma_f16 v16, v51, v21, v16 op_sel_hi:[1,0,1]
	s_waitcnt lgkmcnt(33)
	v_pk_fma_f16 v0, v59, v22, v0 op_sel:[0,1,0]
	v_pk_fma_f16 v17, v60, v22, v17 op_sel_hi:[1,0,1]
	v_pk_fma_f16 v1, v60, v22, v1 op_sel:[0,1,0]
	v_pk_fma_f16 v18, v61, v22, v18 op_sel_hi:[1,0,1]
	v_pk_fma_f16 v19, v61, v22, v19 op_sel:[0,1,0]
	v_pk_fma_f16 v12, v58, v22, v12 op_sel_hi:[1,0,1]
	v_pk_fma_f16 v13, v58, v22, v13 op_sel:[0,1,0]
	;; [unrolled: 9-line block ×16, first 2 shown]
	v_pk_fma_f16 v16, v115, v134, v16 op_sel_hi:[1,0,1]
	v_pk_fma_f16 v0, v119, v135, v0 op_sel:[0,1,0]
	v_pk_fma_f16 v17, v120, v135, v17 op_sel_hi:[1,0,1]
	v_pk_fma_f16 v1, v120, v135, v1 op_sel:[0,1,0]
	;; [unrolled: 2-line block ×12, first 2 shown]
	v_pk_fma_f16 v16, v127, v137, v16 op_sel_hi:[1,0,1]
	s_waitcnt lgkmcnt(13)
	v_pk_fma_f16 v0, v131, v138, v0 op_sel:[0,1,0]
	v_pk_fma_f16 v17, v132, v138, v17 op_sel_hi:[1,0,1]
	v_pk_fma_f16 v1, v132, v138, v1 op_sel:[0,1,0]
	v_pk_fma_f16 v18, v133, v138, v18 op_sel_hi:[1,0,1]
	v_pk_fma_f16 v19, v133, v138, v19 op_sel:[0,1,0]
	v_pk_fma_f16 v12, v130, v138, v12 op_sel_hi:[1,0,1]
	v_pk_fma_f16 v13, v130, v138, v13 op_sel:[0,1,0]
	v_pk_fma_f16 v16, v131, v138, v16 op_sel_hi:[1,0,1]
	s_waitcnt lgkmcnt(12)
	v_pk_fma_f16 v0, v143, v139, v0 op_sel:[0,1,0]
	v_pk_fma_f16 v17, v144, v139, v17 op_sel_hi:[1,0,1]
	v_pk_fma_f16 v1, v144, v139, v1 op_sel:[0,1,0]
	v_pk_fma_f16 v18, v145, v139, v18 op_sel_hi:[1,0,1]
	v_pk_fma_f16 v19, v145, v139, v19 op_sel:[0,1,0]
	v_pk_fma_f16 v12, v142, v139, v12 op_sel_hi:[1,0,1]
	v_pk_fma_f16 v13, v142, v139, v13 op_sel:[0,1,0]
	;; [unrolled: 9-line block ×5, first 2 shown]
	v_pk_fma_f16 v16, v155, v174, v16 op_sel_hi:[1,0,1]
	v_pk_fma_f16 v0, v159, v175, v0 op_sel:[0,1,0]
	v_pk_fma_f16 v17, v160, v175, v17 op_sel_hi:[1,0,1]
	v_pk_fma_f16 v1, v160, v175, v1 op_sel:[0,1,0]
	;; [unrolled: 2-line block ×12, first 2 shown]
	v_pk_fma_f16 v16, v167, v177, v16 op_sel_hi:[1,0,1]
	s_waitcnt lgkmcnt(3)
	v_pk_fma_f16 v0, v171, v3, v0 op_sel:[0,1,0]
	v_pk_fma_f16 v17, v172, v3, v17 op_sel_hi:[1,0,1]
	v_pk_fma_f16 v1, v172, v3, v1 op_sel:[0,1,0]
	v_pk_fma_f16 v18, v173, v3, v18 op_sel_hi:[1,0,1]
	v_pk_fma_f16 v19, v173, v3, v19 op_sel:[0,1,0]
	v_pk_fma_f16 v12, v170, v3, v12 op_sel_hi:[1,0,1]
	v_pk_fma_f16 v13, v170, v3, v13 op_sel:[0,1,0]
	v_pk_fma_f16 v3, v171, v3, v16 op_sel_hi:[1,0,1]
	s_waitcnt lgkmcnt(2)
	v_pk_fma_f16 v0, v179, v4, v0 op_sel:[0,1,0]
	v_pk_fma_f16 v16, v180, v4, v17 op_sel_hi:[1,0,1]
	v_pk_fma_f16 v1, v180, v4, v1 op_sel:[0,1,0]
	v_pk_fma_f16 v17, v181, v4, v18 op_sel_hi:[1,0,1]
	v_pk_fma_f16 v18, v181, v4, v19 op_sel:[0,1,0]
	v_pk_fma_f16 v12, v178, v4, v12 op_sel_hi:[1,0,1]
	v_pk_fma_f16 v13, v178, v4, v13 op_sel:[0,1,0]
	;; [unrolled: 9-line block ×4, first 2 shown]
	v_pk_fma_f16 v44, v187, v6, v3 op_sel_hi:[1,0,1]
	v_mov_b32_e32 v0, v40
	s_barrier
	buffer_gl0_inv
.LBB71_47:
	v_cmp_lt_i32_e32 vcc_lo, v7, v9
	s_cmp_eq_u64 s[24:25], 0
	s_cselect_b32 s2, -1, 0
	s_cmp_lg_u32 s14, 0
	v_cndmask_b32_e32 v1, v0, v7, vcc_lo
	v_cmp_lt_i32_e32 vcc_lo, v2, v9
	s_cselect_b32 s3, -1, 0
	s_delay_alu instid0(SALU_CYCLE_1) | instskip(SKIP_2) | instid1(VALU_DEP_2)
	s_or_b32 s2, s3, s2
	v_cndmask_b32_e32 v2, v0, v2, vcc_lo
	v_cmp_lt_i32_e32 vcc_lo, v8, v9
	v_lshlrev_b32_e32 v2, 2, v2
	v_lshlrev_b32_e32 v1, 2, v1
	v_cndmask_b32_e32 v5, v0, v8, vcc_lo
	v_cmp_lt_i32_e32 vcc_lo, v10, v9
	ds_bpermute_b32 v3, v1, v41
	ds_bpermute_b32 v1, v1, v57
	v_lshlrev_b32_e32 v5, 2, v5
	s_waitcnt lgkmcnt(1)
	v_add_f32_e32 v3, v41, v3
	s_waitcnt lgkmcnt(0)
	v_add_f32_e32 v1, v57, v1
	ds_bpermute_b32 v4, v2, v3
	ds_bpermute_b32 v2, v2, v1
	s_waitcnt lgkmcnt(1)
	v_add_f32_e32 v3, v3, v4
	s_waitcnt lgkmcnt(0)
	v_add_f32_e32 v1, v1, v2
	ds_bpermute_b32 v2, v5, v3
	ds_bpermute_b32 v4, v5, v1
	v_cndmask_b32_e32 v5, v0, v10, vcc_lo
	v_cmp_lt_i32_e32 vcc_lo, v11, v9
	s_delay_alu instid0(VALU_DEP_2) | instskip(SKIP_1) | instid1(VALU_DEP_1)
	v_dual_cndmask_b32 v0, v0, v11 :: v_dual_lshlrev_b32 v5, 2, v5
	s_and_b32 vcc_lo, exec_lo, s2
	v_lshlrev_b32_e32 v0, 2, v0
	s_waitcnt lgkmcnt(0)
	v_dual_add_f32 v2, v3, v2 :: v_dual_add_f32 v1, v1, v4
	ds_bpermute_b32 v3, v5, v2
	ds_bpermute_b32 v4, v5, v1
	s_waitcnt lgkmcnt(0)
	v_dual_add_f32 v2, v2, v3 :: v_dual_add_f32 v1, v1, v4
	ds_bpermute_b32 v3, v0, v2
	ds_bpermute_b32 v4, v0, v1
	s_waitcnt lgkmcnt(0)
	v_dual_add_f32 v0, v2, v3 :: v_dual_add_f32 v1, v1, v4
	s_cbranch_vccnz .LBB71_50
; %bb.48:
	s_lshl_b64 s[2:3], s[34:35], 2
	v_dual_mov_b32 v2, 0 :: v_dual_max_f32 v3, v14, v14
	s_add_u32 s2, s24, s2
	s_addc_u32 s3, s25, s3
	v_max_f32_e32 v6, v15, v15
	global_load_b32 v2, v2, s[2:3]
	s_waitcnt vmcnt(0)
	v_max_f32_e32 v5, v2, v2
	s_delay_alu instid0(VALU_DEP_1) | instskip(SKIP_1) | instid1(VALU_DEP_2)
	v_max_f32_e32 v4, v3, v5
	v_max_f32_e32 v5, v6, v5
	v_sub_f32_e32 v6, v2, v4
	s_delay_alu instid0(VALU_DEP_1) | instskip(SKIP_1) | instid1(VALU_DEP_4)
	v_mul_f32_e32 v9, 0x3fb8aa3b, v6
	v_sub_f32_e32 v3, v14, v4
	v_sub_f32_e32 v8, v2, v5
	s_delay_alu instid0(VALU_DEP_2) | instskip(NEXT) | instid1(VALU_DEP_4)
	v_dual_mul_f32 v2, 0x3fb8aa3b, v3 :: v_dual_sub_f32 v7, v15, v5
	v_rndne_f32_e32 v15, v9
	v_fma_f32 v14, 0x3fb8aa3b, v6, -v9
	s_delay_alu instid0(VALU_DEP_3) | instskip(NEXT) | instid1(VALU_DEP_4)
	v_rndne_f32_e32 v13, v2
	v_mul_f32_e32 v10, 0x3fb8aa3b, v7
	s_delay_alu instid0(VALU_DEP_4)
	v_sub_f32_e32 v9, v9, v15
	v_mul_f32_e32 v11, 0x3fb8aa3b, v8
	v_fma_f32 v12, 0x3fb8aa3b, v3, -v2
	v_sub_f32_e32 v2, v2, v13
	v_cmp_ngt_f32_e32 vcc_lo, 0xc2ce8ed0, v3
	v_fma_f32 v16, 0x3fb8aa3b, v7, -v10
	v_rndne_f32_e32 v19, v11
	v_fma_f32 v18, 0x3fb8aa3b, v8, -v11
	v_fmac_f32_e32 v14, 0x32a5705f, v6
	v_rndne_f32_e32 v17, v10
	s_delay_alu instid0(VALU_DEP_4) | instskip(NEXT) | instid1(VALU_DEP_3)
	v_sub_f32_e32 v11, v11, v19
	v_dual_fmac_f32 v12, 0x32a5705f, v3 :: v_dual_add_f32 v9, v9, v14
	s_delay_alu instid0(VALU_DEP_3) | instskip(NEXT) | instid1(VALU_DEP_2)
	v_cvt_i32_f32_e32 v14, v17
	v_add_f32_e32 v2, v2, v12
	s_delay_alu instid0(VALU_DEP_3)
	v_exp_f32_e32 v9, v9
	v_cvt_i32_f32_e32 v12, v13
	v_cvt_i32_f32_e32 v13, v15
	;; [unrolled: 1-line block ×3, first 2 shown]
	v_exp_f32_e32 v2, v2
	s_waitcnt_depctr 0xfff
	v_ldexp_f32 v9, v9, v13
	v_ldexp_f32 v2, v2, v12
	s_delay_alu instid0(VALU_DEP_1) | instskip(SKIP_1) | instid1(VALU_DEP_4)
	v_cndmask_b32_e32 v2, 0, v2, vcc_lo
	v_cmp_ngt_f32_e32 vcc_lo, 0xc2ce8ed0, v6
	v_dual_fmac_f32 v18, 0x32a5705f, v8 :: v_dual_cndmask_b32 v9, 0, v9
	s_delay_alu instid0(VALU_DEP_1) | instskip(SKIP_1) | instid1(VALU_DEP_2)
	v_dual_fmac_f32 v16, 0x32a5705f, v7 :: v_dual_add_f32 v11, v11, v18
	v_cmp_ngt_f32_e32 vcc_lo, 0xc2ce8ed0, v7
	v_exp_f32_e32 v11, v11
	s_waitcnt_depctr 0xfff
	v_ldexp_f32 v11, v11, v15
	v_sub_f32_e32 v10, v10, v17
	s_delay_alu instid0(VALU_DEP_1) | instskip(NEXT) | instid1(VALU_DEP_1)
	v_add_f32_e32 v10, v10, v16
	v_exp_f32_e32 v10, v10
	s_waitcnt_depctr 0xfff
	v_ldexp_f32 v10, v10, v14
	v_dual_mov_b32 v15, v5 :: v_dual_mov_b32 v14, v4
	s_delay_alu instid0(VALU_DEP_2)
	v_cndmask_b32_e32 v10, 0, v10, vcc_lo
	v_cmp_ngt_f32_e32 vcc_lo, 0xc2ce8ed0, v8
	v_cndmask_b32_e32 v11, 0, v11, vcc_lo
	v_cmp_nlt_f32_e32 vcc_lo, 0x42b17218, v3
	v_cndmask_b32_e32 v12, 0x7f800000, v2, vcc_lo
	v_cmp_nlt_f32_e32 vcc_lo, 0x42b17218, v6
	;; [unrolled: 2-line block ×3, first 2 shown]
	s_delay_alu instid0(VALU_DEP_4) | instskip(NEXT) | instid1(VALU_DEP_3)
	v_cvt_f16_f32_e32 v7, v12
	v_fmac_f32_e32 v2, v0, v12
	v_cndmask_b32_e32 v6, 0x7f800000, v10, vcc_lo
	v_cmp_nlt_f32_e32 vcc_lo, 0x42b17218, v8
	s_delay_alu instid0(VALU_DEP_4)
	v_pk_mul_f16 v43, v7, v43 op_sel_hi:[0,1]
	v_pk_mul_f16 v44, v7, v44 op_sel_hi:[0,1]
	;; [unrolled: 1-line block ×3, first 2 shown]
	v_cvt_f16_f32_e32 v0, v6
	v_cndmask_b32_e32 v3, 0x7f800000, v11, vcc_lo
	v_pk_mul_f16 v51, v7, v51 op_sel_hi:[0,1]
	s_delay_alu instid0(VALU_DEP_3) | instskip(NEXT) | instid1(VALU_DEP_3)
	v_pk_mul_f16 v42, v0, v42 op_sel_hi:[0,1]
	v_fmac_f32_e32 v3, v1, v6
	v_pk_mul_f16 v48, v0, v48 op_sel_hi:[0,1]
	v_pk_mul_f16 v47, v0, v47 op_sel_hi:[0,1]
	v_pk_mul_f16 v46, v0, v46 op_sel_hi:[0,1]
	s_delay_alu instid0(VALU_DEP_4)
	v_dual_mov_b32 v0, v2 :: v_dual_mov_b32 v1, v3
	s_mov_b32 s2, exec_lo
	v_cmpx_gt_i32_e64 s10, v38
	s_cbranch_execnz .LBB71_51
.LBB71_49:
	s_nop 0
	s_sendmsg sendmsg(MSG_DEALLOC_VGPRS)
	s_endpgm
.LBB71_50:
	s_delay_alu instid0(VALU_DEP_1)
	v_dual_mov_b32 v2, v0 :: v_dual_mov_b32 v3, v1
	s_mov_b32 s2, exec_lo
	v_cmpx_gt_i32_e64 s10, v38
	s_cbranch_execz .LBB71_49
.LBB71_51:
	s_load_b32 s1, s[0:1], 0xd4
	v_mov_b32_e32 v6, 1.0
	s_waitcnt lgkmcnt(0)
	s_cmp_lg_u32 s1, 1
	s_cselect_b32 s4, -1, 0
	s_cmp_eq_u32 s1, 1
	s_cselect_b32 s2, -1, 0
	s_and_b32 vcc_lo, exec_lo, s4
	s_cbranch_vccnz .LBB71_53
; %bb.52:
	v_div_scale_f32 v4, null, v2, v2, 1.0
	s_delay_alu instid0(VALU_DEP_1) | instskip(SKIP_2) | instid1(VALU_DEP_1)
	v_rcp_f32_e32 v5, v4
	s_waitcnt_depctr 0xfff
	v_fma_f32 v6, -v4, v5, 1.0
	v_fmac_f32_e32 v5, v6, v5
	v_div_scale_f32 v6, vcc_lo, 1.0, v2, 1.0
	s_delay_alu instid0(VALU_DEP_1) | instskip(NEXT) | instid1(VALU_DEP_1)
	v_mul_f32_e32 v7, v6, v5
	v_fma_f32 v8, -v4, v7, v6
	s_delay_alu instid0(VALU_DEP_1) | instskip(NEXT) | instid1(VALU_DEP_1)
	v_fmac_f32_e32 v7, v8, v5
	v_fma_f32 v4, -v4, v7, v6
	s_delay_alu instid0(VALU_DEP_1) | instskip(NEXT) | instid1(VALU_DEP_1)
	v_div_fmas_f32 v4, v4, v5, v7
	v_div_fixup_f32 v6, v4, v2, 1.0
.LBB71_53:
	s_mul_i32 s3, s12, s10
	v_cvt_f32_f16_e32 v11, v43
	s_add_i32 s3, s3, s15
	v_lshrrev_b32_e32 v10, 16, v43
	v_add_nc_u32_e32 v2, s3, v37
	v_mov_b32_e32 v12, 0
	v_lshrrev_b32_e32 v13, 16, v51
	v_lshrrev_b32_e32 v16, 16, v50
	v_cvt_f32_f16_e32 v17, v50
	v_mad_u64_u32 v[7:8], null, v2, s11, s[34:35]
	v_lshrrev_b32_e32 v2, 16, v44
	v_cvt_f32_f16_e32 v8, v44
	v_cvt_f32_f16_e32 v13, v13
	v_cmp_eq_u32_e32 vcc_lo, 0, v39
	s_delay_alu instid0(VALU_DEP_4)
	v_cvt_f32_f16_e32 v2, v2
	v_mad_u64_u32 v[4:5], null, s1, v7, s[14:15]
	v_mul_f32_e32 v7, v6, v11
	v_cvt_f32_f16_e32 v5, v51
	v_mul_f32_e32 v9, v6, v8
	v_cvt_f32_f16_e32 v8, v10
	v_mul_f32_e32 v10, v6, v2
	v_mul_f32_e32 v19, v6, v13
	v_lshl_add_u32 v11, v4, 8, v36
	v_mul_f32_e32 v18, v6, v5
	v_cvt_f32_f16_e32 v5, v16
	v_mul_f32_e32 v16, v6, v17
	v_mul_f32_e32 v8, v6, v8
	v_lshlrev_b64 v[20:21], 2, v[11:12]
	v_add_nc_u32_e32 v11, 0x80, v11
	v_mul_f32_e32 v17, v6, v5
	s_delay_alu instid0(VALU_DEP_2) | instskip(NEXT) | instid1(VALU_DEP_4)
	v_lshlrev_b64 v[5:6], 2, v[11:12]
	v_add_co_u32 v11, s0, s28, v20
	s_delay_alu instid0(VALU_DEP_1) | instskip(NEXT) | instid1(VALU_DEP_3)
	v_add_co_ci_u32_e64 v12, s0, s29, v21, s0
	v_add_co_u32 v5, s0, s28, v5
	s_delay_alu instid0(VALU_DEP_1)
	v_add_co_ci_u32_e64 v6, s0, s29, v6, s0
	s_and_b32 s0, vcc_lo, s4
	s_clause 0x1
	global_store_b128 v[11:12], v[7:10], off
	global_store_b128 v[5:6], v[16:19], off
	s_and_saveexec_b32 s4, s0
	s_cbranch_execz .LBB71_55
; %bb.54:
	v_ashrrev_i32_e32 v5, 31, v4
	v_dual_mov_b32 v6, v14 :: v_dual_mov_b32 v7, v0
	s_delay_alu instid0(VALU_DEP_2) | instskip(NEXT) | instid1(VALU_DEP_1)
	v_lshlrev_b64 v[4:5], 3, v[4:5]
	v_add_co_u32 v4, vcc_lo, s30, v4
	s_delay_alu instid0(VALU_DEP_2)
	v_add_co_ci_u32_e32 v5, vcc_lo, s31, v5, vcc_lo
	global_store_b64 v[4:5], v[6:7], off
.LBB71_55:
	s_or_b32 exec_lo, exec_lo, s4
	v_cmp_gt_i32_e32 vcc_lo, s10, v35
	s_and_b32 exec_lo, exec_lo, vcc_lo
	s_cbranch_execz .LBB71_49
; %bb.56:
	v_mov_b32_e32 v0, 1.0
	s_and_not1_b32 vcc_lo, exec_lo, s2
	s_cbranch_vccnz .LBB71_58
; %bb.57:
	v_div_scale_f32 v0, null, v3, v3, 1.0
	s_delay_alu instid0(VALU_DEP_1) | instskip(SKIP_2) | instid1(VALU_DEP_1)
	v_rcp_f32_e32 v2, v0
	s_waitcnt_depctr 0xfff
	v_fma_f32 v4, -v0, v2, 1.0
	v_fmac_f32_e32 v2, v4, v2
	v_div_scale_f32 v4, vcc_lo, 1.0, v3, 1.0
	s_delay_alu instid0(VALU_DEP_1) | instskip(NEXT) | instid1(VALU_DEP_1)
	v_mul_f32_e32 v5, v4, v2
	v_fma_f32 v6, -v0, v5, v4
	s_delay_alu instid0(VALU_DEP_1) | instskip(NEXT) | instid1(VALU_DEP_1)
	v_fmac_f32_e32 v5, v6, v2
	v_fma_f32 v0, -v0, v5, v4
	s_delay_alu instid0(VALU_DEP_1) | instskip(NEXT) | instid1(VALU_DEP_1)
	v_div_fmas_f32 v0, v0, v2, v5
	v_div_fixup_f32 v0, v0, v3, 1.0
.LBB71_58:
	v_cvt_f32_f16_e32 v8, v42
	v_add_nc_u32_e32 v2, s3, v34
	v_cvt_f32_f16_e32 v6, v48
	v_lshrrev_b32_e32 v7, 16, v42
	v_mov_b32_e32 v12, 0
	v_cvt_f32_f16_e32 v13, v47
	v_mad_u64_u32 v[4:5], null, v2, s11, s[34:35]
	v_lshrrev_b32_e32 v5, 16, v48
	v_cvt_f32_f16_e32 v17, v7
	s_delay_alu instid0(VALU_DEP_4)
	v_mul_f32_e32 v7, v0, v13
	v_lshrrev_b32_e32 v9, 16, v46
	v_lshrrev_b32_e32 v10, 16, v47
	v_cvt_f32_f16_e32 v16, v5
	v_mul_f32_e32 v5, v0, v6
	v_mad_u64_u32 v[2:3], null, s1, v4, s[14:15]
	v_cvt_f32_f16_e32 v4, v46
	v_mul_f32_e32 v3, v0, v8
	v_cvt_f32_f16_e32 v8, v9
	v_cvt_f32_f16_e32 v18, v10
	v_mul_f32_e32 v6, v0, v16
	v_mul_f32_e32 v9, v0, v4
	v_lshl_add_u32 v11, v2, 8, v36
	v_mul_f32_e32 v4, v0, v17
	v_mul_f32_e32 v10, v0, v8
	;; [unrolled: 1-line block ×3, first 2 shown]
	s_delay_alu instid0(VALU_DEP_4) | instskip(SKIP_1) | instid1(VALU_DEP_1)
	v_lshlrev_b64 v[13:14], 2, v[11:12]
	v_add_nc_u32_e32 v11, 0x80, v11
	v_lshlrev_b64 v[11:12], 2, v[11:12]
	s_delay_alu instid0(VALU_DEP_3) | instskip(NEXT) | instid1(VALU_DEP_4)
	v_add_co_u32 v13, vcc_lo, s28, v13
	v_add_co_ci_u32_e32 v14, vcc_lo, s29, v14, vcc_lo
	s_delay_alu instid0(VALU_DEP_3) | instskip(NEXT) | instid1(VALU_DEP_4)
	v_add_co_u32 v11, vcc_lo, s28, v11
	v_add_co_ci_u32_e32 v12, vcc_lo, s29, v12, vcc_lo
	s_clause 0x1
	global_store_b128 v[13:14], v[3:6], off
	global_store_b128 v[11:12], v[7:10], off
	s_and_b32 exec_lo, exec_lo, s0
	s_cbranch_execz .LBB71_49
; %bb.59:
	v_ashrrev_i32_e32 v3, 31, v2
	v_mov_b32_e32 v0, v15
	s_delay_alu instid0(VALU_DEP_2) | instskip(NEXT) | instid1(VALU_DEP_1)
	v_lshlrev_b64 v[2:3], 3, v[2:3]
	v_add_co_u32 v2, vcc_lo, s30, v2
	s_delay_alu instid0(VALU_DEP_2)
	v_add_co_ci_u32_e32 v3, vcc_lo, s31, v3, vcc_lo
	global_store_b64 v[2:3], v[0:1], off
	s_nop 0
	s_sendmsg sendmsg(MSG_DEALLOC_VGPRS)
	s_endpgm
	.section	.rodata,"a",@progbits
	.p2align	6, 0x0
	.amdhsa_kernel _ZL15flash_attn_tileILi256ELi256ELi16ELi1ELb1EEvPKcS1_S1_S1_S1_PKiPfP15HIP_vector_typeIfLj2EEffffjfiS5_IjLj3EEiiiiiiiiiiiliiliiiiil
		.amdhsa_group_segment_fixed_size 26112
		.amdhsa_private_segment_fixed_size 32
		.amdhsa_kernarg_size 464
		.amdhsa_user_sgpr_count 13
		.amdhsa_user_sgpr_dispatch_ptr 0
		.amdhsa_user_sgpr_queue_ptr 0
		.amdhsa_user_sgpr_kernarg_segment_ptr 1
		.amdhsa_user_sgpr_dispatch_id 0
		.amdhsa_user_sgpr_private_segment_size 0
		.amdhsa_wavefront_size32 1
		.amdhsa_uses_dynamic_stack 0
		.amdhsa_enable_private_segment 1
		.amdhsa_system_sgpr_workgroup_id_x 1
		.amdhsa_system_sgpr_workgroup_id_y 1
		.amdhsa_system_sgpr_workgroup_id_z 1
		.amdhsa_system_sgpr_workgroup_info 0
		.amdhsa_system_vgpr_workitem_id 1
		.amdhsa_next_free_vgpr 219
		.amdhsa_next_free_sgpr 47
		.amdhsa_reserve_vcc 1
		.amdhsa_float_round_mode_32 0
		.amdhsa_float_round_mode_16_64 0
		.amdhsa_float_denorm_mode_32 3
		.amdhsa_float_denorm_mode_16_64 3
		.amdhsa_dx10_clamp 1
		.amdhsa_ieee_mode 1
		.amdhsa_fp16_overflow 0
		.amdhsa_workgroup_processor_mode 1
		.amdhsa_memory_ordered 1
		.amdhsa_forward_progress 0
		.amdhsa_shared_vgpr_count 0
		.amdhsa_exception_fp_ieee_invalid_op 0
		.amdhsa_exception_fp_denorm_src 0
		.amdhsa_exception_fp_ieee_div_zero 0
		.amdhsa_exception_fp_ieee_overflow 0
		.amdhsa_exception_fp_ieee_underflow 0
		.amdhsa_exception_fp_ieee_inexact 0
		.amdhsa_exception_int_div_zero 0
	.end_amdhsa_kernel
	.section	.text._ZL15flash_attn_tileILi256ELi256ELi16ELi1ELb1EEvPKcS1_S1_S1_S1_PKiPfP15HIP_vector_typeIfLj2EEffffjfiS5_IjLj3EEiiiiiiiiiiiliiliiiiil,"axG",@progbits,_ZL15flash_attn_tileILi256ELi256ELi16ELi1ELb1EEvPKcS1_S1_S1_S1_PKiPfP15HIP_vector_typeIfLj2EEffffjfiS5_IjLj3EEiiiiiiiiiiiliiliiiiil,comdat
.Lfunc_end71:
	.size	_ZL15flash_attn_tileILi256ELi256ELi16ELi1ELb1EEvPKcS1_S1_S1_S1_PKiPfP15HIP_vector_typeIfLj2EEffffjfiS5_IjLj3EEiiiiiiiiiiiliiliiiiil, .Lfunc_end71-_ZL15flash_attn_tileILi256ELi256ELi16ELi1ELb1EEvPKcS1_S1_S1_S1_PKiPfP15HIP_vector_typeIfLj2EEffffjfiS5_IjLj3EEiiiiiiiiiiiliiliiiiil
                                        ; -- End function
	.section	.AMDGPU.csdata,"",@progbits
; Kernel info:
; codeLenInByte = 27228
; NumSgprs: 49
; NumVgprs: 219
; ScratchSize: 32
; MemoryBound: 0
; FloatMode: 240
; IeeeMode: 1
; LDSByteSize: 26112 bytes/workgroup (compile time only)
; SGPRBlocks: 6
; VGPRBlocks: 27
; NumSGPRsForWavesPerEU: 49
; NumVGPRsForWavesPerEU: 219
; Occupancy: 6
; WaveLimiterHint : 1
; COMPUTE_PGM_RSRC2:SCRATCH_EN: 1
; COMPUTE_PGM_RSRC2:USER_SGPR: 13
; COMPUTE_PGM_RSRC2:TRAP_HANDLER: 0
; COMPUTE_PGM_RSRC2:TGID_X_EN: 1
; COMPUTE_PGM_RSRC2:TGID_Y_EN: 1
; COMPUTE_PGM_RSRC2:TGID_Z_EN: 1
; COMPUTE_PGM_RSRC2:TIDIG_COMP_CNT: 1
	.section	.text._ZL15flash_attn_tileILi256ELi256ELi8ELi1ELb1EEvPKcS1_S1_S1_S1_PKiPfP15HIP_vector_typeIfLj2EEffffjfiS5_IjLj3EEiiiiiiiiiiiliiliiiiil,"axG",@progbits,_ZL15flash_attn_tileILi256ELi256ELi8ELi1ELb1EEvPKcS1_S1_S1_S1_PKiPfP15HIP_vector_typeIfLj2EEffffjfiS5_IjLj3EEiiiiiiiiiiiliiliiiiil,comdat
	.globl	_ZL15flash_attn_tileILi256ELi256ELi8ELi1ELb1EEvPKcS1_S1_S1_S1_PKiPfP15HIP_vector_typeIfLj2EEffffjfiS5_IjLj3EEiiiiiiiiiiiliiliiiiil ; -- Begin function _ZL15flash_attn_tileILi256ELi256ELi8ELi1ELb1EEvPKcS1_S1_S1_S1_PKiPfP15HIP_vector_typeIfLj2EEffffjfiS5_IjLj3EEiiiiiiiiiiiliiliiiiil
	.p2align	8
	.type	_ZL15flash_attn_tileILi256ELi256ELi8ELi1ELb1EEvPKcS1_S1_S1_S1_PKiPfP15HIP_vector_typeIfLj2EEffffjfiS5_IjLj3EEiiiiiiiiiiiliiliiiiil,@function
_ZL15flash_attn_tileILi256ELi256ELi8ELi1ELb1EEvPKcS1_S1_S1_S1_PKiPfP15HIP_vector_typeIfLj2EEffffjfiS5_IjLj3EEiiiiiiiiiiiliiliiiiil: ; @_ZL15flash_attn_tileILi256ELi256ELi8ELi1ELb1EEvPKcS1_S1_S1_S1_PKiPfP15HIP_vector_typeIfLj2EEffffjfiS5_IjLj3EEiiiiiiiiiiiliiliiiiil
; %bb.0:
	s_clause 0x3
	s_load_b128 s[36:39], s[0:1], 0x5c
	s_load_b64 s[42:43], s[0:1], 0x80
	s_load_b512 s[16:31], s[0:1], 0x0
	s_load_b64 s[44:45], s[0:1], 0xb8
	s_mov_b64 s[40:41], 0
	s_waitcnt lgkmcnt(0)
	v_cvt_f32_u32_e32 v1, s39
	s_sub_i32 s3, 0, s39
	s_delay_alu instid0(VALU_DEP_1) | instskip(SKIP_2) | instid1(VALU_DEP_1)
	v_rcp_iflag_f32_e32 v1, v1
	s_waitcnt_depctr 0xfff
	v_mul_f32_e32 v1, 0x4f7ffffe, v1
	v_cvt_u32_f32_e32 v1, v1
	s_delay_alu instid0(VALU_DEP_1) | instskip(NEXT) | instid1(VALU_DEP_1)
	v_readfirstlane_b32 s2, v1
	s_mul_i32 s3, s3, s2
	s_delay_alu instid0(SALU_CYCLE_1) | instskip(NEXT) | instid1(SALU_CYCLE_1)
	s_mul_hi_u32 s3, s2, s3
	s_add_i32 s2, s2, s3
	s_delay_alu instid0(SALU_CYCLE_1) | instskip(NEXT) | instid1(SALU_CYCLE_1)
	s_mul_hi_u32 s2, s15, s2
	s_mul_i32 s3, s2, s39
	s_add_i32 s4, s2, 1
	s_sub_i32 s3, s15, s3
	s_delay_alu instid0(SALU_CYCLE_1)
	s_sub_i32 s5, s3, s39
	s_cmp_ge_u32 s3, s39
	s_cselect_b32 s2, s4, s2
	s_cselect_b32 s3, s5, s3
	s_add_i32 s4, s2, 1
	s_cmp_ge_u32 s3, s39
	s_cselect_b32 s12, s4, s2
	s_abs_i32 s2, s43
	s_abs_i32 s6, s39
	v_cvt_f32_u32_e32 v1, s2
	s_sub_i32 s4, 0, s2
	s_mul_i32 s5, s12, s39
	s_delay_alu instid0(SALU_CYCLE_1) | instskip(NEXT) | instid1(VALU_DEP_1)
	s_sub_i32 s34, s15, s5
	v_rcp_iflag_f32_e32 v1, v1
	s_waitcnt_depctr 0xfff
	v_mul_f32_e32 v1, 0x4f7ffffe, v1
	s_delay_alu instid0(VALU_DEP_1) | instskip(NEXT) | instid1(VALU_DEP_1)
	v_cvt_u32_f32_e32 v1, v1
	v_readfirstlane_b32 s3, v1
	s_delay_alu instid0(VALU_DEP_1) | instskip(NEXT) | instid1(SALU_CYCLE_1)
	s_mul_i32 s4, s4, s3
	s_mul_hi_u32 s4, s3, s4
	s_delay_alu instid0(SALU_CYCLE_1) | instskip(SKIP_4) | instid1(SALU_CYCLE_1)
	s_add_i32 s3, s3, s4
	s_xor_b32 s4, s39, s43
	s_mul_hi_u32 s3, s6, s3
	s_ashr_i32 s4, s4, 31
	s_mul_i32 s5, s3, s2
	s_sub_i32 s5, s6, s5
	s_add_i32 s6, s3, 1
	s_sub_i32 s7, s5, s2
	s_cmp_ge_u32 s5, s2
	s_cselect_b32 s3, s6, s3
	s_cselect_b32 s5, s7, s5
	s_add_i32 s6, s3, 1
	s_cmp_ge_u32 s5, s2
	s_cselect_b32 s2, s6, s3
	s_abs_i32 s43, s34
	s_xor_b32 s2, s2, s4
	s_delay_alu instid0(SALU_CYCLE_1) | instskip(NEXT) | instid1(SALU_CYCLE_1)
	s_sub_i32 s46, s2, s4
	s_abs_i32 s33, s46
	s_delay_alu instid0(SALU_CYCLE_1) | instskip(SKIP_1) | instid1(VALU_DEP_1)
	v_cvt_f32_u32_e32 v1, s33
	s_sub_i32 s3, 0, s33
	v_rcp_iflag_f32_e32 v1, v1
	s_waitcnt_depctr 0xfff
	v_mul_f32_e32 v1, 0x4f7ffffe, v1
	s_delay_alu instid0(VALU_DEP_1) | instskip(NEXT) | instid1(VALU_DEP_1)
	v_cvt_u32_f32_e32 v1, v1
	v_readfirstlane_b32 s2, v1
	s_delay_alu instid0(VALU_DEP_1) | instskip(NEXT) | instid1(SALU_CYCLE_1)
	s_mul_i32 s3, s3, s2
	s_mul_hi_u32 s3, s2, s3
	s_delay_alu instid0(SALU_CYCLE_1)
	s_add_i32 s2, s2, s3
	s_cmp_eq_u64 s[22:23], 0
	s_cbranch_scc1 .LBB72_2
; %bb.1:
	s_abs_i32 s3, s44
	s_abs_i32 s6, s12
	v_cvt_f32_u32_e32 v1, s3
	s_sub_i32 s5, 0, s3
	s_delay_alu instid0(VALU_DEP_1) | instskip(SKIP_2) | instid1(VALU_DEP_1)
	v_rcp_iflag_f32_e32 v1, v1
	s_waitcnt_depctr 0xfff
	v_mul_f32_e32 v1, 0x4f7ffffe, v1
	v_cvt_u32_f32_e32 v1, v1
	s_delay_alu instid0(VALU_DEP_1) | instskip(NEXT) | instid1(VALU_DEP_1)
	v_readfirstlane_b32 s4, v1
	s_mul_i32 s5, s5, s4
	s_delay_alu instid0(SALU_CYCLE_1) | instskip(NEXT) | instid1(SALU_CYCLE_1)
	s_mul_hi_u32 s5, s4, s5
	s_add_i32 s7, s4, s5
	s_load_b64 s[4:5], s[0:1], 0xc8
	s_mul_hi_u32 s7, s6, s7
	s_delay_alu instid0(SALU_CYCLE_1) | instskip(NEXT) | instid1(SALU_CYCLE_1)
	s_mul_i32 s7, s7, s3
	s_sub_i32 s6, s6, s7
	s_ashr_i32 s7, s12, 31
	s_sub_i32 s8, s6, s3
	s_cmp_ge_u32 s6, s3
	s_cselect_b32 s6, s8, s6
	s_delay_alu instid0(SALU_CYCLE_1) | instskip(SKIP_2) | instid1(SALU_CYCLE_1)
	s_sub_i32 s8, s6, s3
	s_cmp_ge_u32 s6, s3
	s_cselect_b32 s3, s8, s6
	s_xor_b32 s3, s3, s7
	s_delay_alu instid0(SALU_CYCLE_1)
	s_sub_i32 s3, s3, s7
	s_waitcnt lgkmcnt(0)
	s_mul_i32 s5, s3, s5
	s_mul_hi_u32 s6, s3, s4
	s_ashr_i32 s7, s3, 31
	s_add_i32 s5, s6, s5
	s_mul_i32 s7, s7, s4
	s_mul_i32 s3, s3, s4
	s_add_i32 s5, s5, s7
	s_add_u32 s40, s22, s3
	s_addc_u32 s41, s23, s5
.LBB72_2:
	s_clause 0x1
	s_load_b128 s[8:11], s[0:1], 0x40
	s_load_b64 s[22:23], s[0:1], 0x50
	v_mov_b32_e32 v50, 1.0
	s_waitcnt lgkmcnt(0)
	v_cmp_le_f32_e64 s3, s9, 0
	s_mul_hi_u32 s9, s43, s2
	s_delay_alu instid0(VALU_DEP_1)
	s_and_b32 vcc_lo, exec_lo, s3
	s_cbranch_vccnz .LBB72_4
; %bb.3:
	s_sub_i32 s2, s34, s22
	s_add_i32 s3, s34, 1
	s_lshl_b32 s2, s2, 1
	v_mov_b32_e32 v1, s10
	s_or_b32 s2, s2, 1
	s_cmp_lt_u32 s34, s22
	s_cselect_b32 vcc_lo, -1, 0
	s_delay_alu instid0(VALU_DEP_1)
	v_cndmask_b32_e32 v3, s11, v1, vcc_lo
	s_and_b32 s4, vcc_lo, exec_lo
	s_cselect_b32 s2, s3, s2
	s_mov_b32 s3, 0x3e76c4e1
	v_cvt_f32_i32_e32 v1, s2
	v_cmp_neq_f32_e32 vcc_lo, 1.0, v3
	s_delay_alu instid0(VALU_DEP_2) | instskip(NEXT) | instid1(VALU_DEP_1)
	v_cndmask_b32_e32 v4, 1.0, v1, vcc_lo
	v_cmp_eq_f32_e32 vcc_lo, 0, v4
	v_cndmask_b32_e64 v5, |v3|, 1.0, vcc_lo
	s_delay_alu instid0(VALU_DEP_1) | instskip(NEXT) | instid1(VALU_DEP_1)
	v_frexp_mant_f32_e32 v1, v5
	v_cmp_gt_f32_e64 s2, 0x3f2aaaab, v1
	s_delay_alu instid0(VALU_DEP_1) | instskip(NEXT) | instid1(VALU_DEP_1)
	v_cndmask_b32_e64 v2, 1.0, 2.0, s2
	v_mul_f32_e32 v1, v1, v2
	s_delay_alu instid0(VALU_DEP_1) | instskip(SKIP_1) | instid1(VALU_DEP_2)
	v_add_f32_e32 v2, 1.0, v1
	v_add_f32_e32 v7, -1.0, v1
	v_rcp_f32_e32 v6, v2
	s_waitcnt_depctr 0xfff
	v_mul_f32_e32 v8, v7, v6
	s_delay_alu instid0(VALU_DEP_1) | instskip(NEXT) | instid1(VALU_DEP_1)
	v_dual_add_f32 v9, -1.0, v2 :: v_dual_mul_f32 v10, v2, v8
	v_sub_f32_e32 v1, v1, v9
	v_cndmask_b32_e64 v3, v3, 1.0, vcc_lo
	s_delay_alu instid0(VALU_DEP_3) | instskip(NEXT) | instid1(VALU_DEP_2)
	v_fma_f32 v2, v8, v2, -v10
	v_cmp_eq_f32_e64 s4, 0, v3
	s_delay_alu instid0(VALU_DEP_2) | instskip(NEXT) | instid1(VALU_DEP_1)
	v_fmac_f32_e32 v2, v8, v1
	v_add_f32_e32 v1, v10, v2
	s_delay_alu instid0(VALU_DEP_1) | instskip(NEXT) | instid1(VALU_DEP_1)
	v_dual_sub_f32 v10, v1, v10 :: v_dual_sub_f32 v9, v7, v1
	v_dual_sub_f32 v2, v10, v2 :: v_dual_sub_f32 v7, v7, v9
	s_delay_alu instid0(VALU_DEP_1) | instskip(NEXT) | instid1(VALU_DEP_1)
	v_sub_f32_e32 v1, v7, v1
	v_add_f32_e32 v1, v2, v1
	s_delay_alu instid0(VALU_DEP_1) | instskip(NEXT) | instid1(VALU_DEP_1)
	v_add_f32_e32 v1, v9, v1
	v_mul_f32_e32 v1, v6, v1
	s_delay_alu instid0(VALU_DEP_1) | instskip(NEXT) | instid1(VALU_DEP_1)
	v_add_f32_e32 v6, v8, v1
	v_sub_f32_e32 v2, v6, v8
	v_mul_f32_e32 v7, v6, v6
	s_delay_alu instid0(VALU_DEP_2) | instskip(NEXT) | instid1(VALU_DEP_2)
	v_sub_f32_e32 v8, v1, v2
	v_fma_f32 v9, v6, v6, -v7
	s_delay_alu instid0(VALU_DEP_2) | instskip(NEXT) | instid1(VALU_DEP_1)
	v_add_f32_e32 v1, v8, v8
	v_fmac_f32_e32 v9, v6, v1
	v_cvt_f64_f32_e32 v[1:2], v5
	s_delay_alu instid0(VALU_DEP_2) | instskip(NEXT) | instid1(VALU_DEP_1)
	v_add_f32_e32 v10, v7, v9
	v_fmaak_f32 v11, s3, v10, 0x3e91f4c4
	v_sub_f32_e32 v7, v10, v7
	v_mul_f32_e32 v14, v6, v10
	s_delay_alu instid0(VALU_DEP_3) | instskip(NEXT) | instid1(VALU_DEP_3)
	v_fmaak_f32 v11, v10, v11, 0x3ecccdef
	v_sub_f32_e32 v7, v9, v7
	s_delay_alu instid0(VALU_DEP_2) | instskip(NEXT) | instid1(VALU_DEP_1)
	v_mul_f32_e32 v12, v10, v11
	v_fma_f32 v9, v10, v11, -v12
	s_delay_alu instid0(VALU_DEP_1) | instskip(NEXT) | instid1(VALU_DEP_1)
	v_fmac_f32_e32 v9, v7, v11
	v_add_f32_e32 v11, v12, v9
	v_frexp_exp_i32_f64_e32 v1, v[1:2]
	s_delay_alu instid0(VALU_DEP_2) | instskip(NEXT) | instid1(VALU_DEP_1)
	v_sub_f32_e32 v12, v11, v12
	v_sub_f32_e32 v2, v9, v12
	v_fma_f32 v12, v10, v6, -v14
	s_delay_alu instid0(VALU_DEP_2) | instskip(NEXT) | instid1(VALU_DEP_2)
	v_add_f32_e32 v2, 0x31739010, v2
	v_dual_add_f32 v13, 0x3f2aaaaa, v11 :: v_dual_fmac_f32 v12, v10, v8
	v_ldexp_f32 v8, v8, 1
	s_delay_alu instid0(VALU_DEP_2) | instskip(NEXT) | instid1(VALU_DEP_1)
	v_dual_add_f32 v9, 0xbf2aaaaa, v13 :: v_dual_fmac_f32 v12, v7, v6
	v_sub_f32_e32 v9, v11, v9
	s_delay_alu instid0(VALU_DEP_1) | instskip(NEXT) | instid1(VALU_DEP_3)
	v_add_f32_e32 v2, v2, v9
	v_add_f32_e32 v9, v14, v12
	s_delay_alu instid0(VALU_DEP_2) | instskip(NEXT) | instid1(VALU_DEP_1)
	v_add_f32_e32 v7, v13, v2
	v_sub_f32_e32 v10, v13, v7
	s_delay_alu instid0(VALU_DEP_3) | instskip(SKIP_2) | instid1(VALU_DEP_4)
	v_mul_f32_e32 v11, v9, v7
	v_sub_f32_e32 v13, v9, v14
	v_subrev_co_ci_u32_e64 v1, s2, 0, v1, s2
	v_add_f32_e32 v2, v2, v10
	s_delay_alu instid0(VALU_DEP_4) | instskip(NEXT) | instid1(VALU_DEP_4)
	v_fma_f32 v10, v9, v7, -v11
	v_sub_f32_e32 v12, v12, v13
	s_delay_alu instid0(VALU_DEP_4) | instskip(NEXT) | instid1(VALU_DEP_3)
	v_cvt_f32_i32_e32 v1, v1
	v_fmac_f32_e32 v10, v9, v2
	v_ldexp_f32 v2, v6, 1
	s_delay_alu instid0(VALU_DEP_2) | instskip(NEXT) | instid1(VALU_DEP_1)
	v_fmac_f32_e32 v10, v12, v7
	v_add_f32_e32 v6, v11, v10
	s_delay_alu instid0(VALU_DEP_1) | instskip(NEXT) | instid1(VALU_DEP_1)
	v_add_f32_e32 v7, v2, v6
	v_dual_sub_f32 v2, v7, v2 :: v_dual_sub_f32 v9, v6, v11
	s_delay_alu instid0(VALU_DEP_1) | instskip(NEXT) | instid1(VALU_DEP_2)
	v_sub_f32_e32 v2, v6, v2
	v_sub_f32_e32 v9, v10, v9
	s_delay_alu instid0(VALU_DEP_1) | instskip(NEXT) | instid1(VALU_DEP_1)
	v_add_f32_e32 v6, v8, v9
	v_dual_mul_f32 v11, 0x3f317218, v1 :: v_dual_add_f32 v2, v6, v2
	s_delay_alu instid0(VALU_DEP_1) | instskip(NEXT) | instid1(VALU_DEP_2)
	v_fma_f32 v10, 0x3f317218, v1, -v11
	v_add_f32_e32 v8, v7, v2
	s_delay_alu instid0(VALU_DEP_1) | instskip(NEXT) | instid1(VALU_DEP_1)
	v_sub_f32_e32 v7, v8, v7
	v_dual_fmamk_f32 v1, v1, 0xb102e308, v10 :: v_dual_sub_f32 v2, v2, v7
	s_delay_alu instid0(VALU_DEP_1) | instskip(NEXT) | instid1(VALU_DEP_1)
	v_add_f32_e32 v6, v11, v1
	v_add_f32_e32 v9, v6, v8
	s_delay_alu instid0(VALU_DEP_1) | instskip(NEXT) | instid1(VALU_DEP_1)
	v_dual_sub_f32 v11, v6, v11 :: v_dual_sub_f32 v10, v9, v6
	v_sub_f32_e32 v12, v9, v10
	s_delay_alu instid0(VALU_DEP_2) | instskip(NEXT) | instid1(VALU_DEP_2)
	v_sub_f32_e32 v1, v1, v11
	v_dual_sub_f32 v7, v8, v10 :: v_dual_sub_f32 v6, v6, v12
	s_delay_alu instid0(VALU_DEP_2) | instskip(NEXT) | instid1(VALU_DEP_2)
	v_add_f32_e32 v8, v1, v2
	v_add_f32_e32 v6, v7, v6
	s_delay_alu instid0(VALU_DEP_1) | instskip(NEXT) | instid1(VALU_DEP_1)
	v_add_f32_e32 v6, v8, v6
	v_dual_sub_f32 v7, v8, v1 :: v_dual_add_f32 v10, v9, v6
	s_delay_alu instid0(VALU_DEP_1) | instskip(SKIP_1) | instid1(VALU_DEP_3)
	v_sub_f32_e32 v8, v8, v7
	v_sub_f32_e32 v2, v2, v7
	;; [unrolled: 1-line block ×3, first 2 shown]
	s_delay_alu instid0(VALU_DEP_3) | instskip(NEXT) | instid1(VALU_DEP_1)
	v_sub_f32_e32 v1, v1, v8
	v_add_f32_e32 v1, v2, v1
	s_delay_alu instid0(VALU_DEP_3) | instskip(NEXT) | instid1(VALU_DEP_1)
	v_sub_f32_e32 v2, v6, v7
	v_add_f32_e32 v1, v1, v2
	s_delay_alu instid0(VALU_DEP_1) | instskip(NEXT) | instid1(VALU_DEP_1)
	v_add_f32_e32 v2, v10, v1
	v_mul_f32_e32 v7, v4, v2
	v_sub_f32_e32 v6, v2, v10
	s_delay_alu instid0(VALU_DEP_2) | instskip(NEXT) | instid1(VALU_DEP_2)
	v_fma_f32 v2, v4, v2, -v7
	v_sub_f32_e32 v1, v1, v6
	v_cmp_class_f32_e64 s2, v7, 0x204
	s_delay_alu instid0(VALU_DEP_2) | instskip(NEXT) | instid1(VALU_DEP_1)
	v_fmac_f32_e32 v2, v4, v1
	v_add_f32_e32 v1, v7, v2
	s_delay_alu instid0(VALU_DEP_1) | instskip(NEXT) | instid1(VALU_DEP_1)
	v_cndmask_b32_e64 v6, v1, v7, s2
	v_cmp_eq_f32_e64 s2, 0x42b17218, v6
	s_delay_alu instid0(VALU_DEP_1) | instskip(SKIP_1) | instid1(VALU_DEP_2)
	v_cndmask_b32_e64 v8, 0, 0x37000000, s2
	v_cmp_neq_f32_e64 s2, 0x7f800000, |v6|
	v_sub_f32_e32 v9, v6, v8
	v_trunc_f32_e32 v6, v4
	s_delay_alu instid0(VALU_DEP_2) | instskip(NEXT) | instid1(VALU_DEP_1)
	v_mul_f32_e32 v10, 0x3fb8aa3b, v9
	v_fma_f32 v11, 0x3fb8aa3b, v9, -v10
	v_rndne_f32_e32 v12, v10
	s_delay_alu instid0(VALU_DEP_1) | instskip(NEXT) | instid1(VALU_DEP_1)
	v_dual_fmamk_f32 v11, v9, 0x32a5705f, v11 :: v_dual_sub_f32 v10, v10, v12
	v_add_f32_e32 v10, v10, v11
	v_sub_f32_e32 v1, v1, v7
	v_cvt_i32_f32_e32 v7, v12
	s_delay_alu instid0(VALU_DEP_3) | instskip(NEXT) | instid1(VALU_DEP_2)
	v_exp_f32_e32 v10, v10
	v_sub_f32_e32 v1, v2, v1
	s_delay_alu instid0(VALU_DEP_1)
	v_cndmask_b32_e64 v1, 0, v1, s2
	v_cmp_ngt_f32_e64 s2, 0xc2ce8ed0, v9
	s_waitcnt_depctr 0xfff
	v_ldexp_f32 v2, v10, v7
	v_mul_f32_e32 v7, 0.5, v4
	v_add_f32_e32 v1, v8, v1
	s_delay_alu instid0(VALU_DEP_3) | instskip(NEXT) | instid1(VALU_DEP_3)
	v_cndmask_b32_e64 v2, 0, v2, s2
	v_trunc_f32_e32 v10, v7
	v_cmp_nlt_f32_e64 s2, 0x42b17218, v9
	s_delay_alu instid0(VALU_DEP_2) | instskip(NEXT) | instid1(VALU_DEP_2)
	v_cmp_neq_f32_e64 s3, v10, v7
	v_cndmask_b32_e64 v2, 0x7f800000, v2, s2
	v_cmp_eq_f32_e64 s2, v6, v4
	s_delay_alu instid0(VALU_DEP_2) | instskip(NEXT) | instid1(VALU_DEP_2)
	v_fma_f32 v1, v2, v1, v2
	s_and_b32 vcc_lo, s2, s3
	v_cmp_class_f32_e64 s3, v2, 0x204
	v_cndmask_b32_e32 v6, 1.0, v3, vcc_lo
	s_delay_alu instid0(VALU_DEP_2) | instskip(SKIP_1) | instid1(VALU_DEP_2)
	v_cndmask_b32_e64 v1, v1, v2, s3
	v_cmp_gt_f32_e64 s3, 0, v4
	v_bfi_b32 v1, 0x7fffffff, v1, v6
	s_delay_alu instid0(VALU_DEP_2)
	s_xor_b32 s3, s3, s4
	v_cndmask_b32_e32 v6, 0, v3, vcc_lo
	v_cndmask_b32_e64 v2, 0x7f800000, 0, s3
	v_cmp_eq_f32_e32 vcc_lo, 0x7f800000, v5
	v_cndmask_b32_e64 v4, 0x7fc00000, v1, s2
	v_cmp_gt_f32_e64 s2, 0, v3
	s_delay_alu instid0(VALU_DEP_4) | instskip(SKIP_1) | instid1(VALU_DEP_2)
	v_bfi_b32 v2, 0x7fffffff, v2, v6
	s_or_b32 vcc_lo, vcc_lo, s4
	v_cndmask_b32_e64 v1, v1, v4, s2
	s_delay_alu instid0(VALU_DEP_1) | instskip(SKIP_1) | instid1(VALU_DEP_2)
	v_cndmask_b32_e32 v1, v1, v2, vcc_lo
	v_cmp_o_f32_e32 vcc_lo, v3, v3
	v_cndmask_b32_e32 v50, 0x7fc00000, v1, vcc_lo
.LBB72_4:
	v_bfe_u32 v47, v0, 10, 10
	s_lshl_b32 s15, s13, 3
	s_load_b128 s[4:7], s[0:1], 0x70
	s_ashr_i32 s35, s34, 31
	s_ashr_i32 s10, s46, 31
	v_lshlrev_b32_e32 v41, 1, v47
	v_and_b32_e32 v43, 0x3ff, v0
	s_delay_alu instid0(VALU_DEP_2) | instskip(NEXT) | instid1(VALU_DEP_2)
	v_or_b32_e32 v38, 1, v41
	v_lshlrev_b32_e32 v16, 3, v43
	v_lshlrev_b32_e32 v51, 1, v43
	v_lshlrev_b32_e32 v40, 2, v43
	s_delay_alu instid0(VALU_DEP_4) | instskip(SKIP_2) | instid1(VALU_DEP_3)
	v_add_nc_u32_e32 v39, s15, v38
	v_lshlrev_b32_e32 v17, 7, v38
	v_lshl_or_b32 v16, v47, 10, v16
	v_mul_hi_u32 v2, v39, s36
	s_delay_alu instid0(VALU_DEP_3)
	v_add_lshl_u32 v18, v17, v51, 2
	s_waitcnt lgkmcnt(0)
	s_mul_i32 s2, s12, s6
	s_mul_i32 s3, s34, s5
	s_ashr_i32 s5, s2, 31
	s_add_u32 s2, s16, s2
	s_addc_u32 s5, s17, s5
	s_ashr_i32 s6, s3, 31
	v_add_nc_u32_e32 v2, v39, v2
	s_add_u32 s2, s2, s3
	s_addc_u32 s3, s5, s6
	s_ashr_i32 s5, s4, 31
	v_add_nc_u32_e32 v20, 0x4000, v16
	v_lshrrev_b32_e32 v2, s37, v2
	v_alignbit_b32 v5, s5, s4, 2
	s_lshr_b32 s4, s5, 2
	s_cmp_eq_u64 s[26:27], 0
	s_delay_alu instid0(VALU_DEP_2) | instskip(NEXT) | instid1(VALU_DEP_1)
	v_mul_lo_u32 v3, v2, s38
	v_sub_nc_u32_e32 v7, v39, v3
	s_delay_alu instid0(VALU_DEP_1) | instskip(NEXT) | instid1(VALU_DEP_1)
	v_mad_u64_u32 v[3:4], null, v5, v7, 0
	v_mov_b32_e32 v0, v4
	v_add_nc_u32_e32 v42, s15, v41
	s_delay_alu instid0(VALU_DEP_1) | instskip(NEXT) | instid1(VALU_DEP_1)
	v_mul_hi_u32 v1, v42, s36
	v_add_nc_u32_e32 v1, v42, v1
	s_delay_alu instid0(VALU_DEP_1) | instskip(NEXT) | instid1(VALU_DEP_1)
	v_lshrrev_b32_e32 v1, s37, v1
	v_mul_lo_u32 v1, v1, s38
	s_delay_alu instid0(VALU_DEP_1) | instskip(NEXT) | instid1(VALU_DEP_1)
	v_sub_nc_u32_e32 v59, v42, v1
	v_mad_u64_u32 v[1:2], null, v5, v59, 0
	s_delay_alu instid0(VALU_DEP_1) | instskip(SKIP_1) | instid1(VALU_DEP_1)
	v_mad_u64_u32 v[5:6], null, s4, v59, v[2:3]
	v_lshlrev_b32_e32 v6, 4, v43
	v_add_co_u32 v10, s2, s2, v6
	s_delay_alu instid0(VALU_DEP_3) | instskip(SKIP_2) | instid1(VALU_DEP_3)
	v_mov_b32_e32 v2, v5
	v_mad_u64_u32 v[4:5], null, s4, v7, v[0:1]
	v_add_co_ci_u32_e64 v11, null, s3, 0, s2
	v_lshlrev_b64 v[0:1], 2, v[1:2]
	s_mov_b32 s3, 0
	s_delay_alu instid0(VALU_DEP_3) | instskip(NEXT) | instid1(VALU_DEP_2)
	v_lshlrev_b64 v[8:9], 2, v[3:4]
	v_add_co_u32 v5, vcc_lo, v10, v0
	s_delay_alu instid0(VALU_DEP_3) | instskip(NEXT) | instid1(VALU_DEP_3)
	v_add_co_ci_u32_e32 v6, vcc_lo, v11, v1, vcc_lo
	v_add_co_u32 v12, vcc_lo, v10, v8
	s_delay_alu instid0(VALU_DEP_4)
	v_add_co_ci_u32_e32 v13, vcc_lo, v11, v9, vcc_lo
	s_clause 0x3
	global_load_b128 v[0:3], v[5:6], off
	global_load_b128 v[4:7], v[5:6], off offset:512
	global_load_b128 v[8:11], v[12:13], off
	global_load_b128 v[12:15], v[12:13], off offset:512
	s_waitcnt vmcnt(3)
	v_fma_mixlo_f16 v17, v2, s8, 0
	v_fma_mixlo_f16 v16, v0, s8, 0
	s_waitcnt vmcnt(2)
	v_fma_mixlo_f16 v19, v6, s8, 0
	v_add_nc_u32_e32 v6, 0x4000, v18
	v_fma_mixlo_f16 v18, v4, s8, 0
	v_fma_mixhi_f16 v17, v3, s8, 0
	v_fma_mixhi_f16 v16, v1, s8, 0
	s_waitcnt vmcnt(1)
	v_fma_mixlo_f16 v1, v10, s8, 0
	v_fma_mixlo_f16 v0, v8, s8, 0
	s_waitcnt vmcnt(0)
	v_fma_mixlo_f16 v3, v14, s8, 0
	v_fma_mixlo_f16 v2, v12, s8, 0
	v_fma_mixhi_f16 v19, v7, s8, 0
	v_fma_mixhi_f16 v18, v5, s8, 0
	;; [unrolled: 1-line block ×6, first 2 shown]
	ds_store_2addr_b64 v20, v[16:17], v[18:19] offset0:64 offset1:96
	ds_store_2addr_b64 v6, v[0:1], v[2:3] offset0:64 offset1:96
	s_waitcnt lgkmcnt(0)
	s_barrier
	buffer_gl0_inv
	s_cbranch_scc1 .LBB72_6
; %bb.5:
	s_load_b32 s2, s[0:1], 0xd0
	s_waitcnt lgkmcnt(0)
	s_mul_i32 s2, s2, s12
	s_delay_alu instid0(SALU_CYCLE_1) | instskip(NEXT) | instid1(SALU_CYCLE_1)
	s_add_i32 s2, s2, s13
	s_lshl_b64 s[2:3], s[2:3], 2
	s_delay_alu instid0(SALU_CYCLE_1)
	s_add_u32 s2, s26, s2
	s_addc_u32 s3, s27, s3
	s_load_b32 s42, s[2:3], 0x0
.LBB72_6:
	s_clause 0x2
	s_load_b64 s[2:3], s[0:1], 0x8c
	s_load_b128 s[4:7], s[0:1], 0x98
	s_load_b64 s[16:17], s[0:1], 0xa8
	s_ashr_i32 s11, s12, 31
	s_ashr_i32 s22, s45, 1
	s_mul_i32 s44, s9, s33
	v_dual_mov_b32 v61, 0 :: v_dual_mov_b32 v54, 0
	v_lshlrev_b32_e32 v48, 2, v40
	v_mul_u32_u24_e32 v60, 0x210, v43
	v_lshlrev_b32_e32 v46, 2, v51
	v_mbcnt_lo_u32_b32 v44, -1, 0
	s_mov_b32 s26, 0xfeffffff
	s_waitcnt lgkmcnt(0)
	s_ashr_i32 s8, s2, 2
	s_mul_i32 s2, s12, s5
	s_mul_hi_u32 s5, s12, s4
	s_ashr_i32 s13, s6, 2
	s_mul_i32 s6, s11, s4
	s_add_i32 s2, s5, s2
	s_mul_i32 s4, s12, s4
	s_add_i32 s2, s2, s6
	s_add_u32 s4, s18, s4
	s_addc_u32 s2, s19, s2
	s_sub_i32 s6, s43, s44
	s_xor_b32 s5, s35, s10
	s_add_i32 s10, s9, 1
	s_sub_i32 s18, s6, s33
	s_cmp_ge_u32 s6, s33
	s_mul_i32 s11, s11, s16
	s_cselect_b32 s9, s10, s9
	s_cselect_b32 s6, s18, s6
	s_add_i32 s10, s9, 1
	s_cmp_ge_u32 s6, s33
	s_mul_hi_u32 s6, s12, s16
	s_cselect_b32 s9, s10, s9
	s_mul_i32 s10, s12, s16
	s_xor_b32 s9, s9, s5
	v_mul_lo_u32 v4, s8, v47
	s_sub_i32 s16, s9, s5
	v_mul_lo_u32 v0, s13, v47
	s_mul_i32 s3, s16, s3
	s_mul_i32 s17, s12, s17
	s_ashr_i32 s9, s3, 31
	s_add_u32 s5, s4, s3
	s_addc_u32 s9, s2, s9
	s_add_i32 s2, s6, s17
	s_mul_i32 s16, s16, s7
	s_add_i32 s2, s2, s11
	s_add_u32 s3, s20, s10
	s_addc_u32 s2, s21, s2
	s_ashr_i32 s4, s16, 31
	s_add_u32 s16, s3, s16
	v_ashrrev_i32_e32 v5, 31, v4
	v_ashrrev_i32_e32 v1, 31, v0
	s_addc_u32 s17, s2, s4
	s_lshl_b32 s18, s14, 5
	s_sub_i32 s10, s42, 32
	s_delay_alu instid0(SALU_CYCLE_1)
	s_cmp_ge_i32 s18, s10
	s_cbranch_scc1 .LBB72_24
; %bb.7:
	s_lshl_b32 s2, s8, 2
	s_cmp_lg_u64 s[40:41], 0
	v_dual_mov_b32 v85, 0xfeffffff :: v_dual_add_nc_u32 v2, s2, v4
	s_cselect_b32 s11, -1, 0
	s_lshl_b32 s3, s13, 2
	v_or_b32_e32 v6, 1, v42
	v_add_nc_u32_e32 v24, s3, v0
	v_dual_mov_b32 v45, 0 :: v_dual_add_nc_u32 v10, s2, v2
	v_mad_u32_u24 v62, 0x210, v47, v48
	s_delay_alu instid0(VALU_DEP_4) | instskip(NEXT) | instid1(VALU_DEP_4)
	v_mul_hi_u32 v3, s36, v6
	v_add_nc_u32_e32 v26, s3, v24
	s_delay_alu instid0(VALU_DEP_4) | instskip(SKIP_2) | instid1(VALU_DEP_4)
	v_dual_mov_b32 v53, 0 :: v_dual_add_nc_u32 v12, s2, v10
	v_mov_b32_e32 v58, 0
	v_ashrrev_i32_e32 v11, 31, v10
	v_add_nc_u32_e32 v28, s3, v26
	s_delay_alu instid0(VALU_DEP_4) | instskip(SKIP_2) | instid1(VALU_DEP_4)
	v_dual_mov_b32 v57, 0 :: v_dual_add_nc_u32 v14, s2, v12
	v_add_nc_u32_e32 v3, v6, v3
	v_ashrrev_i32_e32 v13, 31, v12
	v_add_nc_u32_e32 v30, s3, v28
	s_delay_alu instid0(VALU_DEP_4)
	v_add_nc_u32_e32 v16, s2, v14
	v_ashrrev_i32_e32 v15, 31, v14
	v_lshrrev_b32_e32 v3, s37, v3
	v_ashrrev_i32_e32 v25, 31, v24
	v_add_nc_u32_e32 v32, s3, v30
	v_add_nc_u32_e32 v18, s2, v16
	v_ashrrev_i32_e32 v17, 31, v16
	v_mul_lo_u32 v7, v3, s38
	v_ashrrev_i32_e32 v3, 31, v2
	v_add_nc_u32_e32 v34, s3, v32
	v_add_nc_u32_e32 v20, s2, v18
	v_ashrrev_i32_e32 v19, 31, v18
	v_ashrrev_i32_e32 v27, 31, v26
	;; [unrolled: 1-line block ×3, first 2 shown]
	v_add_nc_u32_e32 v36, s3, v34
	v_sub_nc_u32_e32 v6, v6, v7
	v_ashrrev_i32_e32 v21, 31, v20
	v_ashrrev_i32_e32 v31, 31, v30
	;; [unrolled: 1-line block ×5, first 2 shown]
	v_lshl_add_u32 v64, v47, 7, 0x5200
	v_lshl_add_u32 v65, v47, 9, v48
	v_mul_lo_u32 v73, v59, s22
	v_mul_lo_u32 v74, v6, s22
	v_lshlrev_b64 v[6:7], 2, v[4:5]
	v_lshlrev_b64 v[8:9], 2, v[2:3]
	;; [unrolled: 1-line block ×16, first 2 shown]
	v_lshl_add_u32 v63, v47, 10, 0x4200
	v_dual_mov_b32 v55, 0 :: v_dual_add_nc_u32 v66, 0x840, v62
	v_dual_mov_b32 v52, 0 :: v_dual_add_nc_u32 v67, 0x1080, v62
	;; [unrolled: 1-line block ×4, first 2 shown]
	v_add_nc_u32_e32 v70, 0x2940, v62
	v_dual_mov_b32 v54, 0 :: v_dual_add_nc_u32 v71, 0x3180, v62
	v_add_nc_u32_e32 v72, 0x39c0, v62
	v_lshl_add_u32 v75, v51, 1, v64
	v_add_nc_u32_e32 v76, 0x800, v65
	v_dual_mov_b32 v84, 0 :: v_dual_add_nc_u32 v77, 0x1000, v65
	v_add_nc_u32_e32 v78, 0x1800, v65
	v_add_nc_u32_e32 v79, 0x2000, v65
	v_add_nc_u32_e32 v80, 0x2800, v65
	v_add_nc_u32_e32 v81, 0x3000, v65
	v_add_nc_u32_e32 v82, 0x3800, v65
	v_mbcnt_lo_u32_b32 v83, -1, 0
	v_mov_b32_e32 v86, 0xfeffffff
	s_add_u32 s6, s0, 0xd0
	s_addc_u32 s7, s1, 0
	s_mov_b32 s19, 0xbbbac73d
.LBB72_8:                               ; =>This Inner Loop Header: Depth=1
	s_mul_hi_i32 s3, s18, s8
	s_mul_i32 s2, s18, s8
	s_delay_alu instid0(SALU_CYCLE_1) | instskip(NEXT) | instid1(SALU_CYCLE_1)
	s_lshl_b64 s[2:3], s[2:3], 2
	s_add_u32 s2, s5, s2
	s_addc_u32 s3, s9, s3
	v_add_co_u32 v2, vcc_lo, s2, v6
	v_add_co_ci_u32_e32 v3, vcc_lo, s3, v7, vcc_lo
	v_add_co_u32 v61, vcc_lo, s2, v8
	v_add_co_ci_u32_e32 v87, vcc_lo, s3, v9, vcc_lo
	s_delay_alu instid0(VALU_DEP_4) | instskip(NEXT) | instid1(VALU_DEP_4)
	v_add_co_u32 v2, vcc_lo, v2, v48
	v_add_co_ci_u32_e32 v3, vcc_lo, 0, v3, vcc_lo
	s_delay_alu instid0(VALU_DEP_4) | instskip(NEXT) | instid1(VALU_DEP_4)
	v_add_co_u32 v91, vcc_lo, v61, v48
	v_add_co_ci_u32_e32 v92, vcc_lo, 0, v87, vcc_lo
	s_clause 0x1
	global_load_b128 v[87:90], v[2:3], off
	global_load_b128 v[91:94], v[91:92], off
	v_add_co_u32 v2, vcc_lo, s2, v10
	v_add_co_ci_u32_e32 v3, vcc_lo, s3, v11, vcc_lo
	v_add_co_u32 v61, vcc_lo, s2, v12
	v_add_co_ci_u32_e32 v95, vcc_lo, s3, v13, vcc_lo
	s_delay_alu instid0(VALU_DEP_4) | instskip(NEXT) | instid1(VALU_DEP_4)
	v_add_co_u32 v2, vcc_lo, v2, v48
	v_add_co_ci_u32_e32 v3, vcc_lo, 0, v3, vcc_lo
	s_delay_alu instid0(VALU_DEP_4) | instskip(NEXT) | instid1(VALU_DEP_4)
	v_add_co_u32 v99, vcc_lo, v61, v48
	v_add_co_ci_u32_e32 v100, vcc_lo, 0, v95, vcc_lo
	v_add_co_u32 v61, vcc_lo, s2, v14
	v_add_co_ci_u32_e32 v95, vcc_lo, s3, v15, vcc_lo
	v_add_co_u32 v96, vcc_lo, s2, v16
	v_add_co_ci_u32_e32 v97, vcc_lo, s3, v17, vcc_lo
	s_delay_alu instid0(VALU_DEP_4) | instskip(NEXT) | instid1(VALU_DEP_4)
	v_add_co_u32 v103, vcc_lo, v61, v48
	v_add_co_ci_u32_e32 v104, vcc_lo, 0, v95, vcc_lo
	s_delay_alu instid0(VALU_DEP_4) | instskip(NEXT) | instid1(VALU_DEP_4)
	v_add_co_u32 v107, vcc_lo, v96, v48
	v_add_co_ci_u32_e32 v108, vcc_lo, 0, v97, vcc_lo
	;; [unrolled: 10-line block ×3, first 2 shown]
	s_clause 0x5
	global_load_b128 v[95:98], v[2:3], off
	global_load_b128 v[99:102], v[99:100], off
	;; [unrolled: 1-line block ×6, first 2 shown]
	v_dual_mov_b32 v3, 0 :: v_dual_mov_b32 v2, 0
	s_waitcnt vmcnt(7)
	ds_store_b128 v62, v[87:90]
	s_waitcnt vmcnt(6)
	ds_store_b128 v66, v[91:94]
	;; [unrolled: 2-line block ×8, first 2 shown]
	s_waitcnt lgkmcnt(0)
	s_barrier
	buffer_gl0_inv
	ds_load_b128 v[87:90], v60
	ds_load_b128 v[91:94], v63
	ds_load_b128 v[95:98], v63 offset:512
	s_waitcnt lgkmcnt(1)
	;;#ASMSTART
	v_dot2_f32_f16 v3, v87, v91, v3
	;;#ASMEND
	;;#ASMSTART
	v_dot2_f32_f16 v3, v88, v92, v3
	;;#ASMEND
	;;#ASMSTART
	v_dot2_f32_f16 v3, v89, v93, v3
	;;#ASMEND
	;;#ASMSTART
	v_dot2_f32_f16 v3, v90, v94, v3
	;;#ASMEND
	s_waitcnt lgkmcnt(0)
	;;#ASMSTART
	v_dot2_f32_f16 v2, v87, v95, v2
	;;#ASMEND
	;;#ASMSTART
	v_dot2_f32_f16 v2, v88, v96, v2
	;;#ASMEND
	;;#ASMSTART
	v_dot2_f32_f16 v2, v89, v97, v2
	;;#ASMEND
	;;#ASMSTART
	v_dot2_f32_f16 v2, v90, v98, v2
	;;#ASMEND
	ds_load_b128 v[87:90], v60 offset:16
	ds_load_b128 v[91:94], v63 offset:16
	ds_load_b128 v[95:98], v63 offset:528
	s_waitcnt lgkmcnt(1)
	;;#ASMSTART
	v_dot2_f32_f16 v3, v87, v91, v3
	;;#ASMEND
	;;#ASMSTART
	v_dot2_f32_f16 v3, v88, v92, v3
	;;#ASMEND
	;;#ASMSTART
	v_dot2_f32_f16 v3, v89, v93, v3
	;;#ASMEND
	;;#ASMSTART
	v_dot2_f32_f16 v3, v90, v94, v3
	;;#ASMEND
	s_waitcnt lgkmcnt(0)
	;;#ASMSTART
	v_dot2_f32_f16 v2, v87, v95, v2
	;;#ASMEND
	;;#ASMSTART
	v_dot2_f32_f16 v2, v88, v96, v2
	;;#ASMEND
	;;#ASMSTART
	v_dot2_f32_f16 v2, v89, v97, v2
	;;#ASMEND
	;;#ASMSTART
	v_dot2_f32_f16 v2, v90, v98, v2
	;;#ASMEND
	ds_load_b128 v[87:90], v60 offset:32
	ds_load_b128 v[91:94], v63 offset:32
	;; [unrolled: 29-line block ×31, first 2 shown]
	ds_load_b128 v[95:98], v63 offset:1008
	s_waitcnt lgkmcnt(1)
	;;#ASMSTART
	v_dot2_f32_f16 v3, v87, v91, v3
	;;#ASMEND
	;;#ASMSTART
	v_dot2_f32_f16 v3, v88, v92, v3
	;;#ASMEND
	;; [unrolled: 3-line block ×4, first 2 shown]
	v_cmp_ngt_f32_e64 s2, 0x3f200000, |v3|
	s_waitcnt lgkmcnt(0)
	;;#ASMSTART
	v_dot2_f32_f16 v2, v87, v95, v2
	;;#ASMEND
	;;#ASMSTART
	v_dot2_f32_f16 v2, v88, v96, v2
	;;#ASMEND
	;; [unrolled: 3-line block ×4, first 2 shown]
                                        ; implicit-def: $vgpr88
	s_and_saveexec_b32 s3, s2
	s_delay_alu instid0(SALU_CYCLE_1)
	s_xor_b32 s2, exec_lo, s3
	s_cbranch_execnz .LBB72_12
; %bb.9:                                ;   in Loop: Header=BB72_8 Depth=1
	s_and_not1_saveexec_b32 s2, s2
	s_cbranch_execnz .LBB72_13
.LBB72_10:                              ;   in Loop: Header=BB72_8 Depth=1
	s_or_b32 exec_lo, exec_lo, s2
	v_add_nc_u32_e32 v87, s18, v43
	s_and_not1_b32 vcc_lo, exec_lo, s11
	s_cbranch_vccnz .LBB72_14
.LBB72_11:                              ;   in Loop: Header=BB72_8 Depth=1
	s_delay_alu instid0(VALU_DEP_1) | instskip(NEXT) | instid1(VALU_DEP_1)
	v_add_nc_u32_e32 v89, v87, v73
	v_ashrrev_i32_e32 v90, 31, v89
	s_delay_alu instid0(VALU_DEP_1) | instskip(NEXT) | instid1(VALU_DEP_1)
	v_lshlrev_b64 v[89:90], 1, v[89:90]
	v_add_co_u32 v89, vcc_lo, s40, v89
	s_delay_alu instid0(VALU_DEP_2) | instskip(SKIP_3) | instid1(VALU_DEP_1)
	v_add_co_ci_u32_e32 v90, vcc_lo, s41, v90, vcc_lo
	flat_load_u16 v61, v[89:90]
	s_waitcnt vmcnt(0) lgkmcnt(0)
	v_cvt_f32_f16_e32 v61, v61
	v_mul_f32_e32 v61, v50, v61
	s_branch .LBB72_15
.LBB72_12:                              ;   in Loop: Header=BB72_8 Depth=1
	v_add_f32_e64 v61, |v3|, |v3|
	s_delay_alu instid0(VALU_DEP_1) | instskip(SKIP_1) | instid1(VALU_DEP_2)
	v_mul_f32_e32 v87, 0x3fb8aa3b, v61
	v_cmp_ngt_f32_e32 vcc_lo, 0xc2ce8ed0, v61
	v_rndne_f32_e32 v88, v87
	v_fma_f32 v89, 0x3fb8aa3b, v61, -v87
	s_delay_alu instid0(VALU_DEP_2) | instskip(NEXT) | instid1(VALU_DEP_2)
	v_sub_f32_e32 v87, v87, v88
	v_fmac_f32_e32 v89, 0x32a5705f, v61
	v_cvt_i32_f32_e32 v88, v88
	s_delay_alu instid0(VALU_DEP_2) | instskip(NEXT) | instid1(VALU_DEP_1)
	v_add_f32_e32 v87, v87, v89
	v_exp_f32_e32 v87, v87
	s_waitcnt_depctr 0xfff
	v_ldexp_f32 v87, v87, v88
	s_delay_alu instid0(VALU_DEP_1) | instskip(SKIP_1) | instid1(VALU_DEP_2)
	v_cndmask_b32_e32 v87, 0, v87, vcc_lo
	v_cmp_nlt_f32_e32 vcc_lo, 0x42b17218, v61
	v_cndmask_b32_e32 v61, 0x7f800000, v87, vcc_lo
	s_delay_alu instid0(VALU_DEP_1) | instskip(NEXT) | instid1(VALU_DEP_1)
	v_add_f32_e32 v61, 1.0, v61
	v_rcp_f32_e32 v61, v61
	s_waitcnt_depctr 0xfff
	v_fma_f32 v88, v61, -2.0, 1.0
	s_and_not1_saveexec_b32 s2, s2
	s_cbranch_execz .LBB72_10
.LBB72_13:                              ;   in Loop: Header=BB72_8 Depth=1
	v_mul_f32_e32 v61, v3, v3
	s_delay_alu instid0(VALU_DEP_1) | instskip(NEXT) | instid1(VALU_DEP_1)
	v_fmaak_f32 v87, s19, v61, 0x3ca908c9
	v_fmaak_f32 v87, v61, v87, 0xbd5c1c4e
	s_delay_alu instid0(VALU_DEP_1) | instskip(NEXT) | instid1(VALU_DEP_1)
	v_fmaak_f32 v87, v61, v87, 0x3e088382
	v_fmaak_f32 v87, v61, v87, 0xbeaaaa99
	s_delay_alu instid0(VALU_DEP_1) | instskip(NEXT) | instid1(VALU_DEP_1)
	v_mul_f32_e64 v87, |v3|, v87
	v_fma_f32 v88, v61, v87, |v3|
	s_or_b32 exec_lo, exec_lo, s2
	v_add_nc_u32_e32 v87, s18, v43
	s_and_not1_b32 vcc_lo, exec_lo, s11
	s_cbranch_vccz .LBB72_11
.LBB72_14:                              ;   in Loop: Header=BB72_8 Depth=1
	v_mov_b32_e32 v61, 0
.LBB72_15:                              ;   in Loop: Header=BB72_8 Depth=1
	v_bfi_b32 v3, 0x7fffffff, v88, v3
	v_xor_b32_e32 v88, 16, v83
	v_xor_b32_e32 v90, 8, v83
	v_cmp_ngt_f32_e64 s2, 0x3f200000, |v2|
                                        ; implicit-def: $vgpr94
	s_delay_alu instid0(VALU_DEP_4) | instskip(NEXT) | instid1(VALU_DEP_4)
	v_fmac_f32_e32 v61, s23, v3
	v_cmp_gt_i32_e32 vcc_lo, 32, v88
	v_cndmask_b32_e32 v3, v83, v88, vcc_lo
	v_cmp_gt_i32_e32 vcc_lo, 32, v90
	v_cndmask_b32_e32 v90, v83, v90, vcc_lo
	v_add_f32_e32 v88, 0x40051340, v61
	v_max_f32_e32 v89, v85, v85
	v_lshlrev_b32_e32 v3, 2, v3
	s_delay_alu instid0(VALU_DEP_2) | instskip(SKIP_3) | instid1(VALU_DEP_1)
	v_max_f32_e32 v89, v89, v88
	ds_bpermute_b32 v88, v3, v89
	s_waitcnt lgkmcnt(0)
	v_dual_max_f32 v91, v88, v88 :: v_dual_lshlrev_b32 v88, 2, v90
	v_max_f32_e32 v90, v89, v91
	v_xor_b32_e32 v91, 4, v83
	ds_bpermute_b32 v89, v88, v90
	v_cmp_gt_i32_e32 vcc_lo, 32, v91
	s_waitcnt lgkmcnt(0)
	v_dual_max_f32 v92, v89, v89 :: v_dual_cndmask_b32 v91, v83, v91
	s_delay_alu instid0(VALU_DEP_1) | instskip(SKIP_1) | instid1(VALU_DEP_1)
	v_max_f32_e32 v90, v90, v92
	v_xor_b32_e32 v92, 2, v83
	v_cmp_gt_i32_e32 vcc_lo, 32, v92
	s_delay_alu instid0(VALU_DEP_4) | instskip(SKIP_3) | instid1(VALU_DEP_1)
	v_dual_cndmask_b32 v92, v83, v92 :: v_dual_lshlrev_b32 v89, 2, v91
	ds_bpermute_b32 v91, v89, v90
	s_waitcnt lgkmcnt(0)
	v_max_f32_e32 v93, v91, v91
	v_dual_max_f32 v90, v90, v93 :: v_dual_lshlrev_b32 v91, 2, v92
	v_xor_b32_e32 v93, 1, v83
	ds_bpermute_b32 v92, v91, v90
	v_cmp_gt_i32_e32 vcc_lo, 32, v93
	s_waitcnt lgkmcnt(0)
	v_dual_max_f32 v92, v92, v92 :: v_dual_cndmask_b32 v93, v83, v93
	s_delay_alu instid0(VALU_DEP_1) | instskip(SKIP_2) | instid1(SALU_CYCLE_1)
	v_dual_max_f32 v90, v90, v92 :: v_dual_lshlrev_b32 v93, 2, v93
	ds_bpermute_b32 v92, v93, v90
	s_and_saveexec_b32 s3, s2
	s_xor_b32 s2, exec_lo, s3
	s_cbranch_execnz .LBB72_19
; %bb.16:                               ;   in Loop: Header=BB72_8 Depth=1
	s_and_not1_saveexec_b32 s2, s2
	s_cbranch_execnz .LBB72_20
.LBB72_17:                              ;   in Loop: Header=BB72_8 Depth=1
	s_or_b32 exec_lo, exec_lo, s2
	s_delay_alu instid0(SALU_CYCLE_1)
	s_and_not1_b32 vcc_lo, exec_lo, s11
	s_cbranch_vccnz .LBB72_21
.LBB72_18:                              ;   in Loop: Header=BB72_8 Depth=1
	v_add_nc_u32_e32 v95, v87, v74
	s_delay_alu instid0(VALU_DEP_1) | instskip(NEXT) | instid1(VALU_DEP_1)
	v_ashrrev_i32_e32 v96, 31, v95
	v_lshlrev_b64 v[95:96], 1, v[95:96]
	s_delay_alu instid0(VALU_DEP_1) | instskip(NEXT) | instid1(VALU_DEP_2)
	v_add_co_u32 v95, vcc_lo, s40, v95
	v_add_co_ci_u32_e32 v96, vcc_lo, s41, v96, vcc_lo
	flat_load_u16 v87, v[95:96]
	s_waitcnt vmcnt(0) lgkmcnt(0)
	v_cvt_f32_f16_e32 v87, v87
	s_delay_alu instid0(VALU_DEP_1)
	v_mul_f32_e32 v87, v50, v87
	s_branch .LBB72_22
.LBB72_19:                              ;   in Loop: Header=BB72_8 Depth=1
	v_add_f32_e64 v94, |v2|, |v2|
	s_delay_alu instid0(VALU_DEP_1) | instskip(SKIP_1) | instid1(VALU_DEP_2)
	v_mul_f32_e32 v95, 0x3fb8aa3b, v94
	v_cmp_ngt_f32_e32 vcc_lo, 0xc2ce8ed0, v94
	v_rndne_f32_e32 v96, v95
	v_fma_f32 v97, 0x3fb8aa3b, v94, -v95
	s_delay_alu instid0(VALU_DEP_2) | instskip(NEXT) | instid1(VALU_DEP_2)
	v_sub_f32_e32 v95, v95, v96
	v_fmac_f32_e32 v97, 0x32a5705f, v94
	v_cvt_i32_f32_e32 v96, v96
	s_delay_alu instid0(VALU_DEP_2) | instskip(NEXT) | instid1(VALU_DEP_1)
	v_add_f32_e32 v95, v95, v97
	v_exp_f32_e32 v95, v95
	s_waitcnt_depctr 0xfff
	v_ldexp_f32 v95, v95, v96
	s_delay_alu instid0(VALU_DEP_1) | instskip(SKIP_1) | instid1(VALU_DEP_2)
	v_cndmask_b32_e32 v95, 0, v95, vcc_lo
	v_cmp_nlt_f32_e32 vcc_lo, 0x42b17218, v94
	v_cndmask_b32_e32 v94, 0x7f800000, v95, vcc_lo
	s_delay_alu instid0(VALU_DEP_1) | instskip(NEXT) | instid1(VALU_DEP_1)
	v_add_f32_e32 v94, 1.0, v94
	v_rcp_f32_e32 v94, v94
	s_waitcnt_depctr 0xfff
	v_fma_f32 v94, v94, -2.0, 1.0
	s_and_not1_saveexec_b32 s2, s2
	s_cbranch_execz .LBB72_17
.LBB72_20:                              ;   in Loop: Header=BB72_8 Depth=1
	v_mul_f32_e32 v94, v2, v2
	s_delay_alu instid0(VALU_DEP_1) | instskip(NEXT) | instid1(VALU_DEP_1)
	v_fmaak_f32 v95, s19, v94, 0x3ca908c9
	v_fmaak_f32 v95, v94, v95, 0xbd5c1c4e
	s_delay_alu instid0(VALU_DEP_1) | instskip(NEXT) | instid1(VALU_DEP_1)
	v_fmaak_f32 v95, v94, v95, 0x3e088382
	v_fmaak_f32 v95, v94, v95, 0xbeaaaa99
	s_delay_alu instid0(VALU_DEP_1) | instskip(NEXT) | instid1(VALU_DEP_1)
	v_mul_f32_e64 v95, |v2|, v95
	v_fma_f32 v94, v94, v95, |v2|
	s_or_b32 exec_lo, exec_lo, s2
	s_delay_alu instid0(SALU_CYCLE_1)
	s_and_not1_b32 vcc_lo, exec_lo, s11
	s_cbranch_vccz .LBB72_18
.LBB72_21:                              ;   in Loop: Header=BB72_8 Depth=1
	v_mov_b32_e32 v87, 0
.LBB72_22:                              ;   in Loop: Header=BB72_8 Depth=1
	v_bfi_b32 v2, 0x7fffffff, v94, v2
	s_waitcnt lgkmcnt(0)
	s_barrier
	buffer_gl0_inv
	v_fmac_f32_e32 v87, s23, v2
	v_max_f32_e32 v2, v86, v86
	s_delay_alu instid0(VALU_DEP_2) | instskip(NEXT) | instid1(VALU_DEP_1)
	v_add_f32_e32 v94, 0x40051340, v87
	v_max_f32_e32 v2, v2, v94
	ds_bpermute_b32 v3, v3, v2
	s_waitcnt lgkmcnt(0)
	v_max_f32_e32 v3, v3, v3
	s_delay_alu instid0(VALU_DEP_1) | instskip(SKIP_3) | instid1(VALU_DEP_1)
	v_max_f32_e32 v2, v2, v3
	ds_bpermute_b32 v3, v88, v2
	s_waitcnt lgkmcnt(0)
	v_dual_max_f32 v88, v92, v92 :: v_dual_max_f32 v3, v3, v3
	v_max_f32_e32 v2, v2, v3
	ds_bpermute_b32 v3, v89, v2
	v_max_f32_e32 v89, v90, v90
	s_waitcnt lgkmcnt(0)
	v_max_f32_e32 v3, v3, v3
	s_delay_alu instid0(VALU_DEP_1) | instskip(SKIP_3) | instid1(VALU_DEP_1)
	v_max_f32_e32 v2, v2, v3
	ds_bpermute_b32 v3, v91, v2
	s_waitcnt lgkmcnt(0)
	v_max_f32_e32 v3, v3, v3
	v_max_f32_e32 v3, v2, v3
	ds_bpermute_b32 v2, v93, v3
	s_waitcnt lgkmcnt(0)
	v_max_f32_e32 v90, v2, v2
	s_delay_alu instid0(VALU_DEP_1) | instskip(NEXT) | instid1(VALU_DEP_1)
	v_dual_max_f32 v2, v89, v88 :: v_dual_max_f32 v3, v3, v90
	v_sub_f32_e32 v61, v61, v2
	v_sub_f32_e32 v85, v85, v2
	s_delay_alu instid0(VALU_DEP_2) | instskip(SKIP_3) | instid1(VALU_DEP_4)
	v_dual_sub_f32 v87, v87, v3 :: v_dual_mul_f32 v88, 0x3fb8aa3b, v61
	v_cmp_ngt_f32_e32 vcc_lo, 0xc2ce8ed0, v61
	v_cmp_nlt_f32_e64 s2, 0x42b17218, v61
	v_sub_f32_e32 v86, v86, v3
	v_cmp_ngt_f32_e64 s3, 0xc2ce8ed0, v87
	v_fma_f32 v89, 0x3fb8aa3b, v61, -v88
	v_cmp_nlt_f32_e64 s4, 0x42b17218, v87
	s_delay_alu instid0(VALU_DEP_2) | instskip(SKIP_1) | instid1(VALU_DEP_1)
	v_fmac_f32_e32 v89, 0x32a5705f, v61
	v_rndne_f32_e32 v61, v88
	v_sub_f32_e32 v88, v88, v61
	v_cvt_i32_f32_e32 v61, v61
	s_delay_alu instid0(VALU_DEP_2) | instskip(NEXT) | instid1(VALU_DEP_1)
	v_dual_add_f32 v88, v88, v89 :: v_dual_mul_f32 v89, 0x3fb8aa3b, v87
	v_exp_f32_e32 v88, v88
	s_delay_alu instid0(VALU_DEP_1) | instskip(SKIP_1) | instid1(VALU_DEP_1)
	v_fma_f32 v90, 0x3fb8aa3b, v87, -v89
	v_rndne_f32_e32 v91, v89
	v_sub_f32_e32 v89, v89, v91
	s_waitcnt_depctr 0xfff
	v_ldexp_f32 v61, v88, v61
	s_delay_alu instid0(VALU_DEP_1) | instskip(NEXT) | instid1(VALU_DEP_1)
	v_dual_fmac_f32 v90, 0x32a5705f, v87 :: v_dual_cndmask_b32 v61, 0, v61
	v_add_f32_e32 v89, v89, v90
	s_delay_alu instid0(VALU_DEP_2) | instskip(NEXT) | instid1(VALU_DEP_2)
	v_cndmask_b32_e64 v87, 0x7f800000, v61, s2
	v_exp_f32_e32 v88, v89
	v_cvt_i32_f32_e32 v89, v91
	s_mul_i32 s2, s18, s13
	s_waitcnt_depctr 0xfff
	v_ldexp_f32 v88, v88, v89
	s_delay_alu instid0(VALU_DEP_1) | instskip(SKIP_1) | instid1(SALU_CYCLE_1)
	v_cndmask_b32_e64 v88, 0, v88, s3
	s_mul_hi_i32 s3, s18, s13
	s_lshl_b64 s[2:3], s[2:3], 2
	s_delay_alu instid0(VALU_DEP_1)
	v_cndmask_b32_e64 v61, 0x7f800000, v88, s4
	v_cvt_f16_f32_e32 v88, v87
	s_add_u32 s2, s16, s2
	s_addc_u32 s3, s17, s3
	v_cmp_nlt_f32_e64 s4, 0x42b17218, v86
	v_cvt_f16_f32_e32 v89, v61
	s_delay_alu instid0(VALU_DEP_1)
	v_pack_b32_f16 v90, v88, v89
	v_add_co_u32 v88, vcc_lo, s2, v22
	v_add_co_ci_u32_e32 v89, vcc_lo, s3, v23, vcc_lo
	ds_store_b32 v75, v90
	v_add_co_u32 v88, vcc_lo, v88, v48
	v_add_co_ci_u32_e32 v89, vcc_lo, 0, v89, vcc_lo
	global_load_b128 v[88:91], v[88:89], off
	s_waitcnt vmcnt(0)
	ds_store_b128 v65, v[88:91]
	v_add_co_u32 v88, vcc_lo, s2, v24
	v_add_co_ci_u32_e32 v89, vcc_lo, s3, v25, vcc_lo
	s_delay_alu instid0(VALU_DEP_2) | instskip(NEXT) | instid1(VALU_DEP_2)
	v_add_co_u32 v88, vcc_lo, v88, v48
	v_add_co_ci_u32_e32 v89, vcc_lo, 0, v89, vcc_lo
	global_load_b128 v[88:91], v[88:89], off
	s_waitcnt vmcnt(0)
	ds_store_b128 v76, v[88:91]
	v_add_co_u32 v88, vcc_lo, s2, v26
	v_add_co_ci_u32_e32 v89, vcc_lo, s3, v27, vcc_lo
	s_delay_alu instid0(VALU_DEP_2) | instskip(NEXT) | instid1(VALU_DEP_2)
	;; [unrolled: 8-line block ×6, first 2 shown]
	v_add_co_u32 v88, vcc_lo, v88, v48
	v_add_co_ci_u32_e32 v89, vcc_lo, 0, v89, vcc_lo
	global_load_b128 v[88:91], v[88:89], off
	s_waitcnt vmcnt(0)
	ds_store_b128 v81, v[88:91]
	v_add_co_u32 v88, vcc_lo, s2, v36
	v_add_co_ci_u32_e32 v89, vcc_lo, s3, v37, vcc_lo
	v_cmp_nlt_f32_e64 s2, 0x42b17218, v85
	s_delay_alu instid0(VALU_DEP_3) | instskip(NEXT) | instid1(VALU_DEP_3)
	v_add_co_u32 v88, vcc_lo, v88, v48
	v_add_co_ci_u32_e32 v89, vcc_lo, 0, v89, vcc_lo
	v_cmp_ngt_f32_e32 vcc_lo, 0xc2ce8ed0, v85
	v_cmp_ngt_f32_e64 s3, 0xc2ce8ed0, v86
	global_load_b128 v[88:91], v[88:89], off
	s_waitcnt vmcnt(0)
	ds_store_b128 v82, v[88:91]
	v_mul_f32_e32 v88, 0x3fb8aa3b, v85
	s_waitcnt lgkmcnt(0)
	s_barrier
	buffer_gl0_inv
	v_fma_f32 v89, 0x3fb8aa3b, v85, -v88
	s_delay_alu instid0(VALU_DEP_1) | instskip(SKIP_1) | instid1(VALU_DEP_1)
	v_fmac_f32_e32 v89, 0x32a5705f, v85
	v_rndne_f32_e32 v85, v88
	v_sub_f32_e32 v88, v88, v85
	v_cvt_i32_f32_e32 v85, v85
	s_delay_alu instid0(VALU_DEP_2) | instskip(NEXT) | instid1(VALU_DEP_1)
	v_dual_add_f32 v88, v88, v89 :: v_dual_mul_f32 v89, 0x3fb8aa3b, v86
	v_exp_f32_e32 v88, v88
	s_delay_alu instid0(VALU_DEP_1) | instskip(SKIP_1) | instid1(VALU_DEP_1)
	v_fma_f32 v90, 0x3fb8aa3b, v86, -v89
	v_rndne_f32_e32 v91, v89
	v_dual_fmac_f32 v90, 0x32a5705f, v86 :: v_dual_sub_f32 v89, v89, v91
	s_waitcnt_depctr 0xfff
	v_ldexp_f32 v85, v88, v85
	v_cvt_i32_f32_e32 v88, v91
	v_add_f32_e32 v89, v89, v90
	s_delay_alu instid0(VALU_DEP_3) | instskip(NEXT) | instid1(VALU_DEP_2)
	v_cndmask_b32_e32 v85, 0, v85, vcc_lo
	v_exp_f32_e32 v86, v89
	s_delay_alu instid0(VALU_DEP_1) | instskip(NEXT) | instid1(VALU_DEP_1)
	v_cndmask_b32_e64 v85, 0x7f800000, v85, s2
	v_cvt_f16_f32_e32 v96, v85
	v_fma_f32 v45, v45, v85, v87
	s_waitcnt_depctr 0xfff
	v_ldexp_f32 v86, v86, v88
	ds_load_2addr_b64 v[88:91], v46 offset1:32
	ds_load_b128 v[92:95], v64
	v_pk_mul_f16 v57, v96, v57 op_sel_hi:[0,1]
	v_pk_mul_f16 v58, v96, v58 op_sel_hi:[0,1]
	v_cndmask_b32_e64 v86, 0, v86, s3
	s_delay_alu instid0(VALU_DEP_1) | instskip(NEXT) | instid1(VALU_DEP_1)
	v_cndmask_b32_e64 v86, 0x7f800000, v86, s4
	v_cvt_f16_f32_e32 v97, v86
	v_fmac_f32_e32 v61, v84, v86
	s_delay_alu instid0(VALU_DEP_2)
	v_pk_mul_f16 v55, v97, v55 op_sel_hi:[0,1]
	v_pk_mul_f16 v53, v97, v53 op_sel_hi:[0,1]
	;; [unrolled: 1-line block ×3, first 2 shown]
	s_waitcnt lgkmcnt(0)
	v_pk_fma_f16 v57, v90, v92, v57 op_sel_hi:[1,0,1]
	v_pk_fma_f16 v58, v91, v92, v58 op_sel_hi:[1,0,1]
	v_pk_fma_f16 v98, v89, v92, v55 op_sel:[0,1,0]
	v_pk_fma_f16 v90, v90, v92, v53 op_sel:[0,1,0]
	;; [unrolled: 1-line block ×3, first 2 shown]
	v_pk_mul_f16 v52, v88, v92 op_sel:[0,1]
	v_pk_mul_f16 v53, v88, v92 op_sel_hi:[1,0]
	v_pk_mul_f16 v55, v89, v92 op_sel_hi:[1,0]
	s_delay_alu instid0(VALU_DEP_3) | instskip(NEXT) | instid1(VALU_DEP_3)
	v_pk_fma_f16 v49, v97, v49, v52 op_sel_hi:[0,1,1]
	v_pk_fma_f16 v88, v96, v54, v53 op_sel_hi:[0,1,1]
	s_delay_alu instid0(VALU_DEP_3)
	v_pk_fma_f16 v56, v96, v56, v55 op_sel_hi:[0,1,1]
	ds_load_2addr_b64 v[52:55], v46 offset0:64 offset1:96
	s_waitcnt lgkmcnt(0)
	v_pk_fma_f16 v89, v53, v93, v98 op_sel:[0,1,0]
	v_pk_fma_f16 v57, v54, v93, v57 op_sel_hi:[1,0,1]
	v_pk_fma_f16 v90, v54, v93, v90 op_sel:[0,1,0]
	v_pk_fma_f16 v58, v55, v93, v58 op_sel_hi:[1,0,1]
	v_pk_fma_f16 v91, v55, v93, v91 op_sel:[0,1,0]
	v_pk_fma_f16 v88, v52, v93, v88 op_sel_hi:[1,0,1]
	v_pk_fma_f16 v49, v52, v93, v49 op_sel:[0,1,0]
	v_pk_fma_f16 v56, v53, v93, v56 op_sel_hi:[1,0,1]
	ds_load_2addr_b64 v[52:55], v46 offset0:128 offset1:160
	s_waitcnt lgkmcnt(0)
	v_pk_fma_f16 v89, v53, v94, v89 op_sel:[0,1,0]
	v_pk_fma_f16 v57, v54, v94, v57 op_sel_hi:[1,0,1]
	v_pk_fma_f16 v90, v54, v94, v90 op_sel:[0,1,0]
	v_pk_fma_f16 v58, v55, v94, v58 op_sel_hi:[1,0,1]
	v_pk_fma_f16 v91, v55, v94, v91 op_sel:[0,1,0]
	v_pk_fma_f16 v88, v52, v94, v88 op_sel_hi:[1,0,1]
	v_pk_fma_f16 v49, v52, v94, v49 op_sel:[0,1,0]
	;; [unrolled: 10-line block ×3, first 2 shown]
	v_pk_fma_f16 v56, v53, v95, v56 op_sel_hi:[1,0,1]
	v_add_nc_u32_e32 v95, 0x800, v46
	ds_load_b128 v[52:55], v64 offset:16
	ds_load_2addr_b64 v[88:91], v95 offset1:32
	s_waitcnt lgkmcnt(0)
	v_pk_fma_f16 v92, v89, v52, v92 op_sel:[0,1,0]
	v_pk_fma_f16 v57, v90, v52, v57 op_sel_hi:[1,0,1]
	v_pk_fma_f16 v93, v90, v52, v93 op_sel:[0,1,0]
	v_pk_fma_f16 v58, v91, v52, v58 op_sel_hi:[1,0,1]
	v_pk_fma_f16 v94, v91, v52, v94 op_sel:[0,1,0]
	v_pk_fma_f16 v96, v88, v52, v96 op_sel_hi:[1,0,1]
	v_pk_fma_f16 v49, v88, v52, v49 op_sel:[0,1,0]
	v_pk_fma_f16 v52, v89, v52, v56 op_sel_hi:[1,0,1]
	ds_load_2addr_b64 v[88:91], v95 offset0:64 offset1:96
	s_waitcnt lgkmcnt(0)
	v_pk_fma_f16 v56, v89, v53, v92 op_sel:[0,1,0]
	v_pk_fma_f16 v57, v90, v53, v57 op_sel_hi:[1,0,1]
	v_pk_fma_f16 v92, v90, v53, v93 op_sel:[0,1,0]
	v_pk_fma_f16 v58, v91, v53, v58 op_sel_hi:[1,0,1]
	;; [unrolled: 2-line block ×3, first 2 shown]
	v_add_nc_u32_e32 v96, 0x1000, v46
	v_pk_fma_f16 v49, v88, v53, v49 op_sel:[0,1,0]
	v_pk_fma_f16 v52, v89, v53, v52 op_sel_hi:[1,0,1]
	ds_load_2addr_b64 v[88:91], v95 offset0:128 offset1:160
	s_waitcnt lgkmcnt(0)
	v_pk_fma_f16 v53, v89, v54, v56 op_sel:[0,1,0]
	v_pk_fma_f16 v56, v90, v54, v57 op_sel_hi:[1,0,1]
	v_pk_fma_f16 v57, v90, v54, v92 op_sel:[0,1,0]
	v_pk_fma_f16 v58, v91, v54, v58 op_sel_hi:[1,0,1]
	v_pk_fma_f16 v92, v91, v54, v93 op_sel:[0,1,0]
	v_pk_fma_f16 v93, v88, v54, v94 op_sel_hi:[1,0,1]
	v_pk_fma_f16 v49, v88, v54, v49 op_sel:[0,1,0]
	v_pk_fma_f16 v52, v89, v54, v52 op_sel_hi:[1,0,1]
	ds_load_2addr_b64 v[88:91], v95 offset0:192 offset1:224
	s_waitcnt lgkmcnt(0)
	v_pk_fma_f16 v94, v89, v55, v53 op_sel:[0,1,0]
	v_pk_fma_f16 v56, v90, v55, v56 op_sel_hi:[1,0,1]
	v_pk_fma_f16 v57, v90, v55, v57 op_sel:[0,1,0]
	v_pk_fma_f16 v58, v91, v55, v58 op_sel_hi:[1,0,1]
	;; [unrolled: 2-line block ×4, first 2 shown]
	ds_load_b128 v[52:55], v64 offset:32
	ds_load_2addr_b64 v[88:91], v96 offset1:32
	s_waitcnt lgkmcnt(0)
	v_pk_fma_f16 v94, v89, v52, v94 op_sel:[0,1,0]
	v_pk_fma_f16 v56, v90, v52, v56 op_sel_hi:[1,0,1]
	v_pk_fma_f16 v57, v90, v52, v57 op_sel:[0,1,0]
	v_pk_fma_f16 v58, v91, v52, v58 op_sel_hi:[1,0,1]
	v_pk_fma_f16 v92, v91, v52, v92 op_sel:[0,1,0]
	v_pk_fma_f16 v93, v88, v52, v93 op_sel_hi:[1,0,1]
	v_pk_fma_f16 v49, v88, v52, v49 op_sel:[0,1,0]
	v_pk_fma_f16 v52, v89, v52, v95 op_sel_hi:[1,0,1]
	ds_load_2addr_b64 v[88:91], v96 offset0:64 offset1:96
	s_waitcnt lgkmcnt(0)
	v_pk_fma_f16 v94, v89, v53, v94 op_sel:[0,1,0]
	v_pk_fma_f16 v56, v90, v53, v56 op_sel_hi:[1,0,1]
	v_pk_fma_f16 v57, v90, v53, v57 op_sel:[0,1,0]
	v_pk_fma_f16 v58, v91, v53, v58 op_sel_hi:[1,0,1]
	v_pk_fma_f16 v92, v91, v53, v92 op_sel:[0,1,0]
	v_pk_fma_f16 v93, v88, v53, v93 op_sel_hi:[1,0,1]
	v_pk_fma_f16 v49, v88, v53, v49 op_sel:[0,1,0]
	v_pk_fma_f16 v52, v89, v53, v52 op_sel_hi:[1,0,1]
	ds_load_2addr_b64 v[88:91], v96 offset0:128 offset1:160
	;; [unrolled: 10-line block ×3, first 2 shown]
	v_add_nc_u32_e32 v96, 0x1800, v46
	s_waitcnt lgkmcnt(0)
	v_pk_fma_f16 v94, v89, v55, v53 op_sel:[0,1,0]
	v_pk_fma_f16 v56, v90, v55, v56 op_sel_hi:[1,0,1]
	v_pk_fma_f16 v57, v90, v55, v57 op_sel:[0,1,0]
	v_pk_fma_f16 v58, v91, v55, v58 op_sel_hi:[1,0,1]
	v_pk_fma_f16 v92, v91, v55, v92 op_sel:[0,1,0]
	v_pk_fma_f16 v93, v88, v55, v93 op_sel_hi:[1,0,1]
	v_pk_fma_f16 v49, v88, v55, v49 op_sel:[0,1,0]
	v_pk_fma_f16 v95, v89, v55, v52 op_sel_hi:[1,0,1]
	ds_load_b128 v[52:55], v64 offset:48
	ds_load_2addr_b64 v[88:91], v96 offset1:32
	s_waitcnt lgkmcnt(0)
	v_pk_fma_f16 v94, v89, v52, v94 op_sel:[0,1,0]
	v_pk_fma_f16 v56, v90, v52, v56 op_sel_hi:[1,0,1]
	v_pk_fma_f16 v57, v90, v52, v57 op_sel:[0,1,0]
	v_pk_fma_f16 v58, v91, v52, v58 op_sel_hi:[1,0,1]
	v_pk_fma_f16 v92, v91, v52, v92 op_sel:[0,1,0]
	v_pk_fma_f16 v93, v88, v52, v93 op_sel_hi:[1,0,1]
	v_pk_fma_f16 v49, v88, v52, v49 op_sel:[0,1,0]
	v_pk_fma_f16 v52, v89, v52, v95 op_sel_hi:[1,0,1]
	ds_load_2addr_b64 v[88:91], v96 offset0:64 offset1:96
	s_waitcnt lgkmcnt(0)
	v_pk_fma_f16 v94, v89, v53, v94 op_sel:[0,1,0]
	v_pk_fma_f16 v56, v90, v53, v56 op_sel_hi:[1,0,1]
	v_pk_fma_f16 v57, v90, v53, v57 op_sel:[0,1,0]
	v_pk_fma_f16 v58, v91, v53, v58 op_sel_hi:[1,0,1]
	v_pk_fma_f16 v92, v91, v53, v92 op_sel:[0,1,0]
	v_pk_fma_f16 v93, v88, v53, v93 op_sel_hi:[1,0,1]
	v_pk_fma_f16 v49, v88, v53, v49 op_sel:[0,1,0]
	v_pk_fma_f16 v52, v89, v53, v52 op_sel_hi:[1,0,1]
	ds_load_2addr_b64 v[88:91], v96 offset0:128 offset1:160
	s_waitcnt lgkmcnt(0)
	v_pk_fma_f16 v53, v89, v54, v94 op_sel:[0,1,0]
	v_pk_fma_f16 v56, v90, v54, v56 op_sel_hi:[1,0,1]
	v_pk_fma_f16 v57, v90, v54, v57 op_sel:[0,1,0]
	v_pk_fma_f16 v58, v91, v54, v58 op_sel_hi:[1,0,1]
	v_pk_fma_f16 v92, v91, v54, v92 op_sel:[0,1,0]
	v_pk_fma_f16 v93, v88, v54, v93 op_sel_hi:[1,0,1]
	v_pk_fma_f16 v49, v88, v54, v49 op_sel:[0,1,0]
	v_pk_fma_f16 v52, v89, v54, v52 op_sel_hi:[1,0,1]
	ds_load_2addr_b64 v[88:91], v96 offset0:192 offset1:224
	v_add_nc_u32_e32 v96, 0x2000, v46
	s_waitcnt lgkmcnt(0)
	v_pk_fma_f16 v94, v89, v55, v53 op_sel:[0,1,0]
	v_pk_fma_f16 v56, v90, v55, v56 op_sel_hi:[1,0,1]
	v_pk_fma_f16 v57, v90, v55, v57 op_sel:[0,1,0]
	v_pk_fma_f16 v58, v91, v55, v58 op_sel_hi:[1,0,1]
	v_pk_fma_f16 v92, v91, v55, v92 op_sel:[0,1,0]
	v_pk_fma_f16 v93, v88, v55, v93 op_sel_hi:[1,0,1]
	v_pk_fma_f16 v49, v88, v55, v49 op_sel:[0,1,0]
	v_pk_fma_f16 v95, v89, v55, v52 op_sel_hi:[1,0,1]
	ds_load_2addr_b64 v[52:55], v96 offset1:32
	ds_load_b128 v[88:91], v64 offset:64
	s_waitcnt lgkmcnt(0)
	v_pk_fma_f16 v94, v53, v88, v94 op_sel:[0,1,0]
	v_pk_fma_f16 v56, v54, v88, v56 op_sel_hi:[1,0,1]
	v_pk_fma_f16 v57, v54, v88, v57 op_sel:[0,1,0]
	v_pk_fma_f16 v58, v55, v88, v58 op_sel_hi:[1,0,1]
	v_pk_fma_f16 v92, v55, v88, v92 op_sel:[0,1,0]
	v_pk_fma_f16 v93, v52, v88, v93 op_sel_hi:[1,0,1]
	v_pk_fma_f16 v49, v52, v88, v49 op_sel:[0,1,0]
	v_pk_fma_f16 v88, v53, v88, v95 op_sel_hi:[1,0,1]
	ds_load_2addr_b64 v[52:55], v96 offset0:64 offset1:96
	s_waitcnt lgkmcnt(0)
	v_pk_fma_f16 v94, v53, v89, v94 op_sel:[0,1,0]
	v_pk_fma_f16 v56, v54, v89, v56 op_sel_hi:[1,0,1]
	v_pk_fma_f16 v57, v54, v89, v57 op_sel:[0,1,0]
	v_pk_fma_f16 v58, v55, v89, v58 op_sel_hi:[1,0,1]
	v_pk_fma_f16 v92, v55, v89, v92 op_sel:[0,1,0]
	v_pk_fma_f16 v93, v52, v89, v93 op_sel_hi:[1,0,1]
	v_pk_fma_f16 v49, v52, v89, v49 op_sel:[0,1,0]
	v_pk_fma_f16 v88, v53, v89, v88 op_sel_hi:[1,0,1]
	ds_load_2addr_b64 v[52:55], v96 offset0:128 offset1:160
	s_waitcnt lgkmcnt(0)
	v_pk_fma_f16 v89, v53, v90, v94 op_sel:[0,1,0]
	v_pk_fma_f16 v56, v54, v90, v56 op_sel_hi:[1,0,1]
	v_pk_fma_f16 v57, v54, v90, v57 op_sel:[0,1,0]
	v_pk_fma_f16 v58, v55, v90, v58 op_sel_hi:[1,0,1]
	v_pk_fma_f16 v92, v55, v90, v92 op_sel:[0,1,0]
	v_pk_fma_f16 v93, v52, v90, v93 op_sel_hi:[1,0,1]
	v_pk_fma_f16 v49, v52, v90, v49 op_sel:[0,1,0]
	v_pk_fma_f16 v88, v53, v90, v88 op_sel_hi:[1,0,1]
	ds_load_2addr_b64 v[52:55], v96 offset0:192 offset1:224
	v_add_nc_u32_e32 v96, 0x2800, v46
	s_waitcnt lgkmcnt(0)
	v_pk_fma_f16 v94, v53, v91, v89 op_sel:[0,1,0]
	v_pk_fma_f16 v56, v54, v91, v56 op_sel_hi:[1,0,1]
	v_pk_fma_f16 v57, v54, v91, v57 op_sel:[0,1,0]
	v_pk_fma_f16 v58, v55, v91, v58 op_sel_hi:[1,0,1]
	v_pk_fma_f16 v92, v55, v91, v92 op_sel:[0,1,0]
	v_pk_fma_f16 v93, v52, v91, v93 op_sel_hi:[1,0,1]
	v_pk_fma_f16 v49, v52, v91, v49 op_sel:[0,1,0]
	v_pk_fma_f16 v95, v53, v91, v88 op_sel_hi:[1,0,1]
	ds_load_2addr_b64 v[52:55], v96 offset1:32
	ds_load_b128 v[88:91], v64 offset:80
	;; [unrolled: 42-line block ×4, first 2 shown]
	s_waitcnt lgkmcnt(0)
	v_pk_fma_f16 v94, v53, v88, v94 op_sel:[0,1,0]
	v_pk_fma_f16 v56, v54, v88, v56 op_sel_hi:[1,0,1]
	v_pk_fma_f16 v57, v54, v88, v57 op_sel:[0,1,0]
	v_pk_fma_f16 v58, v55, v88, v58 op_sel_hi:[1,0,1]
	;; [unrolled: 2-line block ×4, first 2 shown]
	ds_load_2addr_b64 v[52:55], v96 offset0:64 offset1:96
	s_waitcnt lgkmcnt(0)
	v_pk_fma_f16 v94, v53, v89, v94 op_sel:[0,1,0]
	v_pk_fma_f16 v56, v54, v89, v56 op_sel_hi:[1,0,1]
	v_pk_fma_f16 v57, v54, v89, v57 op_sel:[0,1,0]
	v_pk_fma_f16 v58, v55, v89, v58 op_sel_hi:[1,0,1]
	;; [unrolled: 2-line block ×4, first 2 shown]
	ds_load_2addr_b64 v[52:55], v96 offset0:128 offset1:160
	s_waitcnt lgkmcnt(0)
	v_pk_fma_f16 v89, v53, v90, v94 op_sel:[0,1,0]
	v_pk_fma_f16 v97, v55, v90, v92 op_sel:[0,1,0]
	v_pk_fma_f16 v98, v52, v90, v93 op_sel_hi:[1,0,1]
	ds_load_2addr_b64 v[92:95], v96 offset0:192 offset1:224
	s_waitcnt lgkmcnt(0)
	s_barrier
	buffer_gl0_inv
	s_load_b32 s2, s[6:7], 0x4
	v_pk_fma_f16 v56, v54, v90, v56 op_sel_hi:[1,0,1]
	v_pk_fma_f16 v54, v54, v90, v57 op_sel:[0,1,0]
	v_pk_fma_f16 v58, v55, v90, v58 op_sel_hi:[1,0,1]
	v_pk_fma_f16 v49, v52, v90, v49 op_sel:[0,1,0]
	;; [unrolled: 2-line block ×4, first 2 shown]
	v_pk_fma_f16 v58, v95, v91, v58 op_sel_hi:[1,0,1]
	s_waitcnt lgkmcnt(0)
	s_lshl_b32 s2, s2, 5
	v_pk_fma_f16 v52, v95, v91, v97 op_sel:[0,1,0]
	v_pk_fma_f16 v54, v92, v91, v98 op_sel_hi:[1,0,1]
	v_pk_fma_f16 v49, v92, v91, v49 op_sel:[0,1,0]
	v_pk_fma_f16 v56, v93, v91, v88 op_sel_hi:[1,0,1]
	s_add_i32 s18, s2, s18
	s_delay_alu instid0(SALU_CYCLE_1)
	s_cmp_lt_i32 s18, s10
	s_cbranch_scc0 .LBB72_25
; %bb.23:                               ;   in Loop: Header=BB72_8 Depth=1
	v_dual_mov_b32 v85, v2 :: v_dual_mov_b32 v86, v3
	v_mov_b32_e32 v84, v61
	s_branch .LBB72_8
.LBB72_24:
	s_mov_b32 s27, s26
	s_delay_alu instid0(SALU_CYCLE_1)
	v_dual_mov_b32 v2, s26 :: v_dual_mov_b32 v3, s27
	v_dual_mov_b32 v45, 0 :: v_dual_mov_b32 v56, 0
	;; [unrolled: 1-line block ×4, first 2 shown]
	v_mov_b32_e32 v55, 0
	v_mov_b32_e32 v53, 0
.LBB72_25:
	s_cmp_gt_i32 s42, s18
	s_cbranch_scc1 .LBB72_27
; %bb.26:
	v_mbcnt_lo_u32_b32 v7, -1, 0
	v_mov_b32_e32 v18, 32
	s_delay_alu instid0(VALU_DEP_2)
	v_xor_b32_e32 v16, 16, v7
	v_xor_b32_e32 v6, 8, v7
	;; [unrolled: 1-line block ×5, first 2 shown]
	s_cbranch_execz .LBB72_28
	s_branch .LBB72_47
.LBB72_27:
                                        ; implicit-def: $vgpr7
                                        ; implicit-def: $vgpr18
                                        ; implicit-def: $vgpr16
                                        ; implicit-def: $vgpr6
                                        ; implicit-def: $vgpr17
                                        ; implicit-def: $vgpr19
                                        ; implicit-def: $vgpr20
.LBB72_28:
	s_mul_hi_i32 s3, s18, s8
	s_mul_i32 s2, s18, s8
	v_lshlrev_b64 v[5:6], 2, v[4:5]
	s_lshl_b64 s[2:3], s[2:3], 2
	s_sub_i32 s19, s42, s18
	s_add_u32 s20, s5, s2
	s_addc_u32 s9, s9, s3
	s_mov_b32 s4, 0
	v_add_co_u32 v5, vcc_lo, s20, v5
	v_add_co_ci_u32_e32 v6, vcc_lo, s9, v6, vcc_lo
	v_cmp_gt_i32_e64 s2, s19, v47
	s_delay_alu instid0(VALU_DEP_3) | instskip(NEXT) | instid1(VALU_DEP_3)
	v_add_co_u32 v5, vcc_lo, v5, v48
	v_add_co_ci_u32_e32 v6, vcc_lo, 0, v6, vcc_lo
	s_mov_b32 s6, s4
	s_mov_b64 s[10:11], src_private_base
	s_mov_b32 s5, s4
	v_dual_mov_b32 v15, 0 :: v_dual_mov_b32 v18, s6
	v_dual_mov_b32 v17, s5 :: v_dual_mov_b32 v16, s4
	v_cndmask_b32_e64 v6, s11, v6, s2
	v_cndmask_b32_e64 v5, 0, v5, s2
	s_clause 0x1
	scratch_store_b32 off, v15, off
	scratch_store_b96 off, v[16:18], off offset:4
	s_lshl_b32 s10, s8, 2
	v_add_nc_u32_e32 v9, 4, v47
	flat_load_b128 v[5:8], v[5:6]
	v_add_nc_u32_e32 v10, s10, v4
	v_mad_u32_u24 v22, 0x210, v47, v48
	s_clause 0x1
	scratch_store_b32 off, v15, off
	scratch_store_b96 off, v[16:18], off offset:4
	v_cmp_gt_i32_e64 s3, s19, v9
	v_ashrrev_i32_e32 v11, 31, v10
	s_delay_alu instid0(VALU_DEP_1) | instskip(NEXT) | instid1(VALU_DEP_1)
	v_lshlrev_b64 v[11:12], 2, v[10:11]
	v_add_co_u32 v4, vcc_lo, s20, v11
	s_delay_alu instid0(VALU_DEP_2) | instskip(NEXT) | instid1(VALU_DEP_2)
	v_add_co_ci_u32_e32 v11, vcc_lo, s9, v12, vcc_lo
	v_add_co_u32 v4, vcc_lo, v4, v48
	s_delay_alu instid0(VALU_DEP_2) | instskip(NEXT) | instid1(VALU_DEP_1)
	v_add_co_ci_u32_e32 v11, vcc_lo, 0, v11, vcc_lo
	v_cndmask_b32_e64 v12, s11, v11, s3
	s_delay_alu instid0(VALU_DEP_3)
	v_cndmask_b32_e64 v11, 0, v4, s3
	s_waitcnt vmcnt(0) lgkmcnt(0)
	ds_store_b128 v22, v[5:8]
	flat_load_b128 v[4:7], v[11:12]
	v_add_nc_u32_e32 v11, s10, v10
	v_add_nc_u32_e32 v10, 8, v47
	s_clause 0x1
	scratch_store_b32 off, v15, off
	scratch_store_b96 off, v[16:18], off offset:4
	v_ashrrev_i32_e32 v12, 31, v11
	v_cmp_gt_i32_e64 s4, s19, v10
	s_delay_alu instid0(VALU_DEP_2) | instskip(NEXT) | instid1(VALU_DEP_1)
	v_lshlrev_b64 v[12:13], 2, v[11:12]
	v_add_co_u32 v8, vcc_lo, s20, v12
	s_delay_alu instid0(VALU_DEP_2) | instskip(NEXT) | instid1(VALU_DEP_2)
	v_add_co_ci_u32_e32 v12, vcc_lo, s9, v13, vcc_lo
	v_add_co_u32 v8, vcc_lo, v8, v48
	s_delay_alu instid0(VALU_DEP_2) | instskip(NEXT) | instid1(VALU_DEP_1)
	v_add_co_ci_u32_e32 v12, vcc_lo, 0, v12, vcc_lo
	v_cndmask_b32_e64 v13, s11, v12, s4
	s_delay_alu instid0(VALU_DEP_3)
	v_cndmask_b32_e64 v12, 0, v8, s4
	s_waitcnt vmcnt(0) lgkmcnt(0)
	ds_store_b128 v22, v[4:7] offset:2112
	flat_load_b128 v[4:7], v[12:13]
	v_add_nc_u32_e32 v12, s10, v11
	v_add_nc_u32_e32 v11, 12, v47
	s_clause 0x1
	scratch_store_b32 off, v15, off
	scratch_store_b96 off, v[16:18], off offset:4
	v_ashrrev_i32_e32 v13, 31, v12
	v_cmp_gt_i32_e64 s5, s19, v11
	s_delay_alu instid0(VALU_DEP_2) | instskip(NEXT) | instid1(VALU_DEP_1)
	v_lshlrev_b64 v[13:14], 2, v[12:13]
	v_add_co_u32 v8, vcc_lo, s20, v13
	s_delay_alu instid0(VALU_DEP_2) | instskip(NEXT) | instid1(VALU_DEP_2)
	v_add_co_ci_u32_e32 v13, vcc_lo, s9, v14, vcc_lo
	v_add_co_u32 v8, vcc_lo, v8, v48
	s_delay_alu instid0(VALU_DEP_2) | instskip(NEXT) | instid1(VALU_DEP_1)
	v_add_co_ci_u32_e32 v13, vcc_lo, 0, v13, vcc_lo
	v_cndmask_b32_e64 v14, s11, v13, s5
	s_delay_alu instid0(VALU_DEP_3)
	v_cndmask_b32_e64 v13, 0, v8, s5
	s_waitcnt vmcnt(0) lgkmcnt(0)
	ds_store_b128 v22, v[4:7] offset:4224
	flat_load_b128 v[4:7], v[13:14]
	v_add_nc_u32_e32 v13, s10, v12
	v_add_nc_u32_e32 v12, 16, v47
	s_clause 0x1
	scratch_store_b32 off, v15, off
	scratch_store_b96 off, v[16:18], off offset:4
	v_ashrrev_i32_e32 v14, 31, v13
	v_cmp_gt_i32_e64 s6, s19, v12
	s_delay_alu instid0(VALU_DEP_2) | instskip(NEXT) | instid1(VALU_DEP_1)
	v_lshlrev_b64 v[19:20], 2, v[13:14]
	v_add_co_u32 v8, vcc_lo, s20, v19
	s_delay_alu instid0(VALU_DEP_2) | instskip(NEXT) | instid1(VALU_DEP_2)
	v_add_co_ci_u32_e32 v14, vcc_lo, s9, v20, vcc_lo
	v_add_co_u32 v8, vcc_lo, v8, v48
	s_delay_alu instid0(VALU_DEP_2) | instskip(NEXT) | instid1(VALU_DEP_2)
	v_add_co_ci_u32_e32 v14, vcc_lo, 0, v14, vcc_lo
	v_cndmask_b32_e64 v19, 0, v8, s6
	s_delay_alu instid0(VALU_DEP_2)
	v_cndmask_b32_e64 v20, s11, v14, s6
	s_waitcnt vmcnt(0) lgkmcnt(0)
	ds_store_b128 v22, v[4:7] offset:6336
	flat_load_b128 v[4:7], v[19:20]
	v_add_nc_u32_e32 v19, s10, v13
	s_clause 0x1
	scratch_store_b32 off, v15, off
	scratch_store_b96 off, v[16:18], off offset:4
	v_ashrrev_i32_e32 v20, 31, v19
	s_delay_alu instid0(VALU_DEP_1) | instskip(SKIP_1) | instid1(VALU_DEP_2)
	v_lshlrev_b64 v[13:14], 2, v[19:20]
	v_add_nc_u32_e32 v19, s10, v19
	v_add_co_u32 v8, vcc_lo, s20, v13
	s_delay_alu instid0(VALU_DEP_3) | instskip(SKIP_1) | instid1(VALU_DEP_3)
	v_add_co_ci_u32_e32 v14, vcc_lo, s9, v14, vcc_lo
	v_add_nc_u32_e32 v13, 20, v47
	v_add_co_u32 v8, vcc_lo, v8, v48
	s_delay_alu instid0(VALU_DEP_3) | instskip(NEXT) | instid1(VALU_DEP_3)
	v_add_co_ci_u32_e32 v14, vcc_lo, 0, v14, vcc_lo
	v_cmp_gt_i32_e64 s7, s19, v13
	s_delay_alu instid0(VALU_DEP_1) | instskip(NEXT) | instid1(VALU_DEP_4)
	v_cndmask_b32_e64 v21, s11, v14, s7
	v_cndmask_b32_e64 v20, 0, v8, s7
	v_add_nc_u32_e32 v14, 24, v47
	s_delay_alu instid0(VALU_DEP_1)
	v_cmp_gt_i32_e64 s8, s19, v14
	s_waitcnt vmcnt(0) lgkmcnt(0)
	ds_store_b128 v22, v[4:7] offset:8448
	flat_load_b128 v[4:7], v[20:21]
	v_ashrrev_i32_e32 v20, 31, v19
	s_clause 0x1
	scratch_store_b32 off, v15, off
	scratch_store_b96 off, v[16:18], off offset:4
	v_lshlrev_b64 v[20:21], 2, v[19:20]
	v_add_nc_u32_e32 v19, s10, v19
	s_delay_alu instid0(VALU_DEP_2) | instskip(NEXT) | instid1(VALU_DEP_3)
	v_add_co_u32 v8, vcc_lo, s20, v20
	v_add_co_ci_u32_e32 v20, vcc_lo, s9, v21, vcc_lo
	s_delay_alu instid0(VALU_DEP_2) | instskip(NEXT) | instid1(VALU_DEP_2)
	v_add_co_u32 v8, vcc_lo, v8, v48
	v_add_co_ci_u32_e32 v20, vcc_lo, 0, v20, vcc_lo
	s_delay_alu instid0(VALU_DEP_1) | instskip(NEXT) | instid1(VALU_DEP_3)
	v_cndmask_b32_e64 v21, s11, v20, s8
	v_cndmask_b32_e64 v20, 0, v8, s8
	v_add_nc_u32_e32 v8, 28, v47
	s_waitcnt vmcnt(0) lgkmcnt(0)
	ds_store_b128 v22, v[4:7] offset:10560
	flat_load_b128 v[4:7], v[20:21]
	v_ashrrev_i32_e32 v20, 31, v19
	s_clause 0x1
	scratch_store_b32 off, v15, off
	scratch_store_b96 off, v[16:18], off offset:4
	v_lshlrev_b64 v[19:20], 2, v[19:20]
	s_delay_alu instid0(VALU_DEP_1) | instskip(NEXT) | instid1(VALU_DEP_2)
	v_add_co_u32 v19, vcc_lo, s20, v19
	v_add_co_ci_u32_e32 v20, vcc_lo, s9, v20, vcc_lo
	v_cmp_gt_i32_e64 s9, s19, v8
	s_delay_alu instid0(VALU_DEP_3) | instskip(NEXT) | instid1(VALU_DEP_3)
	v_add_co_u32 v19, vcc_lo, v19, v48
	v_add_co_ci_u32_e32 v20, vcc_lo, 0, v20, vcc_lo
	s_delay_alu instid0(VALU_DEP_2) | instskip(NEXT) | instid1(VALU_DEP_2)
	v_cndmask_b32_e64 v19, 0, v19, s9
	v_cndmask_b32_e64 v20, s11, v20, s9
	s_waitcnt vmcnt(0) lgkmcnt(0)
	ds_store_b128 v22, v[4:7] offset:12672
	v_mov_b32_e32 v4, 0
	flat_load_b128 v[16:19], v[19:20]
	v_lshlrev_b32_e32 v5, 10, v47
	s_waitcnt vmcnt(0) lgkmcnt(0)
	ds_store_b128 v22, v[16:19] offset:14784
	s_waitcnt lgkmcnt(0)
	s_waitcnt_vscnt null, 0x0
	s_barrier
	buffer_gl0_inv
	ds_load_b128 v[16:19], v60
	ds_load_b128 v[20:23], v5 offset:16896
	ds_load_b128 v[24:27], v5 offset:17408
	s_waitcnt lgkmcnt(1)
	;;#ASMSTART
	v_dot2_f32_f16 v4, v16, v20, v4
	;;#ASMEND
	;;#ASMSTART
	v_dot2_f32_f16 v4, v17, v21, v4
	;;#ASMEND
	;;#ASMSTART
	v_dot2_f32_f16 v4, v18, v22, v4
	;;#ASMEND
	;;#ASMSTART
	v_dot2_f32_f16 v4, v19, v23, v4
	;;#ASMEND
	s_waitcnt lgkmcnt(0)
	;;#ASMSTART
	v_dot2_f32_f16 v15, v16, v24, v15
	;;#ASMEND
	;;#ASMSTART
	v_dot2_f32_f16 v15, v17, v25, v15
	;;#ASMEND
	;;#ASMSTART
	v_dot2_f32_f16 v15, v18, v26, v15
	;;#ASMEND
	;;#ASMSTART
	v_dot2_f32_f16 v15, v19, v27, v15
	;;#ASMEND
	ds_load_b128 v[16:19], v60 offset:16
	ds_load_b128 v[20:23], v5 offset:16912
	ds_load_b128 v[24:27], v5 offset:17424
	s_waitcnt lgkmcnt(1)
	;;#ASMSTART
	v_dot2_f32_f16 v4, v16, v20, v4
	;;#ASMEND
	;;#ASMSTART
	v_dot2_f32_f16 v4, v17, v21, v4
	;;#ASMEND
	;;#ASMSTART
	v_dot2_f32_f16 v4, v18, v22, v4
	;;#ASMEND
	;;#ASMSTART
	v_dot2_f32_f16 v4, v19, v23, v4
	;;#ASMEND
	s_waitcnt lgkmcnt(0)
	;;#ASMSTART
	v_dot2_f32_f16 v15, v16, v24, v15
	;;#ASMEND
	;;#ASMSTART
	v_dot2_f32_f16 v15, v17, v25, v15
	;;#ASMEND
	;;#ASMSTART
	v_dot2_f32_f16 v15, v18, v26, v15
	;;#ASMEND
	;;#ASMSTART
	v_dot2_f32_f16 v15, v19, v27, v15
	;;#ASMEND
	ds_load_b128 v[16:19], v60 offset:32
	;; [unrolled: 29-line block ×31, first 2 shown]
	ds_load_b128 v[20:23], v5 offset:17392
	ds_load_b128 v[24:27], v5 offset:17904
	s_waitcnt lgkmcnt(1)
	;;#ASMSTART
	v_dot2_f32_f16 v4, v16, v20, v4
	;;#ASMEND
	;;#ASMSTART
	v_dot2_f32_f16 v4, v17, v21, v4
	;;#ASMEND
	;; [unrolled: 3-line block ×4, first 2 shown]
	v_cmp_ngt_f32_e64 s10, 0x3f200000, |v4|
	s_waitcnt lgkmcnt(0)
	;;#ASMSTART
	v_dot2_f32_f16 v15, v16, v24, v15
	;;#ASMEND
	;;#ASMSTART
	v_dot2_f32_f16 v15, v17, v25, v15
	;;#ASMEND
	;; [unrolled: 3-line block ×4, first 2 shown]
                                        ; implicit-def: $vgpr5
	s_and_saveexec_b32 s11, s10
	s_delay_alu instid0(SALU_CYCLE_1)
	s_xor_b32 s10, exec_lo, s11
	s_cbranch_execz .LBB72_30
; %bb.29:
	v_add_f32_e64 v5, |v4|, |v4|
	s_delay_alu instid0(VALU_DEP_1) | instskip(SKIP_1) | instid1(VALU_DEP_2)
	v_mul_f32_e32 v6, 0x3fb8aa3b, v5
	v_cmp_ngt_f32_e32 vcc_lo, 0xc2ce8ed0, v5
	v_rndne_f32_e32 v7, v6
	v_fma_f32 v16, 0x3fb8aa3b, v5, -v6
	s_delay_alu instid0(VALU_DEP_2) | instskip(NEXT) | instid1(VALU_DEP_2)
	v_sub_f32_e32 v6, v6, v7
	v_fmamk_f32 v16, v5, 0x32a5705f, v16
	v_cvt_i32_f32_e32 v7, v7
	s_delay_alu instid0(VALU_DEP_2) | instskip(NEXT) | instid1(VALU_DEP_1)
	v_add_f32_e32 v6, v6, v16
	v_exp_f32_e32 v6, v6
	s_waitcnt_depctr 0xfff
	v_ldexp_f32 v6, v6, v7
	s_delay_alu instid0(VALU_DEP_1) | instskip(SKIP_1) | instid1(VALU_DEP_2)
	v_cndmask_b32_e32 v6, 0, v6, vcc_lo
	v_cmp_nlt_f32_e32 vcc_lo, 0x42b17218, v5
	v_cndmask_b32_e32 v5, 0x7f800000, v6, vcc_lo
	s_delay_alu instid0(VALU_DEP_1) | instskip(NEXT) | instid1(VALU_DEP_1)
	v_add_f32_e32 v5, 1.0, v5
	v_rcp_f32_e32 v5, v5
	s_waitcnt_depctr 0xfff
	v_fma_f32 v5, v5, -2.0, 1.0
.LBB72_30:
	s_and_not1_saveexec_b32 s10, s10
; %bb.31:
	v_mul_f32_e32 v5, v4, v4
	s_mov_b32 s11, 0xbbbac73d
	s_delay_alu instid0(VALU_DEP_1) | instid1(SALU_CYCLE_1)
	v_fmaak_f32 v6, s11, v5, 0x3ca908c9
	s_delay_alu instid0(VALU_DEP_1) | instskip(NEXT) | instid1(VALU_DEP_1)
	v_fmaak_f32 v6, v5, v6, 0xbd5c1c4e
	v_fmaak_f32 v6, v5, v6, 0x3e088382
	s_delay_alu instid0(VALU_DEP_1) | instskip(NEXT) | instid1(VALU_DEP_1)
	v_fmaak_f32 v6, v5, v6, 0xbeaaaa99
	v_mul_f32_e64 v6, |v4|, v6
	s_delay_alu instid0(VALU_DEP_1)
	v_fma_f32 v5, v5, v6, |v4|
; %bb.32:
	s_or_b32 exec_lo, exec_lo, s10
	s_delay_alu instid0(VALU_DEP_1)
	v_bfi_b32 v4, 0x7fffffff, v5, v4
	s_cmp_lg_u64 s[40:41], 0
	v_cmp_gt_i32_e64 s10, s19, v43
	s_cselect_b32 s20, -1, 0
	v_add_nc_u32_e32 v5, s18, v43
	v_dual_mul_f32 v21, s23, v4 :: v_dual_mov_b32 v4, v2
	v_cndmask_b32_e64 v22, 0, 1, s20
	v_dual_mov_b32 v7, v3 :: v_dual_mov_b32 v6, v2
	s_and_saveexec_b32 s11, s10
	s_cbranch_execz .LBB72_37
; %bb.33:
	s_and_not1_b32 vcc_lo, exec_lo, s20
	s_cbranch_vccnz .LBB72_35
; %bb.34:
	v_mad_u64_u32 v[6:7], null, v59, s22, v[5:6]
	s_delay_alu instid0(VALU_DEP_1) | instskip(NEXT) | instid1(VALU_DEP_1)
	v_ashrrev_i32_e32 v7, 31, v6
	v_lshlrev_b64 v[6:7], 1, v[6:7]
	s_delay_alu instid0(VALU_DEP_1) | instskip(NEXT) | instid1(VALU_DEP_2)
	v_add_co_u32 v6, vcc_lo, s40, v6
	v_add_co_ci_u32_e32 v7, vcc_lo, s41, v7, vcc_lo
	flat_load_u16 v4, v[6:7]
	s_waitcnt vmcnt(0) lgkmcnt(0)
	v_cvt_f32_f16_e32 v4, v4
	s_delay_alu instid0(VALU_DEP_1)
	v_mul_f32_e32 v4, v50, v4
	s_branch .LBB72_36
.LBB72_35:
	v_mov_b32_e32 v4, 0
.LBB72_36:
	s_delay_alu instid0(VALU_DEP_1) | instskip(NEXT) | instid1(VALU_DEP_1)
	v_dual_add_f32 v21, v21, v4 :: v_dual_max_f32 v4, v2, v2
	v_add_f32_e32 v6, 0x40051340, v21
	s_delay_alu instid0(VALU_DEP_1)
	v_dual_max_f32 v4, v4, v6 :: v_dual_mov_b32 v7, v3
	v_mov_b32_e32 v6, v2
.LBB72_37:
	s_or_b32 exec_lo, exec_lo, s11
	v_xor_b32_e32 v16, 16, v44
	v_cmp_ngt_f32_e64 s11, 0x3f200000, |v15|
                                        ; implicit-def: $vgpr29
	s_delay_alu instid0(VALU_DEP_2) | instskip(SKIP_1) | instid1(VALU_DEP_1)
	v_cmp_gt_i32_e32 vcc_lo, 32, v16
	v_cndmask_b32_e32 v6, v44, v16, vcc_lo
	v_lshlrev_b32_e32 v23, 2, v6
	v_xor_b32_e32 v6, 8, v44
	ds_bpermute_b32 v17, v23, v4
	v_max_f32_e32 v4, v4, v4
	v_cmp_gt_i32_e32 vcc_lo, 32, v6
	s_waitcnt lgkmcnt(0)
	v_dual_cndmask_b32 v18, v44, v6 :: v_dual_max_f32 v17, v17, v17
	s_delay_alu instid0(VALU_DEP_1) | instskip(SKIP_1) | instid1(VALU_DEP_1)
	v_max_f32_e32 v4, v4, v17
	v_xor_b32_e32 v17, 4, v44
	v_cmp_gt_i32_e32 vcc_lo, 32, v17
	v_cndmask_b32_e32 v19, v44, v17, vcc_lo
	s_delay_alu instid0(VALU_DEP_1) | instskip(SKIP_1) | instid1(VALU_DEP_1)
	v_lshlrev_b32_e32 v25, 2, v19
	v_xor_b32_e32 v19, 2, v44
	v_cmp_gt_i32_e32 vcc_lo, 32, v19
	v_cndmask_b32_e32 v20, v44, v19, vcc_lo
	s_delay_alu instid0(VALU_DEP_1) | instskip(SKIP_1) | instid1(VALU_DEP_1)
	v_lshlrev_b32_e32 v26, 2, v20
	v_xor_b32_e32 v20, 1, v44
	v_cmp_gt_i32_e32 vcc_lo, 32, v20
	v_dual_cndmask_b32 v27, v44, v20 :: v_dual_lshlrev_b32 v24, 2, v18
	s_delay_alu instid0(VALU_DEP_1) | instskip(SKIP_3) | instid1(VALU_DEP_1)
	v_lshlrev_b32_e32 v27, 2, v27
	ds_bpermute_b32 v18, v24, v4
	s_waitcnt lgkmcnt(0)
	v_max_f32_e32 v18, v18, v18
	v_max_f32_e32 v4, v4, v18
	ds_bpermute_b32 v18, v25, v4
	s_waitcnt lgkmcnt(0)
	v_max_f32_e32 v18, v18, v18
	s_delay_alu instid0(VALU_DEP_1) | instskip(SKIP_3) | instid1(VALU_DEP_1)
	v_max_f32_e32 v4, v4, v18
	ds_bpermute_b32 v18, v26, v4
	s_waitcnt lgkmcnt(0)
	v_max_f32_e32 v18, v18, v18
	v_max_f32_e32 v4, v4, v18
	v_mov_b32_e32 v18, 32
	ds_bpermute_b32 v28, v27, v4
	s_and_saveexec_b32 s20, s11
	s_delay_alu instid0(SALU_CYCLE_1)
	s_xor_b32 s11, exec_lo, s20
	s_cbranch_execz .LBB72_39
; %bb.38:
	v_add_f32_e64 v29, |v15|, |v15|
	s_delay_alu instid0(VALU_DEP_1) | instskip(SKIP_1) | instid1(VALU_DEP_2)
	v_mul_f32_e32 v30, 0x3fb8aa3b, v29
	v_cmp_ngt_f32_e32 vcc_lo, 0xc2ce8ed0, v29
	v_rndne_f32_e32 v31, v30
	v_fma_f32 v32, 0x3fb8aa3b, v29, -v30
	s_delay_alu instid0(VALU_DEP_2) | instskip(NEXT) | instid1(VALU_DEP_2)
	v_sub_f32_e32 v30, v30, v31
	v_fmamk_f32 v32, v29, 0x32a5705f, v32
	v_cvt_i32_f32_e32 v31, v31
	s_delay_alu instid0(VALU_DEP_2) | instskip(NEXT) | instid1(VALU_DEP_1)
	v_add_f32_e32 v30, v30, v32
	v_exp_f32_e32 v30, v30
	s_waitcnt_depctr 0xfff
	v_ldexp_f32 v30, v30, v31
	s_delay_alu instid0(VALU_DEP_1) | instskip(SKIP_1) | instid1(VALU_DEP_2)
	v_cndmask_b32_e32 v30, 0, v30, vcc_lo
	v_cmp_nlt_f32_e32 vcc_lo, 0x42b17218, v29
	v_cndmask_b32_e32 v29, 0x7f800000, v30, vcc_lo
	s_delay_alu instid0(VALU_DEP_1) | instskip(NEXT) | instid1(VALU_DEP_1)
	v_add_f32_e32 v29, 1.0, v29
	v_rcp_f32_e32 v29, v29
	s_waitcnt_depctr 0xfff
	v_fma_f32 v29, v29, -2.0, 1.0
.LBB72_39:
	s_and_not1_saveexec_b32 s11, s11
; %bb.40:
	v_mul_f32_e32 v29, v15, v15
	s_mov_b32 s20, 0xbbbac73d
	s_delay_alu instid0(VALU_DEP_1) | instid1(SALU_CYCLE_1)
	v_fmaak_f32 v30, s20, v29, 0x3ca908c9
	s_delay_alu instid0(VALU_DEP_1) | instskip(NEXT) | instid1(VALU_DEP_1)
	v_fmaak_f32 v30, v29, v30, 0xbd5c1c4e
	v_fmaak_f32 v30, v29, v30, 0x3e088382
	s_delay_alu instid0(VALU_DEP_1) | instskip(NEXT) | instid1(VALU_DEP_1)
	v_fmaak_f32 v30, v29, v30, 0xbeaaaa99
	v_mul_f32_e64 v30, |v15|, v30
	s_delay_alu instid0(VALU_DEP_1)
	v_fma_f32 v29, v29, v30, |v15|
; %bb.41:
	s_or_b32 exec_lo, exec_lo, s11
	v_max_f32_e32 v4, v4, v4
	s_delay_alu instid0(VALU_DEP_2) | instskip(SKIP_1) | instid1(VALU_DEP_1)
	v_bfi_b32 v15, 0x7fffffff, v29, v15
	s_waitcnt lgkmcnt(0)
	v_dual_max_f32 v28, v28, v28 :: v_dual_mul_f32 v15, s23, v15
	s_delay_alu instid0(VALU_DEP_1)
	v_max_f32_e32 v4, v4, v28
	s_and_saveexec_b32 s11, s10
	s_cbranch_execz .LBB72_46
; %bb.42:
	v_cmp_ne_u32_e32 vcc_lo, 1, v22
	s_cbranch_vccnz .LBB72_44
; %bb.43:
	v_or_b32_e32 v22, 1, v42
	s_delay_alu instid0(VALU_DEP_1) | instskip(NEXT) | instid1(VALU_DEP_1)
	v_mul_hi_u32 v28, s36, v22
	v_add_nc_u32_e32 v28, v22, v28
	s_delay_alu instid0(VALU_DEP_1) | instskip(NEXT) | instid1(VALU_DEP_1)
	v_lshrrev_b32_e32 v28, s37, v28
	v_mul_lo_u32 v28, v28, s38
	s_delay_alu instid0(VALU_DEP_1) | instskip(NEXT) | instid1(VALU_DEP_1)
	v_sub_nc_u32_e32 v22, v22, v28
	v_mad_u64_u32 v[28:29], null, v22, s22, v[5:6]
	s_delay_alu instid0(VALU_DEP_1) | instskip(NEXT) | instid1(VALU_DEP_1)
	v_ashrrev_i32_e32 v29, 31, v28
	v_lshlrev_b64 v[28:29], 1, v[28:29]
	s_delay_alu instid0(VALU_DEP_1) | instskip(NEXT) | instid1(VALU_DEP_2)
	v_add_co_u32 v28, vcc_lo, s40, v28
	v_add_co_ci_u32_e32 v29, vcc_lo, s41, v29, vcc_lo
	flat_load_u16 v5, v[28:29]
	s_waitcnt vmcnt(0) lgkmcnt(0)
	v_cvt_f32_f16_e32 v5, v5
	s_delay_alu instid0(VALU_DEP_1)
	v_mul_f32_e32 v5, v50, v5
	s_branch .LBB72_45
.LBB72_44:
	v_mov_b32_e32 v5, 0
.LBB72_45:
	s_delay_alu instid0(VALU_DEP_1) | instskip(SKIP_1) | instid1(VALU_DEP_2)
	v_add_f32_e32 v15, v15, v5
	v_max_f32_e32 v7, v7, v7
	v_add_f32_e32 v5, 0x40051340, v15
	s_delay_alu instid0(VALU_DEP_1)
	v_max_f32_e32 v7, v7, v5
.LBB72_46:
	s_or_b32 exec_lo, exec_lo, s11
	ds_bpermute_b32 v5, v23, v7
	v_max_f32_e32 v7, v7, v7
	v_sub_f32_e32 v23, v21, v4
	s_mul_hi_i32 s23, s18, s13
	s_mul_i32 s22, s18, s13
	s_mov_b32 s20, 0
	s_lshl_b64 s[26:27], s[22:23], 2
	s_mov_b32 s21, s20
	s_mov_b32 s22, s20
	v_cmp_ngt_f32_e32 vcc_lo, 0xc2ce8ed0, v23
	s_mov_b64 s[10:11], src_private_base
	s_add_u32 s10, s16, s26
	s_addc_u32 s16, s17, s27
	v_dual_mov_b32 v31, 0 :: v_dual_add_nc_u32 v122, 0x2000, v46
	s_waitcnt lgkmcnt(0)
	s_barrier
	buffer_gl0_inv
	v_lshl_add_u32 v32, v47, 9, v48
	v_lshl_add_u32 v9, v9, 9, v48
	v_max_f32_e32 v5, v5, v5
	v_lshl_add_u32 v13, v13, 9, v48
	v_lshl_add_u32 v8, v8, 9, v48
	v_add_nc_u32_e32 v37, 0x800, v46
	s_delay_alu instid0(VALU_DEP_4)
	v_dual_max_f32 v5, v7, v5 :: v_dual_lshlrev_b32 v28, 1, v51
	v_add_nc_u32_e32 v146, 0x2800, v46
	v_add_nc_u32_e32 v162, 0x3000, v46
	ds_bpermute_b32 v7, v24, v5
	s_waitcnt lgkmcnt(0)
	v_max_f32_e32 v7, v7, v7
	s_delay_alu instid0(VALU_DEP_1) | instskip(SKIP_3) | instid1(VALU_DEP_1)
	v_max_f32_e32 v5, v5, v7
	ds_bpermute_b32 v7, v25, v5
	s_waitcnt lgkmcnt(0)
	v_max_f32_e32 v7, v7, v7
	v_max_f32_e32 v5, v5, v7
	ds_bpermute_b32 v7, v26, v5
	s_waitcnt lgkmcnt(0)
	v_max_f32_e32 v7, v7, v7
	s_delay_alu instid0(VALU_DEP_1) | instskip(SKIP_3) | instid1(VALU_DEP_1)
	v_max_f32_e32 v5, v5, v7
	ds_bpermute_b32 v7, v27, v5
	s_waitcnt lgkmcnt(0)
	v_max_f32_e32 v7, v7, v7
	v_max_f32_e32 v5, v5, v7
	v_mul_f32_e32 v7, 0x3fb8aa3b, v23
	s_delay_alu instid0(VALU_DEP_2) | instskip(NEXT) | instid1(VALU_DEP_2)
	v_sub_f32_e32 v15, v15, v5
	v_fma_f32 v22, 0x3fb8aa3b, v23, -v7
	v_rndne_f32_e32 v24, v7
	s_delay_alu instid0(VALU_DEP_3) | instskip(NEXT) | instid1(VALU_DEP_2)
	v_mul_f32_e32 v21, 0x3fb8aa3b, v15
	v_dual_fmac_f32 v22, 0x32a5705f, v23 :: v_dual_sub_f32 v7, v7, v24
	v_cvt_i32_f32_e32 v24, v24
	s_delay_alu instid0(VALU_DEP_3) | instskip(SKIP_1) | instid1(VALU_DEP_4)
	v_fma_f32 v25, 0x3fb8aa3b, v15, -v21
	v_rndne_f32_e32 v26, v21
	v_dual_add_f32 v22, v7, v22 :: v_dual_lshlrev_b32 v7, 7, v47
	v_add_nc_u32_e32 v47, 0x1000, v46
	s_delay_alu instid0(VALU_DEP_4) | instskip(NEXT) | instid1(VALU_DEP_4)
	v_fmac_f32_e32 v25, 0x32a5705f, v15
	v_sub_f32_e32 v21, v21, v26
	v_cvt_i32_f32_e32 v26, v26
	v_add3_u32 v28, 0x5200, v7, v28
	s_delay_alu instid0(VALU_DEP_3) | instskip(SKIP_1) | instid1(VALU_DEP_1)
	v_add_f32_e32 v21, v21, v25
	v_exp_f32_e32 v25, v22
	v_exp_f32_e32 v27, v21
	v_lshlrev_b64 v[21:22], 2, v[0:1]
	s_waitcnt_depctr 0xfff
	v_ldexp_f32 v1, v25, v24
	v_ldexp_f32 v24, v27, v26
	s_delay_alu instid0(VALU_DEP_2)
	v_cndmask_b32_e32 v1, 0, v1, vcc_lo
	v_cmp_ngt_f32_e32 vcc_lo, 0xc2ce8ed0, v15
	v_dual_mov_b32 v27, s22 :: v_dual_mov_b32 v26, s21
	v_mov_b32_e32 v25, s20
	s_clause 0x1
	scratch_store_b32 off, v31, off
	scratch_store_b96 off, v[25:27], off offset:4
	v_cndmask_b32_e32 v24, 0, v24, vcc_lo
	v_cmp_nlt_f32_e32 vcc_lo, 0x42b17218, v23
	v_cndmask_b32_e32 v1, 0x7f800000, v1, vcc_lo
	v_cmp_nlt_f32_e32 vcc_lo, 0x42b17218, v15
	s_delay_alu instid0(VALU_DEP_4) | instskip(SKIP_1) | instid1(VALU_DEP_4)
	v_cndmask_b32_e32 v23, 0x7f800000, v24, vcc_lo
	v_cmp_gt_u32_e32 vcc_lo, s19, v43
	v_cndmask_b32_e32 v15, 0, v1, vcc_lo
	s_delay_alu instid0(VALU_DEP_3) | instskip(SKIP_2) | instid1(VALU_DEP_4)
	v_cndmask_b32_e32 v1, 0, v23, vcc_lo
	v_add_co_u32 v21, vcc_lo, s10, v21
	v_add_co_ci_u32_e32 v22, vcc_lo, s16, v22, vcc_lo
	v_cvt_f16_f32_e32 v23, v15
	s_delay_alu instid0(VALU_DEP_3) | instskip(SKIP_1) | instid1(VALU_DEP_4)
	v_add_co_u32 v21, vcc_lo, v21, v48
	v_cvt_f16_f32_e32 v24, v1
	v_add_co_ci_u32_e32 v22, vcc_lo, 0, v22, vcc_lo
	s_delay_alu instid0(VALU_DEP_3) | instskip(NEXT) | instid1(VALU_DEP_3)
	v_cndmask_b32_e64 v21, 0, v21, s2
	v_pack_b32_f16 v23, v23, v24
	s_delay_alu instid0(VALU_DEP_3)
	v_cndmask_b32_e64 v22, s11, v22, s2
	s_lshl_b32 s2, s13, 2
	ds_store_b32 v28, v23
	flat_load_b128 v[21:24], v[21:22]
	v_add_nc_u32_e32 v28, s2, v0
	s_clause 0x1
	scratch_store_b32 off, v31, off
	scratch_store_b96 off, v[25:27], off offset:4
	v_ashrrev_i32_e32 v29, 31, v28
	s_delay_alu instid0(VALU_DEP_1) | instskip(SKIP_1) | instid1(VALU_DEP_2)
	v_lshlrev_b64 v[29:30], 2, v[28:29]
	v_add_nc_u32_e32 v28, s2, v28
	v_add_co_u32 v0, vcc_lo, s10, v29
	s_delay_alu instid0(VALU_DEP_3) | instskip(NEXT) | instid1(VALU_DEP_2)
	v_add_co_ci_u32_e32 v29, vcc_lo, s16, v30, vcc_lo
	v_add_co_u32 v0, vcc_lo, v0, v48
	s_delay_alu instid0(VALU_DEP_2) | instskip(NEXT) | instid1(VALU_DEP_1)
	v_add_co_ci_u32_e32 v29, vcc_lo, 0, v29, vcc_lo
	v_cndmask_b32_e64 v30, s11, v29, s3
	s_delay_alu instid0(VALU_DEP_3)
	v_cndmask_b32_e64 v29, 0, v0, s3
	s_waitcnt vmcnt(0) lgkmcnt(0)
	ds_store_b128 v32, v[21:24]
	flat_load_b128 v[21:24], v[29:30]
	v_ashrrev_i32_e32 v29, 31, v28
	s_clause 0x1
	scratch_store_b32 off, v31, off
	scratch_store_b96 off, v[25:27], off offset:4
	v_lshlrev_b64 v[29:30], 2, v[28:29]
	v_add_nc_u32_e32 v28, s2, v28
	s_delay_alu instid0(VALU_DEP_2) | instskip(NEXT) | instid1(VALU_DEP_3)
	v_add_co_u32 v0, vcc_lo, s10, v29
	v_add_co_ci_u32_e32 v29, vcc_lo, s16, v30, vcc_lo
	s_delay_alu instid0(VALU_DEP_2) | instskip(NEXT) | instid1(VALU_DEP_2)
	v_add_co_u32 v0, vcc_lo, v0, v48
	v_add_co_ci_u32_e32 v29, vcc_lo, 0, v29, vcc_lo
	s_delay_alu instid0(VALU_DEP_1) | instskip(NEXT) | instid1(VALU_DEP_3)
	v_cndmask_b32_e64 v30, s11, v29, s4
	v_cndmask_b32_e64 v29, 0, v0, s4
	s_waitcnt vmcnt(0) lgkmcnt(0)
	ds_store_b128 v9, v[21:24]
	flat_load_b128 v[21:24], v[29:30]
	v_ashrrev_i32_e32 v29, 31, v28
	s_clause 0x1
	scratch_store_b32 off, v31, off
	scratch_store_b96 off, v[25:27], off offset:4
	v_lshlrev_b64 v[29:30], 2, v[28:29]
	s_delay_alu instid0(VALU_DEP_1) | instskip(NEXT) | instid1(VALU_DEP_2)
	v_add_co_u32 v0, vcc_lo, s10, v29
	v_add_co_ci_u32_e32 v9, vcc_lo, s16, v30, vcc_lo
	v_lshl_add_u32 v29, v10, 9, v48
	s_delay_alu instid0(VALU_DEP_3) | instskip(NEXT) | instid1(VALU_DEP_3)
	v_add_co_u32 v0, vcc_lo, v0, v48
	v_add_co_ci_u32_e32 v9, vcc_lo, 0, v9, vcc_lo
	s_delay_alu instid0(VALU_DEP_1) | instskip(NEXT) | instid1(VALU_DEP_3)
	v_cndmask_b32_e64 v10, s11, v9, s5
	v_cndmask_b32_e64 v9, 0, v0, s5
	s_waitcnt vmcnt(0) lgkmcnt(0)
	ds_store_b128 v29, v[21:24]
	flat_load_b128 v[21:24], v[9:10]
	v_add_nc_u32_e32 v9, s2, v28
	s_clause 0x1
	scratch_store_b32 off, v31, off
	scratch_store_b96 off, v[25:27], off offset:4
	v_ashrrev_i32_e32 v10, 31, v9
	s_delay_alu instid0(VALU_DEP_1) | instskip(NEXT) | instid1(VALU_DEP_1)
	v_lshlrev_b64 v[28:29], 2, v[9:10]
	v_add_co_u32 v0, vcc_lo, s10, v28
	s_delay_alu instid0(VALU_DEP_2) | instskip(SKIP_1) | instid1(VALU_DEP_3)
	v_add_co_ci_u32_e32 v10, vcc_lo, s16, v29, vcc_lo
	v_lshl_add_u32 v28, v11, 9, v48
	v_add_co_u32 v0, vcc_lo, v0, v48
	s_delay_alu instid0(VALU_DEP_3) | instskip(NEXT) | instid1(VALU_DEP_1)
	v_add_co_ci_u32_e32 v10, vcc_lo, 0, v10, vcc_lo
	v_cndmask_b32_e64 v11, s11, v10, s6
	s_delay_alu instid0(VALU_DEP_3)
	v_cndmask_b32_e64 v10, 0, v0, s6
	s_waitcnt vmcnt(0) lgkmcnt(0)
	ds_store_b128 v28, v[21:24]
	flat_load_b128 v[21:24], v[10:11]
	v_add_nc_u32_e32 v28, s2, v9
	v_lshl_add_u32 v11, v12, 9, v48
	s_clause 0x1
	scratch_store_b32 off, v31, off
	scratch_store_b96 off, v[25:27], off offset:4
	v_ashrrev_i32_e32 v29, 31, v28
	s_delay_alu instid0(VALU_DEP_1) | instskip(NEXT) | instid1(VALU_DEP_1)
	v_lshlrev_b64 v[9:10], 2, v[28:29]
	v_add_co_u32 v0, vcc_lo, s10, v9
	s_delay_alu instid0(VALU_DEP_2) | instskip(NEXT) | instid1(VALU_DEP_2)
	v_add_co_ci_u32_e32 v9, vcc_lo, s16, v10, vcc_lo
	v_add_co_u32 v0, vcc_lo, v0, v48
	s_delay_alu instid0(VALU_DEP_2) | instskip(NEXT) | instid1(VALU_DEP_1)
	v_add_co_ci_u32_e32 v9, vcc_lo, 0, v9, vcc_lo
	v_cndmask_b32_e64 v10, s11, v9, s7
	s_delay_alu instid0(VALU_DEP_3)
	v_cndmask_b32_e64 v9, 0, v0, s7
	s_waitcnt vmcnt(0) lgkmcnt(0)
	ds_store_b128 v11, v[21:24]
	flat_load_b128 v[9:12], v[9:10]
	v_add_nc_u32_e32 v21, s2, v28
	s_clause 0x1
	scratch_store_b32 off, v31, off
	scratch_store_b96 off, v[25:27], off offset:4
	v_ashrrev_i32_e32 v22, 31, v21
	s_delay_alu instid0(VALU_DEP_1) | instskip(SKIP_1) | instid1(VALU_DEP_2)
	v_lshlrev_b64 v[22:23], 2, v[21:22]
	v_add_nc_u32_e32 v21, s2, v21
	v_add_co_u32 v0, vcc_lo, s10, v22
	s_delay_alu instid0(VALU_DEP_3) | instskip(NEXT) | instid1(VALU_DEP_2)
	v_add_co_ci_u32_e32 v22, vcc_lo, s16, v23, vcc_lo
	v_add_co_u32 v0, vcc_lo, v0, v48
	s_delay_alu instid0(VALU_DEP_2) | instskip(NEXT) | instid1(VALU_DEP_1)
	v_add_co_ci_u32_e32 v22, vcc_lo, 0, v22, vcc_lo
	v_cndmask_b32_e64 v23, s11, v22, s8
	s_delay_alu instid0(VALU_DEP_3)
	v_cndmask_b32_e64 v22, 0, v0, s8
	s_waitcnt vmcnt(0) lgkmcnt(0)
	ds_store_b128 v13, v[9:12]
	flat_load_b128 v[9:12], v[22:23]
	v_ashrrev_i32_e32 v22, 31, v21
	s_clause 0x1
	scratch_store_b32 off, v31, off
	scratch_store_b96 off, v[25:27], off offset:4
	v_lshlrev_b64 v[21:22], 2, v[21:22]
	s_delay_alu instid0(VALU_DEP_1) | instskip(NEXT) | instid1(VALU_DEP_2)
	v_add_co_u32 v0, vcc_lo, s10, v21
	v_add_co_ci_u32_e32 v13, vcc_lo, s16, v22, vcc_lo
	v_lshl_add_u32 v21, v14, 9, v48
	s_delay_alu instid0(VALU_DEP_3) | instskip(NEXT) | instid1(VALU_DEP_3)
	v_add_co_u32 v0, vcc_lo, v0, v48
	v_add_co_ci_u32_e32 v13, vcc_lo, 0, v13, vcc_lo
	v_add_nc_u32_e32 v48, 0x1800, v46
	s_delay_alu instid0(VALU_DEP_2) | instskip(NEXT) | instid1(VALU_DEP_4)
	v_cndmask_b32_e64 v14, s11, v13, s9
	v_cndmask_b32_e64 v13, 0, v0, s9
	v_sub_f32_e32 v0, v2, v4
	s_delay_alu instid0(VALU_DEP_1)
	v_dual_mul_f32 v2, 0x3fb8aa3b, v0 :: v_dual_sub_f32 v3, v3, v5
	v_cmp_ngt_f32_e32 vcc_lo, 0xc2ce8ed0, v0
	s_waitcnt vmcnt(0) lgkmcnt(0)
	ds_store_b128 v21, v[9:12]
	flat_load_b128 v[9:12], v[13:14]
	v_fma_f32 v13, 0x3fb8aa3b, v0, -v2
	v_rndne_f32_e32 v14, v2
	v_mul_f32_e32 v21, 0x3fb8aa3b, v3
	s_delay_alu instid0(VALU_DEP_2) | instskip(NEXT) | instid1(VALU_DEP_2)
	v_dual_fmac_f32 v13, 0x32a5705f, v0 :: v_dual_sub_f32 v2, v2, v14
	v_fma_f32 v22, 0x3fb8aa3b, v3, -v21
	v_rndne_f32_e32 v23, v21
	v_cvt_i32_f32_e32 v14, v14
	s_delay_alu instid0(VALU_DEP_4) | instskip(NEXT) | instid1(VALU_DEP_4)
	v_add_f32_e32 v2, v2, v13
	v_fmac_f32_e32 v22, 0x32a5705f, v3
	s_delay_alu instid0(VALU_DEP_4) | instskip(NEXT) | instid1(VALU_DEP_3)
	v_sub_f32_e32 v13, v21, v23
	v_exp_f32_e32 v2, v2
	s_delay_alu instid0(VALU_DEP_1) | instskip(NEXT) | instid1(VALU_DEP_1)
	v_add_f32_e32 v13, v13, v22
	v_exp_f32_e32 v13, v13
	s_waitcnt_depctr 0xfff
	v_ldexp_f32 v2, v2, v14
	v_cvt_i32_f32_e32 v14, v23
	s_delay_alu instid0(VALU_DEP_2) | instskip(SKIP_1) | instid1(VALU_DEP_3)
	v_cndmask_b32_e32 v2, 0, v2, vcc_lo
	v_cmp_nlt_f32_e32 vcc_lo, 0x42b17218, v0
	v_ldexp_f32 v13, v13, v14
	s_delay_alu instid0(VALU_DEP_3) | instskip(SKIP_1) | instid1(VALU_DEP_2)
	v_cndmask_b32_e32 v0, 0x7f800000, v2, vcc_lo
	v_cmp_ngt_f32_e32 vcc_lo, 0xc2ce8ed0, v3
	v_cvt_f16_f32_e64 v190, v0
	s_delay_alu instid0(VALU_DEP_4) | instskip(SKIP_2) | instid1(VALU_DEP_4)
	v_cndmask_b32_e32 v2, 0, v13, vcc_lo
	v_cmp_nlt_f32_e32 vcc_lo, 0x42b17218, v3
	v_dual_fmac_f32 v15, v45, v0 :: v_dual_add_nc_u32 v0, 0x3800, v46
	v_pk_mul_f16 v191, v190, v57 op_sel_hi:[0,1]
	v_pk_mul_f16 v193, v190, v58 op_sel_hi:[0,1]
	s_delay_alu instid0(VALU_DEP_3) | instskip(NEXT) | instid1(VALU_DEP_1)
	v_dual_cndmask_b32 v2, 0x7f800000, v2 :: v_dual_mov_b32 v45, v15
	v_cvt_f16_f32_e64 v192, v2
	v_dual_fmac_f32 v1, v61, v2 :: v_dual_mov_b32 v2, v4
	v_mov_b32_e32 v3, v5
	s_delay_alu instid0(VALU_DEP_3)
	v_pk_mul_f16 v4, v192, v55 op_sel_hi:[0,1]
	v_pk_mul_f16 v5, v192, v53 op_sel_hi:[0,1]
	;; [unrolled: 1-line block ×3, first 2 shown]
	v_mov_b32_e32 v61, v1
	s_waitcnt vmcnt(0) lgkmcnt(0)
	ds_store_b128 v8, v[9:12]
	s_waitcnt lgkmcnt(0)
	s_waitcnt_vscnt null, 0x0
	s_barrier
	buffer_gl0_inv
	ds_load_2addr_b64 v[8:11], v46 offset1:32
	ds_load_b128 v[12:15], v7 offset:20992
	ds_load_b128 v[21:24], v7 offset:21008
	;; [unrolled: 1-line block ×4, first 2 shown]
	ds_load_2addr_b64 v[33:36], v46 offset0:64 offset1:96
	ds_load_2addr_b64 v[50:53], v46 offset0:128 offset1:160
	ds_load_2addr_b64 v[57:60], v46 offset0:192 offset1:224
	ds_load_2addr_b64 v[62:65], v37 offset1:32
	ds_load_2addr_b64 v[66:69], v37 offset0:64 offset1:96
	ds_load_2addr_b64 v[70:73], v37 offset0:128 offset1:160
	ds_load_2addr_b64 v[74:77], v37 offset0:192 offset1:224
	ds_load_2addr_b64 v[78:81], v47 offset1:32
	;; [unrolled: 4-line block ×5, first 2 shown]
	ds_load_b128 v[130:133], v7 offset:21056
	ds_load_b128 v[134:137], v7 offset:21072
	ds_load_2addr_b64 v[138:141], v146 offset0:64 offset1:96
	ds_load_2addr_b64 v[142:145], v146 offset0:128 offset1:160
	;; [unrolled: 1-line block ×3, first 2 shown]
	ds_load_2addr_b64 v[150:153], v162 offset1:32
	ds_load_2addr_b64 v[154:157], v162 offset0:64 offset1:96
	ds_load_2addr_b64 v[158:161], v162 offset0:128 offset1:160
	;; [unrolled: 1-line block ×3, first 2 shown]
	ds_load_2addr_b64 v[166:169], v0 offset1:32
	ds_load_b128 v[170:173], v7 offset:21088
	ds_load_b128 v[174:177], v7 offset:21104
	ds_load_2addr_b64 v[178:181], v0 offset0:64 offset1:96
	ds_load_2addr_b64 v[182:185], v0 offset0:128 offset1:160
	;; [unrolled: 1-line block ×3, first 2 shown]
	s_waitcnt lgkmcnt(38)
	v_pk_mul_f16 v0, v8, v12 op_sel_hi:[1,0]
	v_pk_mul_f16 v1, v8, v12 op_sel:[0,1]
	v_pk_mul_f16 v7, v9, v12 op_sel_hi:[1,0]
	v_pk_fma_f16 v4, v9, v12, v4 op_sel:[0,1,0]
	v_pk_fma_f16 v8, v10, v12, v191 op_sel_hi:[1,0,1]
	v_pk_fma_f16 v5, v10, v12, v5 op_sel:[0,1,0]
	v_pk_fma_f16 v9, v11, v12, v193 op_sel_hi:[1,0,1]
	;; [unrolled: 2-line block ×3, first 2 shown]
	v_pk_fma_f16 v1, v192, v49, v1 op_sel_hi:[0,1,1]
	v_pk_fma_f16 v7, v190, v56, v7 op_sel_hi:[0,1,1]
	s_waitcnt lgkmcnt(34)
	v_pk_fma_f16 v4, v34, v13, v4 op_sel:[0,1,0]
	v_pk_fma_f16 v8, v35, v13, v8 op_sel_hi:[1,0,1]
	v_pk_fma_f16 v5, v35, v13, v5 op_sel:[0,1,0]
	v_pk_fma_f16 v9, v36, v13, v9 op_sel_hi:[1,0,1]
	v_pk_fma_f16 v10, v36, v13, v10 op_sel:[0,1,0]
	v_pk_fma_f16 v0, v33, v13, v0 op_sel_hi:[1,0,1]
	v_pk_fma_f16 v1, v33, v13, v1 op_sel:[0,1,0]
	v_pk_fma_f16 v7, v34, v13, v7 op_sel_hi:[1,0,1]
	s_waitcnt lgkmcnt(33)
	v_pk_fma_f16 v4, v51, v14, v4 op_sel:[0,1,0]
	v_pk_fma_f16 v8, v52, v14, v8 op_sel_hi:[1,0,1]
	v_pk_fma_f16 v5, v52, v14, v5 op_sel:[0,1,0]
	v_pk_fma_f16 v9, v53, v14, v9 op_sel_hi:[1,0,1]
	v_pk_fma_f16 v10, v53, v14, v10 op_sel:[0,1,0]
	v_pk_fma_f16 v0, v50, v14, v0 op_sel_hi:[1,0,1]
	v_pk_fma_f16 v1, v50, v14, v1 op_sel:[0,1,0]
	;; [unrolled: 9-line block ×16, first 2 shown]
	v_pk_fma_f16 v7, v111, v130, v7 op_sel_hi:[1,0,1]
	v_pk_fma_f16 v4, v115, v131, v4 op_sel:[0,1,0]
	v_pk_fma_f16 v8, v116, v131, v8 op_sel_hi:[1,0,1]
	v_pk_fma_f16 v5, v116, v131, v5 op_sel:[0,1,0]
	;; [unrolled: 2-line block ×12, first 2 shown]
	v_pk_fma_f16 v7, v123, v133, v7 op_sel_hi:[1,0,1]
	s_waitcnt lgkmcnt(13)
	v_pk_fma_f16 v4, v127, v134, v4 op_sel:[0,1,0]
	v_pk_fma_f16 v8, v128, v134, v8 op_sel_hi:[1,0,1]
	v_pk_fma_f16 v5, v128, v134, v5 op_sel:[0,1,0]
	v_pk_fma_f16 v9, v129, v134, v9 op_sel_hi:[1,0,1]
	v_pk_fma_f16 v10, v129, v134, v10 op_sel:[0,1,0]
	v_pk_fma_f16 v0, v126, v134, v0 op_sel_hi:[1,0,1]
	v_pk_fma_f16 v1, v126, v134, v1 op_sel:[0,1,0]
	v_pk_fma_f16 v7, v127, v134, v7 op_sel_hi:[1,0,1]
	s_waitcnt lgkmcnt(12)
	v_pk_fma_f16 v4, v139, v135, v4 op_sel:[0,1,0]
	v_pk_fma_f16 v8, v140, v135, v8 op_sel_hi:[1,0,1]
	v_pk_fma_f16 v5, v140, v135, v5 op_sel:[0,1,0]
	v_pk_fma_f16 v9, v141, v135, v9 op_sel_hi:[1,0,1]
	v_pk_fma_f16 v10, v141, v135, v10 op_sel:[0,1,0]
	v_pk_fma_f16 v0, v138, v135, v0 op_sel_hi:[1,0,1]
	v_pk_fma_f16 v1, v138, v135, v1 op_sel:[0,1,0]
	;; [unrolled: 9-line block ×5, first 2 shown]
	v_pk_fma_f16 v7, v151, v170, v7 op_sel_hi:[1,0,1]
	v_pk_fma_f16 v4, v155, v171, v4 op_sel:[0,1,0]
	v_pk_fma_f16 v8, v156, v171, v8 op_sel_hi:[1,0,1]
	v_pk_fma_f16 v5, v156, v171, v5 op_sel:[0,1,0]
	;; [unrolled: 2-line block ×12, first 2 shown]
	v_pk_fma_f16 v7, v163, v173, v7 op_sel_hi:[1,0,1]
	s_waitcnt lgkmcnt(3)
	v_pk_fma_f16 v4, v167, v174, v4 op_sel:[0,1,0]
	v_pk_fma_f16 v8, v168, v174, v8 op_sel_hi:[1,0,1]
	v_pk_fma_f16 v5, v168, v174, v5 op_sel:[0,1,0]
	v_pk_fma_f16 v9, v169, v174, v9 op_sel_hi:[1,0,1]
	v_pk_fma_f16 v10, v169, v174, v10 op_sel:[0,1,0]
	v_pk_fma_f16 v0, v166, v174, v0 op_sel_hi:[1,0,1]
	v_pk_fma_f16 v1, v166, v174, v1 op_sel:[0,1,0]
	v_pk_fma_f16 v7, v167, v174, v7 op_sel_hi:[1,0,1]
	s_waitcnt lgkmcnt(2)
	v_pk_fma_f16 v4, v179, v175, v4 op_sel:[0,1,0]
	v_pk_fma_f16 v8, v180, v175, v8 op_sel_hi:[1,0,1]
	v_pk_fma_f16 v5, v180, v175, v5 op_sel:[0,1,0]
	v_pk_fma_f16 v9, v181, v175, v9 op_sel_hi:[1,0,1]
	v_pk_fma_f16 v10, v181, v175, v10 op_sel:[0,1,0]
	v_pk_fma_f16 v0, v178, v175, v0 op_sel_hi:[1,0,1]
	v_pk_fma_f16 v1, v178, v175, v1 op_sel:[0,1,0]
	v_pk_fma_f16 v7, v179, v175, v7 op_sel_hi:[1,0,1]
	s_waitcnt lgkmcnt(1)
	v_pk_fma_f16 v4, v183, v176, v4 op_sel:[0,1,0]
	v_pk_fma_f16 v8, v184, v176, v8 op_sel_hi:[1,0,1]
	v_pk_fma_f16 v5, v184, v176, v5 op_sel:[0,1,0]
	v_pk_fma_f16 v9, v185, v176, v9 op_sel_hi:[1,0,1]
	v_pk_fma_f16 v10, v185, v176, v10 op_sel:[0,1,0]
	v_pk_fma_f16 v0, v182, v176, v0 op_sel_hi:[1,0,1]
	v_pk_fma_f16 v1, v182, v176, v1 op_sel:[0,1,0]
	v_pk_fma_f16 v7, v183, v176, v7 op_sel_hi:[1,0,1]
	s_waitcnt lgkmcnt(0)
	v_pk_fma_f16 v55, v187, v177, v4 op_sel:[0,1,0]
	v_pk_fma_f16 v57, v188, v177, v8 op_sel_hi:[1,0,1]
	v_pk_fma_f16 v53, v188, v177, v5 op_sel:[0,1,0]
	v_pk_fma_f16 v58, v189, v177, v9 op_sel_hi:[1,0,1]
	v_pk_fma_f16 v52, v189, v177, v10 op_sel:[0,1,0]
	v_pk_fma_f16 v54, v186, v177, v0 op_sel_hi:[1,0,1]
	v_pk_fma_f16 v49, v186, v177, v1 op_sel:[0,1,0]
	v_pk_fma_f16 v56, v187, v177, v7 op_sel_hi:[1,0,1]
	v_mov_b32_e32 v7, v44
	s_barrier
	buffer_gl0_inv
.LBB72_47:
	v_cmp_lt_i32_e32 vcc_lo, v16, v18
	s_cmp_eq_u64 s[24:25], 0
	s_cselect_b32 s2, -1, 0
	s_cmp_lg_u32 s14, 0
	v_cndmask_b32_e32 v0, v7, v16, vcc_lo
	v_cmp_lt_i32_e32 vcc_lo, v6, v18
	s_cselect_b32 s3, -1, 0
	s_delay_alu instid0(SALU_CYCLE_1) | instskip(NEXT) | instid1(VALU_DEP_2)
	s_or_b32 s2, s3, s2
	v_lshlrev_b32_e32 v0, 2, v0
	v_cndmask_b32_e32 v4, v7, v6, vcc_lo
	v_cmp_lt_i32_e32 vcc_lo, v17, v18
	ds_bpermute_b32 v1, v0, v45
	s_waitcnt lgkmcnt(0)
	v_dual_add_f32 v1, v45, v1 :: v_dual_lshlrev_b32 v4, 2, v4
	ds_bpermute_b32 v5, v4, v1
	s_waitcnt lgkmcnt(0)
	v_add_f32_e32 v1, v1, v5
	ds_bpermute_b32 v0, v0, v61
	v_cndmask_b32_e32 v6, v7, v17, vcc_lo
	v_cmp_lt_i32_e32 vcc_lo, v19, v18
	s_delay_alu instid0(VALU_DEP_2)
	v_lshlrev_b32_e32 v6, 2, v6
	s_waitcnt lgkmcnt(0)
	v_add_f32_e32 v0, v61, v0
	ds_bpermute_b32 v4, v4, v0
	s_waitcnt lgkmcnt(0)
	v_add_f32_e32 v0, v0, v4
	ds_bpermute_b32 v4, v6, v1
	ds_bpermute_b32 v5, v6, v0
	v_cndmask_b32_e32 v6, v7, v19, vcc_lo
	v_cmp_lt_i32_e32 vcc_lo, v20, v18
	s_waitcnt lgkmcnt(1)
	s_delay_alu instid0(VALU_DEP_2)
	v_dual_add_f32 v1, v1, v4 :: v_dual_lshlrev_b32 v6, 2, v6
	s_waitcnt lgkmcnt(0)
	v_add_f32_e32 v0, v0, v5
	ds_bpermute_b32 v4, v6, v1
	ds_bpermute_b32 v5, v6, v0
	v_cndmask_b32_e32 v6, v7, v20, vcc_lo
	s_and_b32 vcc_lo, exec_lo, s2
	s_waitcnt lgkmcnt(1)
	s_delay_alu instid0(VALU_DEP_1)
	v_dual_add_f32 v1, v1, v4 :: v_dual_lshlrev_b32 v6, 2, v6
	s_waitcnt lgkmcnt(0)
	v_add_f32_e32 v4, v0, v5
	ds_bpermute_b32 v0, v6, v1
	ds_bpermute_b32 v5, v6, v4
	s_waitcnt lgkmcnt(0)
	v_dual_add_f32 v0, v1, v0 :: v_dual_add_f32 v1, v4, v5
	s_cbranch_vccnz .LBB72_50
; %bb.48:
	s_lshl_b64 s[2:3], s[34:35], 2
	v_dual_mov_b32 v4, 0 :: v_dual_max_f32 v5, v2, v2
	s_add_u32 s2, s24, s2
	s_addc_u32 s3, s25, s3
	v_max_f32_e32 v8, v3, v3
	global_load_b32 v4, v4, s[2:3]
	s_waitcnt vmcnt(0)
	v_max_f32_e32 v7, v4, v4
	s_delay_alu instid0(VALU_DEP_1) | instskip(NEXT) | instid1(VALU_DEP_1)
	v_max_f32_e32 v6, v5, v7
	v_sub_f32_e32 v5, v4, v6
	s_delay_alu instid0(VALU_DEP_1) | instskip(SKIP_1) | instid1(VALU_DEP_2)
	v_mul_f32_e32 v9, 0x3fb8aa3b, v5
	v_dual_max_f32 v7, v8, v7 :: v_dual_sub_f32 v2, v2, v6
	v_rndne_f32_e32 v15, v9
	s_delay_alu instid0(VALU_DEP_2) | instskip(SKIP_1) | instid1(VALU_DEP_4)
	v_sub_f32_e32 v3, v3, v7
	v_sub_f32_e32 v8, v4, v7
	v_mul_f32_e32 v4, 0x3fb8aa3b, v2
	v_cmp_ngt_f32_e32 vcc_lo, 0xc2ce8ed0, v2
	s_delay_alu instid0(VALU_DEP_4) | instskip(SKIP_1) | instid1(VALU_DEP_4)
	v_mul_f32_e32 v10, 0x3fb8aa3b, v3
	v_fma_f32 v14, 0x3fb8aa3b, v5, -v9
	v_fma_f32 v12, 0x3fb8aa3b, v2, -v4
	v_rndne_f32_e32 v13, v4
	v_sub_f32_e32 v9, v9, v15
	v_fma_f32 v16, 0x3fb8aa3b, v3, -v10
	v_fmac_f32_e32 v14, 0x32a5705f, v5
	v_fmac_f32_e32 v12, 0x32a5705f, v2
	v_sub_f32_e32 v4, v4, v13
	v_rndne_f32_e32 v17, v10
	s_delay_alu instid0(VALU_DEP_4) | instskip(SKIP_1) | instid1(VALU_DEP_4)
	v_add_f32_e32 v9, v9, v14
	v_mul_f32_e32 v11, 0x3fb8aa3b, v8
	v_add_f32_e32 v4, v4, v12
	v_cvt_i32_f32_e32 v12, v13
	v_cvt_i32_f32_e32 v13, v15
	v_exp_f32_e32 v9, v9
	v_fma_f32 v18, 0x3fb8aa3b, v8, -v11
	v_exp_f32_e32 v4, v4
	v_rndne_f32_e32 v19, v11
	v_cvt_i32_f32_e32 v14, v17
	s_delay_alu instid0(VALU_DEP_2) | instskip(SKIP_1) | instid1(TRANS32_DEP_2)
	v_sub_f32_e32 v11, v11, v19
	v_cvt_i32_f32_e32 v15, v19
	v_ldexp_f32 v9, v9, v13
	s_waitcnt_depctr 0xfff
	v_ldexp_f32 v4, v4, v12
	s_delay_alu instid0(VALU_DEP_1) | instskip(SKIP_2) | instid1(VALU_DEP_1)
	v_cndmask_b32_e32 v4, 0, v4, vcc_lo
	v_cmp_ngt_f32_e32 vcc_lo, 0xc2ce8ed0, v5
	v_dual_fmac_f32 v18, 0x32a5705f, v8 :: v_dual_cndmask_b32 v9, 0, v9
	v_dual_fmac_f32 v16, 0x32a5705f, v3 :: v_dual_add_f32 v11, v11, v18
	v_cmp_ngt_f32_e32 vcc_lo, 0xc2ce8ed0, v3
	s_delay_alu instid0(VALU_DEP_2) | instskip(SKIP_3) | instid1(VALU_DEP_1)
	v_exp_f32_e32 v11, v11
	s_waitcnt_depctr 0xfff
	v_ldexp_f32 v11, v11, v15
	v_sub_f32_e32 v10, v10, v17
	v_add_f32_e32 v10, v10, v16
	s_delay_alu instid0(VALU_DEP_1) | instskip(SKIP_2) | instid1(VALU_DEP_1)
	v_exp_f32_e32 v10, v10
	s_waitcnt_depctr 0xfff
	v_ldexp_f32 v10, v10, v14
	v_cndmask_b32_e32 v10, 0, v10, vcc_lo
	v_cmp_ngt_f32_e32 vcc_lo, 0xc2ce8ed0, v8
	v_cndmask_b32_e32 v11, 0, v11, vcc_lo
	v_cmp_nlt_f32_e32 vcc_lo, 0x42b17218, v2
	v_cndmask_b32_e32 v2, 0x7f800000, v4, vcc_lo
	v_cmp_nlt_f32_e32 vcc_lo, 0x42b17218, v5
	;; [unrolled: 2-line block ×3, first 2 shown]
	s_delay_alu instid0(VALU_DEP_2) | instskip(SKIP_3) | instid1(VALU_DEP_3)
	v_fmac_f32_e32 v4, v0, v2
	v_cndmask_b32_e32 v3, 0x7f800000, v10, vcc_lo
	v_cmp_nlt_f32_e32 vcc_lo, 0x42b17218, v8
	v_cvt_f16_f32_e32 v8, v2
	v_cvt_f16_f32_e32 v0, v3
	v_cndmask_b32_e32 v5, 0x7f800000, v11, vcc_lo
	s_delay_alu instid0(VALU_DEP_3)
	v_pk_mul_f16 v54, v8, v54 op_sel_hi:[0,1]
	v_pk_mul_f16 v56, v8, v56 op_sel_hi:[0,1]
	v_pk_mul_f16 v57, v8, v57 op_sel_hi:[0,1]
	v_pk_mul_f16 v49, v0, v49 op_sel_hi:[0,1]
	v_fmac_f32_e32 v5, v1, v3
	v_pk_mul_f16 v55, v0, v55 op_sel_hi:[0,1]
	v_pk_mul_f16 v53, v0, v53 op_sel_hi:[0,1]
	;; [unrolled: 1-line block ×3, first 2 shown]
	v_mov_b32_e32 v0, v4
	v_dual_mov_b32 v2, v6 :: v_dual_mov_b32 v3, v7
	v_pk_mul_f16 v58, v8, v58 op_sel_hi:[0,1]
	v_mov_b32_e32 v1, v5
	s_mov_b32 s2, exec_lo
	v_cmpx_gt_i32_e64 s38, v42
	s_cbranch_execnz .LBB72_51
.LBB72_49:
	s_nop 0
	s_sendmsg sendmsg(MSG_DEALLOC_VGPRS)
	s_endpgm
.LBB72_50:
	s_delay_alu instid0(VALU_DEP_1)
	v_dual_mov_b32 v4, v0 :: v_dual_mov_b32 v5, v1
	s_mov_b32 s2, exec_lo
	v_cmpx_gt_i32_e64 s38, v42
	s_cbranch_execz .LBB72_49
.LBB72_51:
	s_load_b32 s1, s[0:1], 0xd4
	v_mov_b32_e32 v8, 1.0
	s_waitcnt lgkmcnt(0)
	s_cmp_lg_u32 s1, 1
	s_cselect_b32 s4, -1, 0
	s_cmp_eq_u32 s1, 1
	s_cselect_b32 s2, -1, 0
	s_and_b32 vcc_lo, exec_lo, s4
	s_cbranch_vccnz .LBB72_53
; %bb.52:
	v_div_scale_f32 v6, null, v4, v4, 1.0
	s_delay_alu instid0(VALU_DEP_1) | instskip(SKIP_2) | instid1(VALU_DEP_1)
	v_rcp_f32_e32 v7, v6
	s_waitcnt_depctr 0xfff
	v_fma_f32 v8, -v6, v7, 1.0
	v_fmac_f32_e32 v7, v8, v7
	v_div_scale_f32 v8, vcc_lo, 1.0, v4, 1.0
	s_delay_alu instid0(VALU_DEP_1) | instskip(NEXT) | instid1(VALU_DEP_1)
	v_mul_f32_e32 v9, v8, v7
	v_fma_f32 v10, -v6, v9, v8
	s_delay_alu instid0(VALU_DEP_1) | instskip(NEXT) | instid1(VALU_DEP_1)
	v_fmac_f32_e32 v9, v10, v7
	v_fma_f32 v6, -v6, v9, v8
	s_delay_alu instid0(VALU_DEP_1) | instskip(NEXT) | instid1(VALU_DEP_1)
	v_div_fmas_f32 v6, v6, v7, v9
	v_div_fixup_f32 v8, v6, v4, 1.0
.LBB72_53:
	s_mul_i32 s3, s12, s38
	v_lshrrev_b32_e32 v12, 16, v54
	s_add_i32 s3, s3, s15
	v_cvt_f32_f16_e32 v13, v54
	v_add_nc_u32_e32 v4, s3, v41
	v_mov_b32_e32 v18, 0
	v_lshrrev_b32_e32 v14, 16, v58
	v_lshrrev_b32_e32 v16, 16, v57
	v_cvt_f32_f16_e32 v19, v57
	v_mad_u64_u32 v[9:10], null, v4, s39, s[34:35]
	v_lshrrev_b32_e32 v4, 16, v56
	v_cvt_f32_f16_e32 v10, v56
	v_cvt_f32_f16_e32 v14, v14
	v_cmp_eq_u32_e32 vcc_lo, 0, v43
	s_delay_alu instid0(VALU_DEP_4)
	v_cvt_f32_f16_e32 v4, v4
	v_mad_u64_u32 v[6:7], null, s1, v9, s[14:15]
	v_mul_f32_e32 v9, v8, v13
	v_cvt_f32_f16_e32 v7, v58
	v_mul_f32_e32 v11, v8, v10
	v_cvt_f32_f16_e32 v10, v12
	v_mul_f32_e32 v13, v8, v19
	v_mul_f32_e32 v12, v8, v4
	v_lshl_add_u32 v17, v6, 8, v40
	v_mul_f32_e32 v15, v8, v7
	v_cvt_f32_f16_e32 v7, v16
	v_mul_f32_e32 v10, v8, v10
	v_mul_f32_e32 v16, v8, v14
	v_lshlrev_b64 v[19:20], 2, v[17:18]
	s_delay_alu instid0(VALU_DEP_4) | instskip(NEXT) | instid1(VALU_DEP_1)
	v_dual_mul_f32 v14, v8, v7 :: v_dual_add_nc_u32 v17, 0x80, v17
	v_lshlrev_b64 v[7:8], 2, v[17:18]
	s_delay_alu instid0(VALU_DEP_3) | instskip(NEXT) | instid1(VALU_DEP_1)
	v_add_co_u32 v17, s0, s28, v19
	v_add_co_ci_u32_e64 v18, s0, s29, v20, s0
	s_delay_alu instid0(VALU_DEP_3) | instskip(NEXT) | instid1(VALU_DEP_1)
	v_add_co_u32 v7, s0, s28, v7
	v_add_co_ci_u32_e64 v8, s0, s29, v8, s0
	s_and_b32 s0, vcc_lo, s4
	s_clause 0x1
	global_store_b128 v[17:18], v[9:12], off
	global_store_b128 v[7:8], v[13:16], off
	s_and_saveexec_b32 s4, s0
	s_cbranch_execz .LBB72_55
; %bb.54:
	v_ashrrev_i32_e32 v7, 31, v6
	v_dual_mov_b32 v8, v2 :: v_dual_mov_b32 v9, v0
	s_delay_alu instid0(VALU_DEP_2) | instskip(NEXT) | instid1(VALU_DEP_1)
	v_lshlrev_b64 v[6:7], 3, v[6:7]
	v_add_co_u32 v6, vcc_lo, s30, v6
	s_delay_alu instid0(VALU_DEP_2)
	v_add_co_ci_u32_e32 v7, vcc_lo, s31, v7, vcc_lo
	global_store_b64 v[6:7], v[8:9], off
.LBB72_55:
	s_or_b32 exec_lo, exec_lo, s4
	v_cmp_gt_i32_e32 vcc_lo, s38, v39
	s_and_b32 exec_lo, exec_lo, vcc_lo
	s_cbranch_execz .LBB72_49
; %bb.56:
	v_mov_b32_e32 v0, 1.0
	s_and_not1_b32 vcc_lo, exec_lo, s2
	s_cbranch_vccnz .LBB72_58
; %bb.57:
	v_div_scale_f32 v0, null, v5, v5, 1.0
	s_delay_alu instid0(VALU_DEP_1) | instskip(SKIP_2) | instid1(VALU_DEP_1)
	v_rcp_f32_e32 v2, v0
	s_waitcnt_depctr 0xfff
	v_fma_f32 v4, -v0, v2, 1.0
	v_fmac_f32_e32 v2, v4, v2
	v_div_scale_f32 v4, vcc_lo, 1.0, v5, 1.0
	s_delay_alu instid0(VALU_DEP_1) | instskip(NEXT) | instid1(VALU_DEP_1)
	v_mul_f32_e32 v6, v4, v2
	v_fma_f32 v7, -v0, v6, v4
	s_delay_alu instid0(VALU_DEP_1) | instskip(NEXT) | instid1(VALU_DEP_1)
	v_fmac_f32_e32 v6, v7, v2
	v_fma_f32 v0, -v0, v6, v4
	s_delay_alu instid0(VALU_DEP_1) | instskip(NEXT) | instid1(VALU_DEP_1)
	v_div_fmas_f32 v0, v0, v2, v6
	v_div_fixup_f32 v0, v0, v5, 1.0
.LBB72_58:
	v_add_nc_u32_e32 v2, s3, v38
	v_cvt_f32_f16_e32 v9, v49
	v_mov_b32_e32 v14, 0
	v_cvt_f32_f16_e32 v15, v53
	v_lshrrev_b32_e32 v8, 16, v49
	v_mad_u64_u32 v[6:7], null, v2, s39, s[34:35]
	v_lshrrev_b32_e32 v2, 16, v55
	v_lshrrev_b32_e32 v10, 16, v52
	;; [unrolled: 1-line block ×3, first 2 shown]
	v_cvt_f32_f16_e32 v17, v8
	v_cvt_f32_f16_e32 v7, v55
	;; [unrolled: 1-line block ×3, first 2 shown]
	v_mad_u64_u32 v[4:5], null, s1, v6, s[14:15]
	v_mul_f32_e32 v5, v0, v9
	v_mul_f32_e32 v9, v0, v15
	v_cvt_f32_f16_e32 v6, v52
	v_cvt_f32_f16_e32 v10, v10
	;; [unrolled: 1-line block ×3, first 2 shown]
	v_mul_f32_e32 v7, v0, v7
	v_lshl_add_u32 v13, v4, 8, v40
	v_mul_f32_e32 v11, v0, v6
	v_mul_f32_e32 v6, v0, v17
	;; [unrolled: 1-line block ×4, first 2 shown]
	v_lshlrev_b64 v[15:16], 2, v[13:14]
	v_dual_mul_f32 v8, v0, v2 :: v_dual_add_nc_u32 v13, 0x80, v13
	s_delay_alu instid0(VALU_DEP_1) | instskip(NEXT) | instid1(VALU_DEP_3)
	v_lshlrev_b64 v[13:14], 2, v[13:14]
	v_add_co_u32 v15, vcc_lo, s28, v15
	s_delay_alu instid0(VALU_DEP_4) | instskip(NEXT) | instid1(VALU_DEP_3)
	v_add_co_ci_u32_e32 v16, vcc_lo, s29, v16, vcc_lo
	v_add_co_u32 v13, vcc_lo, s28, v13
	s_delay_alu instid0(VALU_DEP_4)
	v_add_co_ci_u32_e32 v14, vcc_lo, s29, v14, vcc_lo
	s_clause 0x1
	global_store_b128 v[15:16], v[5:8], off
	global_store_b128 v[13:14], v[9:12], off
	s_and_b32 exec_lo, exec_lo, s0
	s_cbranch_execz .LBB72_49
; %bb.59:
	v_ashrrev_i32_e32 v5, 31, v4
	v_mov_b32_e32 v0, v3
	s_delay_alu instid0(VALU_DEP_2) | instskip(NEXT) | instid1(VALU_DEP_1)
	v_lshlrev_b64 v[4:5], 3, v[4:5]
	v_add_co_u32 v4, vcc_lo, s30, v4
	s_delay_alu instid0(VALU_DEP_2)
	v_add_co_ci_u32_e32 v5, vcc_lo, s31, v5, vcc_lo
	global_store_b64 v[4:5], v[0:1], off
	s_nop 0
	s_sendmsg sendmsg(MSG_DEALLOC_VGPRS)
	s_endpgm
	.section	.rodata,"a",@progbits
	.p2align	6, 0x0
	.amdhsa_kernel _ZL15flash_attn_tileILi256ELi256ELi8ELi1ELb1EEvPKcS1_S1_S1_S1_PKiPfP15HIP_vector_typeIfLj2EEffffjfiS5_IjLj3EEiiiiiiiiiiiliiliiiiil
		.amdhsa_group_segment_fixed_size 21504
		.amdhsa_private_segment_fixed_size 32
		.amdhsa_kernarg_size 464
		.amdhsa_user_sgpr_count 13
		.amdhsa_user_sgpr_dispatch_ptr 0
		.amdhsa_user_sgpr_queue_ptr 0
		.amdhsa_user_sgpr_kernarg_segment_ptr 1
		.amdhsa_user_sgpr_dispatch_id 0
		.amdhsa_user_sgpr_private_segment_size 0
		.amdhsa_wavefront_size32 1
		.amdhsa_uses_dynamic_stack 0
		.amdhsa_enable_private_segment 1
		.amdhsa_system_sgpr_workgroup_id_x 1
		.amdhsa_system_sgpr_workgroup_id_y 1
		.amdhsa_system_sgpr_workgroup_id_z 1
		.amdhsa_system_sgpr_workgroup_info 0
		.amdhsa_system_vgpr_workitem_id 1
		.amdhsa_next_free_vgpr 194
		.amdhsa_next_free_sgpr 47
		.amdhsa_reserve_vcc 1
		.amdhsa_float_round_mode_32 0
		.amdhsa_float_round_mode_16_64 0
		.amdhsa_float_denorm_mode_32 3
		.amdhsa_float_denorm_mode_16_64 3
		.amdhsa_dx10_clamp 1
		.amdhsa_ieee_mode 1
		.amdhsa_fp16_overflow 0
		.amdhsa_workgroup_processor_mode 1
		.amdhsa_memory_ordered 1
		.amdhsa_forward_progress 0
		.amdhsa_shared_vgpr_count 0
		.amdhsa_exception_fp_ieee_invalid_op 0
		.amdhsa_exception_fp_denorm_src 0
		.amdhsa_exception_fp_ieee_div_zero 0
		.amdhsa_exception_fp_ieee_overflow 0
		.amdhsa_exception_fp_ieee_underflow 0
		.amdhsa_exception_fp_ieee_inexact 0
		.amdhsa_exception_int_div_zero 0
	.end_amdhsa_kernel
	.section	.text._ZL15flash_attn_tileILi256ELi256ELi8ELi1ELb1EEvPKcS1_S1_S1_S1_PKiPfP15HIP_vector_typeIfLj2EEffffjfiS5_IjLj3EEiiiiiiiiiiiliiliiiiil,"axG",@progbits,_ZL15flash_attn_tileILi256ELi256ELi8ELi1ELb1EEvPKcS1_S1_S1_S1_PKiPfP15HIP_vector_typeIfLj2EEffffjfiS5_IjLj3EEiiiiiiiiiiiliiliiiiil,comdat
.Lfunc_end72:
	.size	_ZL15flash_attn_tileILi256ELi256ELi8ELi1ELb1EEvPKcS1_S1_S1_S1_PKiPfP15HIP_vector_typeIfLj2EEffffjfiS5_IjLj3EEiiiiiiiiiiiliiliiiiil, .Lfunc_end72-_ZL15flash_attn_tileILi256ELi256ELi8ELi1ELb1EEvPKcS1_S1_S1_S1_PKiPfP15HIP_vector_typeIfLj2EEffffjfiS5_IjLj3EEiiiiiiiiiiiliiliiiiil
                                        ; -- End function
	.section	.AMDGPU.csdata,"",@progbits
; Kernel info:
; codeLenInByte = 28864
; NumSgprs: 49
; NumVgprs: 194
; ScratchSize: 32
; MemoryBound: 0
; FloatMode: 240
; IeeeMode: 1
; LDSByteSize: 21504 bytes/workgroup (compile time only)
; SGPRBlocks: 6
; VGPRBlocks: 24
; NumSGPRsForWavesPerEU: 49
; NumVGPRsForWavesPerEU: 194
; Occupancy: 6
; WaveLimiterHint : 1
; COMPUTE_PGM_RSRC2:SCRATCH_EN: 1
; COMPUTE_PGM_RSRC2:USER_SGPR: 13
; COMPUTE_PGM_RSRC2:TRAP_HANDLER: 0
; COMPUTE_PGM_RSRC2:TGID_X_EN: 1
; COMPUTE_PGM_RSRC2:TGID_Y_EN: 1
; COMPUTE_PGM_RSRC2:TGID_Z_EN: 1
; COMPUTE_PGM_RSRC2:TIDIG_COMP_CNT: 1
	.section	.text._ZL15flash_attn_tileILi256ELi256ELi4ELi1ELb1EEvPKcS1_S1_S1_S1_PKiPfP15HIP_vector_typeIfLj2EEffffjfiS5_IjLj3EEiiiiiiiiiiiliiliiiiil,"axG",@progbits,_ZL15flash_attn_tileILi256ELi256ELi4ELi1ELb1EEvPKcS1_S1_S1_S1_PKiPfP15HIP_vector_typeIfLj2EEffffjfiS5_IjLj3EEiiiiiiiiiiiliiliiiiil,comdat
	.globl	_ZL15flash_attn_tileILi256ELi256ELi4ELi1ELb1EEvPKcS1_S1_S1_S1_PKiPfP15HIP_vector_typeIfLj2EEffffjfiS5_IjLj3EEiiiiiiiiiiiliiliiiiil ; -- Begin function _ZL15flash_attn_tileILi256ELi256ELi4ELi1ELb1EEvPKcS1_S1_S1_S1_PKiPfP15HIP_vector_typeIfLj2EEffffjfiS5_IjLj3EEiiiiiiiiiiiliiliiiiil
	.p2align	8
	.type	_ZL15flash_attn_tileILi256ELi256ELi4ELi1ELb1EEvPKcS1_S1_S1_S1_PKiPfP15HIP_vector_typeIfLj2EEffffjfiS5_IjLj3EEiiiiiiiiiiiliiliiiiil,@function
_ZL15flash_attn_tileILi256ELi256ELi4ELi1ELb1EEvPKcS1_S1_S1_S1_PKiPfP15HIP_vector_typeIfLj2EEffffjfiS5_IjLj3EEiiiiiiiiiiiliiliiiiil: ; @_ZL15flash_attn_tileILi256ELi256ELi4ELi1ELb1EEvPKcS1_S1_S1_S1_PKiPfP15HIP_vector_typeIfLj2EEffffjfiS5_IjLj3EEiiiiiiiiiiiliiliiiiil
; %bb.0:
	s_clause 0x3
	s_load_b128 s[36:39], s[2:3], 0x5c
	s_load_b64 s[42:43], s[2:3], 0x80
	s_load_b512 s[16:31], s[2:3], 0x0
	s_load_b64 s[44:45], s[2:3], 0xb8
	s_mov_b64 s[40:41], 0
	s_waitcnt lgkmcnt(0)
	v_cvt_f32_u32_e32 v1, s39
	s_sub_i32 s5, 0, s39
	s_delay_alu instid0(VALU_DEP_1) | instskip(SKIP_2) | instid1(VALU_DEP_1)
	v_rcp_iflag_f32_e32 v1, v1
	s_waitcnt_depctr 0xfff
	v_mul_f32_e32 v1, 0x4f7ffffe, v1
	v_cvt_u32_f32_e32 v1, v1
	s_delay_alu instid0(VALU_DEP_1) | instskip(NEXT) | instid1(VALU_DEP_1)
	v_readfirstlane_b32 s4, v1
	s_mul_i32 s5, s5, s4
	s_delay_alu instid0(SALU_CYCLE_1) | instskip(NEXT) | instid1(SALU_CYCLE_1)
	s_mul_hi_u32 s5, s4, s5
	s_add_i32 s4, s4, s5
	s_delay_alu instid0(SALU_CYCLE_1) | instskip(NEXT) | instid1(SALU_CYCLE_1)
	s_mul_hi_u32 s4, s15, s4
	s_mul_i32 s5, s4, s39
	s_add_i32 s6, s4, 1
	s_sub_i32 s5, s15, s5
	s_delay_alu instid0(SALU_CYCLE_1)
	s_sub_i32 s7, s5, s39
	s_cmp_ge_u32 s5, s39
	s_cselect_b32 s4, s6, s4
	s_cselect_b32 s5, s7, s5
	s_add_i32 s6, s4, 1
	s_cmp_ge_u32 s5, s39
	s_cselect_b32 s33, s6, s4
	s_abs_i32 s4, s43
	s_abs_i32 s8, s39
	v_cvt_f32_u32_e32 v1, s4
	s_sub_i32 s6, 0, s4
	s_mul_i32 s7, s33, s39
	s_delay_alu instid0(SALU_CYCLE_1) | instskip(NEXT) | instid1(VALU_DEP_1)
	s_sub_i32 s34, s15, s7
	v_rcp_iflag_f32_e32 v1, v1
	s_waitcnt_depctr 0xfff
	v_mul_f32_e32 v1, 0x4f7ffffe, v1
	s_delay_alu instid0(VALU_DEP_1) | instskip(NEXT) | instid1(VALU_DEP_1)
	v_cvt_u32_f32_e32 v1, v1
	v_readfirstlane_b32 s5, v1
	s_delay_alu instid0(VALU_DEP_1) | instskip(NEXT) | instid1(SALU_CYCLE_1)
	s_mul_i32 s6, s6, s5
	s_mul_hi_u32 s6, s5, s6
	s_delay_alu instid0(SALU_CYCLE_1) | instskip(SKIP_4) | instid1(SALU_CYCLE_1)
	s_add_i32 s5, s5, s6
	s_xor_b32 s6, s39, s43
	s_mul_hi_u32 s5, s8, s5
	s_ashr_i32 s6, s6, 31
	s_mul_i32 s7, s5, s4
	s_sub_i32 s7, s8, s7
	s_add_i32 s8, s5, 1
	s_sub_i32 s9, s7, s4
	s_cmp_ge_u32 s7, s4
	s_cselect_b32 s5, s8, s5
	s_cselect_b32 s7, s9, s7
	s_add_i32 s8, s5, 1
	s_cmp_ge_u32 s7, s4
	s_cselect_b32 s4, s8, s5
	s_abs_i32 s46, s34
	s_xor_b32 s4, s4, s6
	s_delay_alu instid0(SALU_CYCLE_1) | instskip(NEXT) | instid1(SALU_CYCLE_1)
	s_sub_i32 s7, s4, s6
	s_abs_i32 s43, s7
	s_delay_alu instid0(SALU_CYCLE_1) | instskip(SKIP_1) | instid1(VALU_DEP_1)
	v_cvt_f32_u32_e32 v1, s43
	s_sub_i32 s5, 0, s43
	v_rcp_iflag_f32_e32 v1, v1
	s_waitcnt_depctr 0xfff
	v_mul_f32_e32 v1, 0x4f7ffffe, v1
	s_delay_alu instid0(VALU_DEP_1) | instskip(NEXT) | instid1(VALU_DEP_1)
	v_cvt_u32_f32_e32 v1, v1
	v_readfirstlane_b32 s4, v1
	s_delay_alu instid0(VALU_DEP_1) | instskip(NEXT) | instid1(SALU_CYCLE_1)
	s_mul_i32 s5, s5, s4
	s_mul_hi_u32 s5, s4, s5
	s_delay_alu instid0(SALU_CYCLE_1)
	s_add_i32 s4, s4, s5
	s_cmp_eq_u64 s[22:23], 0
	s_cbranch_scc1 .LBB73_2
; %bb.1:
	s_abs_i32 s5, s44
	s_abs_i32 s10, s33
	v_cvt_f32_u32_e32 v1, s5
	s_sub_i32 s8, 0, s5
	s_delay_alu instid0(VALU_DEP_1) | instskip(SKIP_2) | instid1(VALU_DEP_1)
	v_rcp_iflag_f32_e32 v1, v1
	s_waitcnt_depctr 0xfff
	v_mul_f32_e32 v1, 0x4f7ffffe, v1
	v_cvt_u32_f32_e32 v1, v1
	s_delay_alu instid0(VALU_DEP_1) | instskip(NEXT) | instid1(VALU_DEP_1)
	v_readfirstlane_b32 s6, v1
	s_mul_i32 s8, s8, s6
	s_delay_alu instid0(SALU_CYCLE_1) | instskip(NEXT) | instid1(SALU_CYCLE_1)
	s_mul_hi_u32 s8, s6, s8
	s_add_i32 s6, s6, s8
	s_load_b64 s[8:9], s[2:3], 0xc8
	s_mul_hi_u32 s6, s10, s6
	s_delay_alu instid0(SALU_CYCLE_1) | instskip(NEXT) | instid1(SALU_CYCLE_1)
	s_mul_i32 s6, s6, s5
	s_sub_i32 s6, s10, s6
	s_ashr_i32 s10, s33, 31
	s_sub_i32 s11, s6, s5
	s_cmp_ge_u32 s6, s5
	s_cselect_b32 s6, s11, s6
	s_delay_alu instid0(SALU_CYCLE_1) | instskip(SKIP_2) | instid1(SALU_CYCLE_1)
	s_sub_i32 s11, s6, s5
	s_cmp_ge_u32 s6, s5
	s_cselect_b32 s5, s11, s6
	s_xor_b32 s5, s5, s10
	s_delay_alu instid0(SALU_CYCLE_1)
	s_sub_i32 s5, s5, s10
	s_waitcnt lgkmcnt(0)
	s_mul_i32 s6, s5, s9
	s_mul_hi_u32 s9, s5, s8
	s_ashr_i32 s10, s5, 31
	s_add_i32 s6, s9, s6
	s_mul_i32 s10, s10, s8
	s_mul_i32 s5, s5, s8
	s_add_i32 s6, s6, s10
	s_add_u32 s40, s22, s5
	s_addc_u32 s41, s23, s6
.LBB73_2:
	s_clause 0x1
	s_load_b128 s[8:11], s[2:3], 0x40
	s_load_b64 s[22:23], s[2:3], 0x50
	v_mov_b32_e32 v53, 1.0
	s_waitcnt lgkmcnt(0)
	v_cmp_le_f32_e64 s5, s9, 0
	s_mul_hi_u32 s9, s46, s4
	s_delay_alu instid0(VALU_DEP_1)
	s_and_b32 vcc_lo, exec_lo, s5
	s_cbranch_vccnz .LBB73_4
; %bb.3:
	s_sub_i32 s4, s34, s22
	s_add_i32 s5, s34, 1
	s_lshl_b32 s4, s4, 1
	v_mov_b32_e32 v1, s10
	s_or_b32 s4, s4, 1
	s_cmp_lt_u32 s34, s22
	s_cselect_b32 vcc_lo, -1, 0
	s_delay_alu instid0(VALU_DEP_1)
	v_cndmask_b32_e32 v3, s11, v1, vcc_lo
	s_and_b32 s6, vcc_lo, exec_lo
	s_cselect_b32 s4, s5, s4
	s_mov_b32 s5, 0x3e76c4e1
	v_cvt_f32_i32_e32 v1, s4
	v_cmp_neq_f32_e32 vcc_lo, 1.0, v3
	s_delay_alu instid0(VALU_DEP_2) | instskip(NEXT) | instid1(VALU_DEP_1)
	v_cndmask_b32_e32 v4, 1.0, v1, vcc_lo
	v_cmp_eq_f32_e32 vcc_lo, 0, v4
	v_cndmask_b32_e64 v5, |v3|, 1.0, vcc_lo
	s_delay_alu instid0(VALU_DEP_1) | instskip(NEXT) | instid1(VALU_DEP_1)
	v_frexp_mant_f32_e32 v1, v5
	v_cmp_gt_f32_e64 s4, 0x3f2aaaab, v1
	s_delay_alu instid0(VALU_DEP_1) | instskip(NEXT) | instid1(VALU_DEP_1)
	v_cndmask_b32_e64 v2, 1.0, 2.0, s4
	v_mul_f32_e32 v1, v1, v2
	s_delay_alu instid0(VALU_DEP_1) | instskip(SKIP_1) | instid1(VALU_DEP_2)
	v_add_f32_e32 v2, 1.0, v1
	v_add_f32_e32 v7, -1.0, v1
	v_rcp_f32_e32 v6, v2
	s_waitcnt_depctr 0xfff
	v_mul_f32_e32 v8, v7, v6
	s_delay_alu instid0(VALU_DEP_1) | instskip(NEXT) | instid1(VALU_DEP_1)
	v_dual_add_f32 v9, -1.0, v2 :: v_dual_mul_f32 v10, v2, v8
	v_sub_f32_e32 v1, v1, v9
	v_cndmask_b32_e64 v3, v3, 1.0, vcc_lo
	s_delay_alu instid0(VALU_DEP_3) | instskip(NEXT) | instid1(VALU_DEP_2)
	v_fma_f32 v2, v8, v2, -v10
	v_cmp_eq_f32_e64 s6, 0, v3
	s_delay_alu instid0(VALU_DEP_2) | instskip(NEXT) | instid1(VALU_DEP_1)
	v_fmac_f32_e32 v2, v8, v1
	v_add_f32_e32 v1, v10, v2
	s_delay_alu instid0(VALU_DEP_1) | instskip(NEXT) | instid1(VALU_DEP_1)
	v_dual_sub_f32 v10, v1, v10 :: v_dual_sub_f32 v9, v7, v1
	v_dual_sub_f32 v2, v10, v2 :: v_dual_sub_f32 v7, v7, v9
	s_delay_alu instid0(VALU_DEP_1) | instskip(NEXT) | instid1(VALU_DEP_1)
	v_sub_f32_e32 v1, v7, v1
	v_add_f32_e32 v1, v2, v1
	s_delay_alu instid0(VALU_DEP_1) | instskip(NEXT) | instid1(VALU_DEP_1)
	v_add_f32_e32 v1, v9, v1
	v_mul_f32_e32 v1, v6, v1
	s_delay_alu instid0(VALU_DEP_1) | instskip(NEXT) | instid1(VALU_DEP_1)
	v_add_f32_e32 v6, v8, v1
	v_sub_f32_e32 v2, v6, v8
	v_mul_f32_e32 v7, v6, v6
	s_delay_alu instid0(VALU_DEP_2) | instskip(NEXT) | instid1(VALU_DEP_2)
	v_sub_f32_e32 v8, v1, v2
	v_fma_f32 v9, v6, v6, -v7
	s_delay_alu instid0(VALU_DEP_2) | instskip(NEXT) | instid1(VALU_DEP_1)
	v_add_f32_e32 v1, v8, v8
	v_fmac_f32_e32 v9, v6, v1
	v_cvt_f64_f32_e32 v[1:2], v5
	s_delay_alu instid0(VALU_DEP_2) | instskip(NEXT) | instid1(VALU_DEP_1)
	v_add_f32_e32 v10, v7, v9
	v_fmaak_f32 v11, s5, v10, 0x3e91f4c4
	v_sub_f32_e32 v7, v10, v7
	v_mul_f32_e32 v14, v6, v10
	s_delay_alu instid0(VALU_DEP_3) | instskip(NEXT) | instid1(VALU_DEP_3)
	v_fmaak_f32 v11, v10, v11, 0x3ecccdef
	v_sub_f32_e32 v7, v9, v7
	s_delay_alu instid0(VALU_DEP_2) | instskip(NEXT) | instid1(VALU_DEP_1)
	v_mul_f32_e32 v12, v10, v11
	v_fma_f32 v9, v10, v11, -v12
	s_delay_alu instid0(VALU_DEP_1) | instskip(NEXT) | instid1(VALU_DEP_1)
	v_fmac_f32_e32 v9, v7, v11
	v_add_f32_e32 v11, v12, v9
	v_frexp_exp_i32_f64_e32 v1, v[1:2]
	s_delay_alu instid0(VALU_DEP_2) | instskip(NEXT) | instid1(VALU_DEP_1)
	v_sub_f32_e32 v12, v11, v12
	v_sub_f32_e32 v2, v9, v12
	v_fma_f32 v12, v10, v6, -v14
	s_delay_alu instid0(VALU_DEP_2) | instskip(NEXT) | instid1(VALU_DEP_2)
	v_add_f32_e32 v2, 0x31739010, v2
	v_dual_add_f32 v13, 0x3f2aaaaa, v11 :: v_dual_fmac_f32 v12, v10, v8
	v_ldexp_f32 v8, v8, 1
	s_delay_alu instid0(VALU_DEP_2) | instskip(NEXT) | instid1(VALU_DEP_1)
	v_dual_add_f32 v9, 0xbf2aaaaa, v13 :: v_dual_fmac_f32 v12, v7, v6
	v_sub_f32_e32 v9, v11, v9
	s_delay_alu instid0(VALU_DEP_1) | instskip(NEXT) | instid1(VALU_DEP_3)
	v_add_f32_e32 v2, v2, v9
	v_add_f32_e32 v9, v14, v12
	s_delay_alu instid0(VALU_DEP_2) | instskip(NEXT) | instid1(VALU_DEP_1)
	v_add_f32_e32 v7, v13, v2
	v_sub_f32_e32 v10, v13, v7
	s_delay_alu instid0(VALU_DEP_3) | instskip(SKIP_2) | instid1(VALU_DEP_4)
	v_mul_f32_e32 v11, v9, v7
	v_sub_f32_e32 v13, v9, v14
	v_subrev_co_ci_u32_e64 v1, s4, 0, v1, s4
	v_add_f32_e32 v2, v2, v10
	s_delay_alu instid0(VALU_DEP_4) | instskip(NEXT) | instid1(VALU_DEP_4)
	v_fma_f32 v10, v9, v7, -v11
	v_sub_f32_e32 v12, v12, v13
	s_delay_alu instid0(VALU_DEP_4) | instskip(NEXT) | instid1(VALU_DEP_3)
	v_cvt_f32_i32_e32 v1, v1
	v_fmac_f32_e32 v10, v9, v2
	v_ldexp_f32 v2, v6, 1
	s_delay_alu instid0(VALU_DEP_2) | instskip(NEXT) | instid1(VALU_DEP_1)
	v_fmac_f32_e32 v10, v12, v7
	v_add_f32_e32 v6, v11, v10
	s_delay_alu instid0(VALU_DEP_1) | instskip(NEXT) | instid1(VALU_DEP_1)
	v_add_f32_e32 v7, v2, v6
	v_dual_sub_f32 v2, v7, v2 :: v_dual_sub_f32 v9, v6, v11
	s_delay_alu instid0(VALU_DEP_1) | instskip(NEXT) | instid1(VALU_DEP_2)
	v_sub_f32_e32 v2, v6, v2
	v_sub_f32_e32 v9, v10, v9
	s_delay_alu instid0(VALU_DEP_1) | instskip(NEXT) | instid1(VALU_DEP_1)
	v_add_f32_e32 v6, v8, v9
	v_dual_mul_f32 v11, 0x3f317218, v1 :: v_dual_add_f32 v2, v6, v2
	s_delay_alu instid0(VALU_DEP_1) | instskip(NEXT) | instid1(VALU_DEP_2)
	v_fma_f32 v10, 0x3f317218, v1, -v11
	v_add_f32_e32 v8, v7, v2
	s_delay_alu instid0(VALU_DEP_1) | instskip(NEXT) | instid1(VALU_DEP_1)
	v_sub_f32_e32 v7, v8, v7
	v_dual_fmamk_f32 v1, v1, 0xb102e308, v10 :: v_dual_sub_f32 v2, v2, v7
	s_delay_alu instid0(VALU_DEP_1) | instskip(NEXT) | instid1(VALU_DEP_1)
	v_add_f32_e32 v6, v11, v1
	v_add_f32_e32 v9, v6, v8
	s_delay_alu instid0(VALU_DEP_1) | instskip(NEXT) | instid1(VALU_DEP_1)
	v_dual_sub_f32 v11, v6, v11 :: v_dual_sub_f32 v10, v9, v6
	v_sub_f32_e32 v12, v9, v10
	s_delay_alu instid0(VALU_DEP_2) | instskip(NEXT) | instid1(VALU_DEP_2)
	v_sub_f32_e32 v1, v1, v11
	v_dual_sub_f32 v7, v8, v10 :: v_dual_sub_f32 v6, v6, v12
	s_delay_alu instid0(VALU_DEP_2) | instskip(NEXT) | instid1(VALU_DEP_2)
	v_add_f32_e32 v8, v1, v2
	v_add_f32_e32 v6, v7, v6
	s_delay_alu instid0(VALU_DEP_1) | instskip(NEXT) | instid1(VALU_DEP_1)
	v_add_f32_e32 v6, v8, v6
	v_dual_sub_f32 v7, v8, v1 :: v_dual_add_f32 v10, v9, v6
	s_delay_alu instid0(VALU_DEP_1) | instskip(SKIP_1) | instid1(VALU_DEP_3)
	v_sub_f32_e32 v8, v8, v7
	v_sub_f32_e32 v2, v2, v7
	;; [unrolled: 1-line block ×3, first 2 shown]
	s_delay_alu instid0(VALU_DEP_3) | instskip(NEXT) | instid1(VALU_DEP_1)
	v_sub_f32_e32 v1, v1, v8
	v_add_f32_e32 v1, v2, v1
	s_delay_alu instid0(VALU_DEP_3) | instskip(NEXT) | instid1(VALU_DEP_1)
	v_sub_f32_e32 v2, v6, v7
	v_add_f32_e32 v1, v1, v2
	s_delay_alu instid0(VALU_DEP_1) | instskip(NEXT) | instid1(VALU_DEP_1)
	v_add_f32_e32 v2, v10, v1
	v_mul_f32_e32 v7, v4, v2
	v_sub_f32_e32 v6, v2, v10
	s_delay_alu instid0(VALU_DEP_2) | instskip(NEXT) | instid1(VALU_DEP_2)
	v_fma_f32 v2, v4, v2, -v7
	v_sub_f32_e32 v1, v1, v6
	v_cmp_class_f32_e64 s4, v7, 0x204
	s_delay_alu instid0(VALU_DEP_2) | instskip(NEXT) | instid1(VALU_DEP_1)
	v_fmac_f32_e32 v2, v4, v1
	v_add_f32_e32 v1, v7, v2
	s_delay_alu instid0(VALU_DEP_1) | instskip(NEXT) | instid1(VALU_DEP_1)
	v_cndmask_b32_e64 v6, v1, v7, s4
	v_cmp_eq_f32_e64 s4, 0x42b17218, v6
	s_delay_alu instid0(VALU_DEP_1) | instskip(SKIP_1) | instid1(VALU_DEP_2)
	v_cndmask_b32_e64 v8, 0, 0x37000000, s4
	v_cmp_neq_f32_e64 s4, 0x7f800000, |v6|
	v_sub_f32_e32 v9, v6, v8
	v_trunc_f32_e32 v6, v4
	s_delay_alu instid0(VALU_DEP_2) | instskip(NEXT) | instid1(VALU_DEP_1)
	v_mul_f32_e32 v10, 0x3fb8aa3b, v9
	v_fma_f32 v11, 0x3fb8aa3b, v9, -v10
	v_rndne_f32_e32 v12, v10
	s_delay_alu instid0(VALU_DEP_1) | instskip(NEXT) | instid1(VALU_DEP_1)
	v_dual_fmamk_f32 v11, v9, 0x32a5705f, v11 :: v_dual_sub_f32 v10, v10, v12
	v_add_f32_e32 v10, v10, v11
	v_sub_f32_e32 v1, v1, v7
	v_cvt_i32_f32_e32 v7, v12
	s_delay_alu instid0(VALU_DEP_3) | instskip(NEXT) | instid1(VALU_DEP_2)
	v_exp_f32_e32 v10, v10
	v_sub_f32_e32 v1, v2, v1
	s_delay_alu instid0(VALU_DEP_1)
	v_cndmask_b32_e64 v1, 0, v1, s4
	v_cmp_ngt_f32_e64 s4, 0xc2ce8ed0, v9
	s_waitcnt_depctr 0xfff
	v_ldexp_f32 v2, v10, v7
	v_mul_f32_e32 v7, 0.5, v4
	v_add_f32_e32 v1, v8, v1
	s_delay_alu instid0(VALU_DEP_3) | instskip(NEXT) | instid1(VALU_DEP_3)
	v_cndmask_b32_e64 v2, 0, v2, s4
	v_trunc_f32_e32 v10, v7
	v_cmp_nlt_f32_e64 s4, 0x42b17218, v9
	s_delay_alu instid0(VALU_DEP_2) | instskip(NEXT) | instid1(VALU_DEP_2)
	v_cmp_neq_f32_e64 s5, v10, v7
	v_cndmask_b32_e64 v2, 0x7f800000, v2, s4
	v_cmp_eq_f32_e64 s4, v6, v4
	s_delay_alu instid0(VALU_DEP_2) | instskip(NEXT) | instid1(VALU_DEP_2)
	v_fma_f32 v1, v2, v1, v2
	s_and_b32 vcc_lo, s4, s5
	v_cmp_class_f32_e64 s5, v2, 0x204
	v_cndmask_b32_e32 v6, 1.0, v3, vcc_lo
	s_delay_alu instid0(VALU_DEP_2) | instskip(SKIP_1) | instid1(VALU_DEP_2)
	v_cndmask_b32_e64 v1, v1, v2, s5
	v_cmp_gt_f32_e64 s5, 0, v4
	v_bfi_b32 v1, 0x7fffffff, v1, v6
	v_cndmask_b32_e32 v6, 0, v3, vcc_lo
	s_delay_alu instid0(VALU_DEP_3)
	s_xor_b32 s5, s5, s6
	v_cmp_eq_f32_e32 vcc_lo, 0x7f800000, v5
	v_cndmask_b32_e64 v2, 0x7f800000, 0, s5
	v_cndmask_b32_e64 v4, 0x7fc00000, v1, s4
	v_cmp_gt_f32_e64 s4, 0, v3
	s_or_b32 vcc_lo, vcc_lo, s6
	s_delay_alu instid0(VALU_DEP_3) | instskip(NEXT) | instid1(VALU_DEP_2)
	v_bfi_b32 v2, 0x7fffffff, v2, v6
	v_cndmask_b32_e64 v1, v1, v4, s4
	s_delay_alu instid0(VALU_DEP_1) | instskip(SKIP_1) | instid1(VALU_DEP_2)
	v_cndmask_b32_e32 v1, v1, v2, vcc_lo
	v_cmp_o_f32_e32 vcc_lo, v3, v3
	v_cndmask_b32_e32 v53, 0x7fc00000, v1, vcc_lo
.LBB73_4:
	v_bfe_u32 v50, v0, 10, 10
	s_load_b128 s[48:51], s[2:3], 0x70
	s_ashr_i32 s35, s34, 31
	s_ashr_i32 s10, s7, 31
	s_delay_alu instid0(VALU_DEP_1) | instskip(SKIP_1) | instid1(VALU_DEP_2)
	v_lshl_add_u32 v2, s13, 2, v50
	v_lshlrev_b32_e32 v11, 7, v50
	v_mul_hi_u32 v1, s36, v2
	s_delay_alu instid0(VALU_DEP_1) | instskip(SKIP_3) | instid1(VALU_DEP_1)
	v_add_nc_u32_e32 v1, v2, v1
	s_waitcnt lgkmcnt(0)
	s_mul_i32 s4, s33, s50
	s_mul_i32 s5, s34, s49
	v_lshrrev_b32_e32 v1, s37, v1
	s_ashr_i32 s6, s4, 31
	s_add_u32 s4, s16, s4
	s_addc_u32 s6, s17, s6
	s_ashr_i32 s7, s5, 31
	v_mul_lo_u32 v1, v1, s38
	s_add_u32 s4, s4, s5
	s_addc_u32 s5, s6, s7
	s_ashr_i32 s6, s48, 31
	s_delay_alu instid0(SALU_CYCLE_1) | instskip(SKIP_2) | instid1(VALU_DEP_2)
	v_alignbit_b32 v5, s6, s48, 2
	s_lshr_b32 s6, s6, 2
	s_cmp_eq_u64 s[26:27], 0
	v_sub_nc_u32_e32 v54, v2, v1
	s_delay_alu instid0(VALU_DEP_1) | instskip(NEXT) | instid1(VALU_DEP_1)
	v_mad_u64_u32 v[3:4], null, v5, v54, 0
	v_mov_b32_e32 v1, v4
	s_delay_alu instid0(VALU_DEP_1) | instskip(SKIP_1) | instid1(VALU_DEP_1)
	v_mad_u64_u32 v[4:5], null, s6, v54, v[1:2]
	v_and_b32_e32 v1, 0x3ff, v0
	v_lshlrev_b32_e32 v5, 4, v1
	s_delay_alu instid0(VALU_DEP_3) | instskip(SKIP_2) | instid1(VALU_DEP_2)
	v_lshlrev_b64 v[3:4], 2, v[3:4]
	v_lshlrev_b32_e32 v51, 1, v1
	v_lshlrev_b32_e32 v41, 2, v1
	v_add_lshl_u32 v15, v51, v11, 2
	s_delay_alu instid0(VALU_DEP_4) | instskip(SKIP_2) | instid1(VALU_DEP_2)
	v_add_co_u32 v3, vcc_lo, s4, v3
	v_add_co_ci_u32_e32 v4, vcc_lo, s5, v4, vcc_lo
	s_mov_b32 s5, 0
	v_add_co_u32 v7, vcc_lo, v3, v5
	s_delay_alu instid0(VALU_DEP_2)
	v_add_co_ci_u32_e32 v8, vcc_lo, 0, v4, vcc_lo
	s_clause 0x1
	global_load_b128 v[3:6], v[7:8], off
	global_load_b128 v[7:10], v[7:8], off offset:512
	s_waitcnt vmcnt(1)
	v_fma_mixlo_f16 v12, v5, s8, 0
	v_fma_mixlo_f16 v11, v3, s8, 0
	s_waitcnt vmcnt(0)
	v_fma_mixlo_f16 v14, v9, s8, 0
	v_fma_mixlo_f16 v13, v7, s8, 0
	v_add_nc_u32_e32 v3, 0x4000, v15
	v_fma_mixhi_f16 v12, v6, s8, 0
	v_fma_mixhi_f16 v11, v4, s8, 0
	;; [unrolled: 1-line block ×4, first 2 shown]
	ds_store_2addr_b64 v3, v[11:12], v[13:14] offset0:64 offset1:96
	s_waitcnt lgkmcnt(0)
	s_barrier
	buffer_gl0_inv
	s_cbranch_scc1 .LBB73_6
; %bb.5:
	s_load_b32 s4, s[2:3], 0xd0
	s_waitcnt lgkmcnt(0)
	s_mul_i32 s4, s4, s33
	s_delay_alu instid0(SALU_CYCLE_1) | instskip(NEXT) | instid1(SALU_CYCLE_1)
	s_add_i32 s4, s4, s13
	s_lshl_b64 s[4:5], s[4:5], 2
	s_delay_alu instid0(SALU_CYCLE_1)
	s_add_u32 s4, s26, s4
	s_addc_u32 s5, s27, s5
	s_load_b32 s42, s[4:5], 0x0
.LBB73_6:
	s_clause 0x2
	s_load_b64 s[16:17], s[2:3], 0x8c
	s_load_b128 s[4:7], s[2:3], 0x98
	s_load_b64 s[26:27], s[2:3], 0xa8
	s_ashr_i32 s11, s33, 31
	s_ashr_i32 s12, s45, 1
	s_mul_i32 s13, s9, s43
	v_dual_mov_b32 v45, 0 :: v_dual_lshlrev_b32 v52, 9, v50
	v_lshlrev_b32_e32 v49, 2, v41
	v_mul_u32_u24_e32 v55, 0x210, v1
	v_lshlrev_b32_e32 v44, 3, v1
	v_mbcnt_lo_u32_b32 v42, -1, 0
	s_waitcnt lgkmcnt(0)
	s_ashr_i32 s8, s16, 2
	s_ashr_i32 s15, s6, 2
	s_mul_i32 s5, s33, s5
	s_mul_hi_u32 s6, s33, s4
	s_mul_i32 s16, s11, s4
	s_add_i32 s5, s6, s5
	s_mul_i32 s4, s33, s4
	s_add_i32 s5, s5, s16
	s_add_u32 s4, s18, s4
	s_addc_u32 s5, s19, s5
	s_xor_b32 s6, s35, s10
	s_sub_i32 s10, s46, s13
	s_add_i32 s13, s9, 1
	s_sub_i32 s16, s10, s43
	s_cmp_ge_u32 s10, s43
	v_mul_lo_u32 v6, s8, v50
	s_cselect_b32 s9, s13, s9
	s_cselect_b32 s10, s16, s10
	s_add_i32 s13, s9, 1
	s_cmp_ge_u32 s10, s43
	v_mul_lo_u32 v3, s15, v50
	s_cselect_b32 s9, s13, s9
	s_mul_i32 s22, s33, s27
	s_xor_b32 s9, s9, s6
	s_mul_hi_u32 s18, s33, s26
	s_sub_i32 s13, s9, s6
	s_mul_i32 s11, s11, s26
	s_mul_i32 s6, s13, s17
	s_mul_i32 s10, s33, s26
	s_ashr_i32 s9, s6, 31
	s_add_u32 s6, s4, s6
	s_addc_u32 s9, s5, s9
	s_add_i32 s4, s18, s22
	s_mul_i32 s13, s13, s7
	s_add_i32 s4, s4, s11
	s_add_u32 s5, s20, s10
	s_addc_u32 s4, s21, s4
	s_ashr_i32 s7, s13, 31
	v_ashrrev_i32_e32 v7, 31, v6
	s_add_u32 s17, s5, s13
	v_ashrrev_i32_e32 v4, 31, v3
	s_addc_u32 s16, s4, s7
	s_lshl_b32 s18, s14, 5
	s_sub_i32 s7, s42, 32
	s_delay_alu instid0(SALU_CYCLE_1)
	s_cmp_ge_i32 s18, s7
	s_cbranch_scc1 .LBB73_17
; %bb.7:
	s_lshl_b32 s4, s8, 2
	s_cmp_lg_u64 s[40:41], 0
	v_dual_mov_b32 v46, 0 :: v_dual_add_nc_u32 v11, s4, v6
	s_cselect_b32 s10, -1, 0
	s_lshl_b32 s5, s15, 2
	v_mad_u32_u24 v56, 0x210, v50, v49
	v_add_nc_u32_e32 v27, s5, v3
	v_dual_mov_b32 v76, 0xfeffffff :: v_dual_add_nc_u32 v13, s4, v11
	v_ashrrev_i32_e32 v12, 31, v11
	v_lshl_add_u32 v58, v50, 6, 0x4a00
	s_delay_alu instid0(VALU_DEP_4) | instskip(NEXT) | instid1(VALU_DEP_4)
	v_add_nc_u32_e32 v29, s5, v27
	v_add_nc_u32_e32 v15, s4, v13
	v_ashrrev_i32_e32 v14, 31, v13
	v_ashrrev_i32_e32 v28, 31, v27
	v_add_nc_u32_e32 v59, v52, v49
	v_add_nc_u32_e32 v31, s5, v29
	;; [unrolled: 1-line block ×3, first 2 shown]
	v_ashrrev_i32_e32 v16, 31, v15
	v_ashrrev_i32_e32 v30, 31, v29
	v_mad_u64_u32 v[8:9], null, v54, s12, v[1:2]
	v_add_nc_u32_e32 v33, s5, v31
	v_add_nc_u32_e32 v19, s4, v17
	v_ashrrev_i32_e32 v18, 31, v17
	v_ashrrev_i32_e32 v32, 31, v31
	v_lshlrev_b64 v[9:10], 2, v[6:7]
	v_add_nc_u32_e32 v35, s5, v33
	v_add_nc_u32_e32 v21, s4, v19
	v_ashrrev_i32_e32 v20, 31, v19
	v_ashrrev_i32_e32 v34, 31, v33
	v_lshlrev_b64 v[11:12], 2, v[11:12]
	;; [unrolled: 5-line block ×3, first 2 shown]
	v_add_nc_u32_e32 v39, s5, v37
	v_ashrrev_i32_e32 v24, 31, v23
	v_ashrrev_i32_e32 v38, 31, v37
	v_lshlrev_b64 v[15:16], 2, v[15:16]
	v_lshlrev_b64 v[17:18], 2, v[17:18]
	v_ashrrev_i32_e32 v40, 31, v39
	v_lshlrev_b64 v[19:20], 2, v[19:20]
	v_lshlrev_b64 v[21:22], 2, v[21:22]
	;; [unrolled: 1-line block ×11, first 2 shown]
	v_dual_mov_b32 v48, 0 :: v_dual_add_nc_u32 v57, 0x4200, v52
	v_dual_mov_b32 v43, 0 :: v_dual_add_nc_u32 v60, 0x840, v56
	v_add_nc_u32_e32 v61, 0x1080, v56
	v_dual_mov_b32 v47, 0 :: v_dual_add_nc_u32 v62, 0x18c0, v56
	v_add_nc_u32_e32 v63, 0x2100, v56
	;; [unrolled: 2-line block ×3, first 2 shown]
	v_add_nc_u32_e32 v66, 0x39c0, v56
	v_lshl_add_u32 v67, v1, 1, v58
	v_add_nc_u32_e32 v68, 0x800, v59
	v_add_nc_u32_e32 v69, 0x1000, v59
	;; [unrolled: 1-line block ×7, first 2 shown]
	v_mbcnt_lo_u32_b32 v75, -1, 0
	s_add_u32 s4, s2, 0xd0
	s_addc_u32 s5, s3, 0
	s_mov_b32 s11, 0xbbbac73d
.LBB73_8:                               ; =>This Inner Loop Header: Depth=1
	s_mul_hi_i32 s21, s18, s8
	s_mul_i32 s20, s18, s8
	s_delay_alu instid0(SALU_CYCLE_1) | instskip(NEXT) | instid1(SALU_CYCLE_1)
	s_lshl_b64 s[20:21], s[20:21], 2
	s_add_u32 s13, s6, s20
	s_addc_u32 s19, s9, s21
	v_add_co_u32 v5, vcc_lo, s13, v9
	v_add_co_ci_u32_e32 v78, vcc_lo, s19, v10, vcc_lo
	v_add_co_u32 v79, vcc_lo, s13, v11
	v_add_co_ci_u32_e32 v80, vcc_lo, s19, v12, vcc_lo
	s_delay_alu instid0(VALU_DEP_4) | instskip(NEXT) | instid1(VALU_DEP_4)
	v_add_co_u32 v77, vcc_lo, v5, v49
	v_add_co_ci_u32_e32 v78, vcc_lo, 0, v78, vcc_lo
	s_delay_alu instid0(VALU_DEP_4) | instskip(NEXT) | instid1(VALU_DEP_4)
	v_add_co_u32 v81, vcc_lo, v79, v49
	v_add_co_ci_u32_e32 v82, vcc_lo, 0, v80, vcc_lo
	v_add_co_u32 v5, vcc_lo, s13, v13
	v_add_co_ci_u32_e32 v86, vcc_lo, s19, v14, vcc_lo
	v_add_co_u32 v87, vcc_lo, s13, v15
	v_add_co_ci_u32_e32 v88, vcc_lo, s19, v16, vcc_lo
	s_delay_alu instid0(VALU_DEP_4) | instskip(NEXT) | instid1(VALU_DEP_4)
	v_add_co_u32 v85, vcc_lo, v5, v49
	v_add_co_ci_u32_e32 v86, vcc_lo, 0, v86, vcc_lo
	s_delay_alu instid0(VALU_DEP_4) | instskip(NEXT) | instid1(VALU_DEP_4)
	v_add_co_u32 v89, vcc_lo, v87, v49
	v_add_co_ci_u32_e32 v90, vcc_lo, 0, v88, vcc_lo
	v_add_co_u32 v5, vcc_lo, s13, v17
	v_add_co_ci_u32_e32 v87, vcc_lo, s19, v18, vcc_lo
	v_add_co_u32 v88, vcc_lo, s13, v19
	v_add_co_ci_u32_e32 v91, vcc_lo, s19, v20, vcc_lo
	s_delay_alu instid0(VALU_DEP_4) | instskip(NEXT) | instid1(VALU_DEP_4)
	v_add_co_u32 v93, vcc_lo, v5, v49
	v_add_co_ci_u32_e32 v94, vcc_lo, 0, v87, vcc_lo
	s_delay_alu instid0(VALU_DEP_4) | instskip(NEXT) | instid1(VALU_DEP_4)
	v_add_co_u32 v97, vcc_lo, v88, v49
	v_add_co_ci_u32_e32 v98, vcc_lo, 0, v91, vcc_lo
	v_add_co_u32 v5, vcc_lo, s13, v21
	v_add_co_ci_u32_e32 v87, vcc_lo, s19, v22, vcc_lo
	v_add_co_u32 v88, vcc_lo, s13, v23
	v_add_co_ci_u32_e32 v91, vcc_lo, s19, v24, vcc_lo
	s_delay_alu instid0(VALU_DEP_4) | instskip(NEXT) | instid1(VALU_DEP_4)
	v_add_co_u32 v101, vcc_lo, v5, v49
	v_add_co_ci_u32_e32 v102, vcc_lo, 0, v87, vcc_lo
	s_delay_alu instid0(VALU_DEP_4) | instskip(NEXT) | instid1(VALU_DEP_4)
	v_add_co_u32 v105, vcc_lo, v88, v49
	v_add_co_ci_u32_e32 v106, vcc_lo, 0, v91, vcc_lo
	s_clause 0x7
	global_load_b128 v[77:80], v[77:78], off
	global_load_b128 v[81:84], v[81:82], off
	;; [unrolled: 1-line block ×8, first 2 shown]
	v_mov_b32_e32 v5, 0
	s_waitcnt vmcnt(7)
	ds_store_b128 v56, v[77:80]
	s_waitcnt vmcnt(6)
	ds_store_b128 v60, v[81:84]
	;; [unrolled: 2-line block ×8, first 2 shown]
	s_waitcnt lgkmcnt(0)
	s_barrier
	buffer_gl0_inv
	ds_load_b128 v[77:80], v55
	ds_load_b128 v[81:84], v57
	s_waitcnt lgkmcnt(0)
	;;#ASMSTART
	v_dot2_f32_f16 v5, v77, v81, v5
	;;#ASMEND
	;;#ASMSTART
	v_dot2_f32_f16 v5, v78, v82, v5
	;;#ASMEND
	;;#ASMSTART
	v_dot2_f32_f16 v5, v79, v83, v5
	;;#ASMEND
	;;#ASMSTART
	v_dot2_f32_f16 v5, v80, v84, v5
	;;#ASMEND
	ds_load_b128 v[77:80], v55 offset:16
	ds_load_b128 v[81:84], v57 offset:16
	s_waitcnt lgkmcnt(0)
	;;#ASMSTART
	v_dot2_f32_f16 v5, v77, v81, v5
	;;#ASMEND
	;;#ASMSTART
	v_dot2_f32_f16 v5, v78, v82, v5
	;;#ASMEND
	;;#ASMSTART
	v_dot2_f32_f16 v5, v79, v83, v5
	;;#ASMEND
	;;#ASMSTART
	v_dot2_f32_f16 v5, v80, v84, v5
	;;#ASMEND
	ds_load_b128 v[77:80], v55 offset:32
	ds_load_b128 v[81:84], v57 offset:32
	;; [unrolled: 15-line block ×31, first 2 shown]
	s_waitcnt lgkmcnt(0)
	;;#ASMSTART
	v_dot2_f32_f16 v5, v77, v81, v5
	;;#ASMEND
	;;#ASMSTART
	v_dot2_f32_f16 v5, v78, v82, v5
	;;#ASMEND
	;; [unrolled: 3-line block ×4, first 2 shown]
	v_cmp_ngt_f32_e64 s13, 0x3f200000, |v5|
                                        ; implicit-def: $vgpr77
	s_delay_alu instid0(VALU_DEP_1) | instskip(NEXT) | instid1(SALU_CYCLE_1)
	s_and_saveexec_b32 s19, s13
	s_xor_b32 s13, exec_lo, s19
	s_cbranch_execnz .LBB73_12
; %bb.9:                                ;   in Loop: Header=BB73_8 Depth=1
	s_and_not1_saveexec_b32 s13, s13
	s_cbranch_execnz .LBB73_13
.LBB73_10:                              ;   in Loop: Header=BB73_8 Depth=1
	s_or_b32 exec_lo, exec_lo, s13
	s_delay_alu instid0(SALU_CYCLE_1)
	s_and_not1_b32 vcc_lo, exec_lo, s10
	s_cbranch_vccnz .LBB73_14
.LBB73_11:                              ;   in Loop: Header=BB73_8 Depth=1
	v_add_nc_u32_e32 v78, s18, v8
	s_delay_alu instid0(VALU_DEP_1) | instskip(NEXT) | instid1(VALU_DEP_1)
	v_ashrrev_i32_e32 v79, 31, v78
	v_lshlrev_b64 v[78:79], 1, v[78:79]
	s_delay_alu instid0(VALU_DEP_1) | instskip(NEXT) | instid1(VALU_DEP_2)
	v_add_co_u32 v78, vcc_lo, s40, v78
	v_add_co_ci_u32_e32 v79, vcc_lo, s41, v79, vcc_lo
	flat_load_u16 v78, v[78:79]
	s_waitcnt vmcnt(0) lgkmcnt(0)
	v_cvt_f32_f16_e32 v78, v78
	s_delay_alu instid0(VALU_DEP_1)
	v_mul_f32_e32 v78, v53, v78
	s_branch .LBB73_15
.LBB73_12:                              ;   in Loop: Header=BB73_8 Depth=1
	v_add_f32_e64 v77, |v5|, |v5|
	s_delay_alu instid0(VALU_DEP_1) | instskip(SKIP_1) | instid1(VALU_DEP_2)
	v_mul_f32_e32 v78, 0x3fb8aa3b, v77
	v_cmp_ngt_f32_e32 vcc_lo, 0xc2ce8ed0, v77
	v_rndne_f32_e32 v79, v78
	v_fma_f32 v80, 0x3fb8aa3b, v77, -v78
	s_delay_alu instid0(VALU_DEP_2) | instskip(NEXT) | instid1(VALU_DEP_2)
	v_sub_f32_e32 v78, v78, v79
	v_fmac_f32_e32 v80, 0x32a5705f, v77
	v_cvt_i32_f32_e32 v79, v79
	s_delay_alu instid0(VALU_DEP_2) | instskip(NEXT) | instid1(VALU_DEP_1)
	v_add_f32_e32 v78, v78, v80
	v_exp_f32_e32 v78, v78
	s_waitcnt_depctr 0xfff
	v_ldexp_f32 v78, v78, v79
	s_delay_alu instid0(VALU_DEP_1) | instskip(SKIP_1) | instid1(VALU_DEP_2)
	v_cndmask_b32_e32 v78, 0, v78, vcc_lo
	v_cmp_nlt_f32_e32 vcc_lo, 0x42b17218, v77
	v_cndmask_b32_e32 v77, 0x7f800000, v78, vcc_lo
	s_delay_alu instid0(VALU_DEP_1) | instskip(NEXT) | instid1(VALU_DEP_1)
	v_add_f32_e32 v77, 1.0, v77
	v_rcp_f32_e32 v77, v77
	s_waitcnt_depctr 0xfff
	v_fma_f32 v77, v77, -2.0, 1.0
	s_and_not1_saveexec_b32 s13, s13
	s_cbranch_execz .LBB73_10
.LBB73_13:                              ;   in Loop: Header=BB73_8 Depth=1
	v_mul_f32_e32 v77, v5, v5
	s_delay_alu instid0(VALU_DEP_1) | instskip(NEXT) | instid1(VALU_DEP_1)
	v_fmaak_f32 v78, s11, v77, 0x3ca908c9
	v_fmaak_f32 v78, v77, v78, 0xbd5c1c4e
	s_delay_alu instid0(VALU_DEP_1) | instskip(NEXT) | instid1(VALU_DEP_1)
	v_fmaak_f32 v78, v77, v78, 0x3e088382
	v_fmaak_f32 v78, v77, v78, 0xbeaaaa99
	s_delay_alu instid0(VALU_DEP_1) | instskip(NEXT) | instid1(VALU_DEP_1)
	v_mul_f32_e64 v78, |v5|, v78
	v_fma_f32 v77, v77, v78, |v5|
	s_or_b32 exec_lo, exec_lo, s13
	s_delay_alu instid0(SALU_CYCLE_1)
	s_and_not1_b32 vcc_lo, exec_lo, s10
	s_cbranch_vccz .LBB73_11
.LBB73_14:                              ;   in Loop: Header=BB73_8 Depth=1
	v_mov_b32_e32 v78, 0
.LBB73_15:                              ;   in Loop: Header=BB73_8 Depth=1
	s_mul_hi_i32 s21, s18, s15
	s_mul_i32 s20, s18, s15
	s_delay_alu instid0(SALU_CYCLE_1)
	s_lshl_b64 s[20:21], s[20:21], 2
	s_barrier
	s_add_u32 s13, s17, s20
	s_addc_u32 s19, s16, s21
	v_add_co_u32 v79, vcc_lo, s13, v25
	v_add_co_ci_u32_e32 v80, vcc_lo, s19, v26, vcc_lo
	v_add_co_u32 v81, vcc_lo, s13, v27
	v_add_co_ci_u32_e32 v82, vcc_lo, s19, v28, vcc_lo
	s_delay_alu instid0(VALU_DEP_4) | instskip(NEXT) | instid1(VALU_DEP_4)
	v_add_co_u32 v79, vcc_lo, v79, v49
	v_add_co_ci_u32_e32 v80, vcc_lo, 0, v80, vcc_lo
	s_delay_alu instid0(VALU_DEP_4) | instskip(NEXT) | instid1(VALU_DEP_4)
	v_add_co_u32 v83, vcc_lo, v81, v49
	v_add_co_ci_u32_e32 v84, vcc_lo, 0, v82, vcc_lo
	v_add_co_u32 v87, vcc_lo, s13, v29
	v_add_co_ci_u32_e32 v88, vcc_lo, s19, v30, vcc_lo
	v_add_co_u32 v89, vcc_lo, s13, v31
	v_add_co_ci_u32_e32 v90, vcc_lo, s19, v32, vcc_lo
	s_delay_alu instid0(VALU_DEP_4) | instskip(NEXT) | instid1(VALU_DEP_4)
	v_add_co_u32 v87, vcc_lo, v87, v49
	v_add_co_ci_u32_e32 v88, vcc_lo, 0, v88, vcc_lo
	s_delay_alu instid0(VALU_DEP_4) | instskip(NEXT) | instid1(VALU_DEP_4)
	v_add_co_u32 v91, vcc_lo, v89, v49
	v_add_co_ci_u32_e32 v92, vcc_lo, 0, v90, vcc_lo
	;; [unrolled: 10-line block ×4, first 2 shown]
	buffer_gl0_inv
	s_clause 0x7
	global_load_b128 v[79:82], v[79:80], off
	global_load_b128 v[83:86], v[83:84], off
	;; [unrolled: 1-line block ×8, first 2 shown]
	v_bfi_b32 v5, 0x7fffffff, v77, v5
	v_xor_b32_e32 v77, 16, v75
	v_add_nc_u32_e32 v131, 0x1800, v44
	v_add_nc_u32_e32 v135, 0x3000, v44
	v_add_nc_u32_e32 v120, 0x800, v44
	v_dual_fmac_f32 v78, s23, v5 :: v_dual_max_f32 v5, v76, v76
	v_cmp_gt_i32_e32 vcc_lo, 32, v77
	v_add_nc_u32_e32 v130, 0x1000, v44
	v_add_nc_u32_e32 v132, 0x2000, v44
	s_delay_alu instid0(VALU_DEP_4) | instskip(SKIP_1) | instid1(VALU_DEP_2)
	v_add_f32_e32 v111, 0x40051340, v78
	v_dual_cndmask_b32 v77, v75, v77 :: v_dual_add_nc_u32 v134, 0x2800, v44
	v_dual_max_f32 v5, v5, v111 :: v_dual_add_nc_u32 v136, 0x3800, v44
	v_xor_b32_e32 v111, 8, v75
	s_delay_alu instid0(VALU_DEP_3) | instskip(NEXT) | instid1(VALU_DEP_2)
	v_lshlrev_b32_e32 v77, 2, v77
	v_cmp_gt_i32_e32 vcc_lo, 32, v111
	ds_bpermute_b32 v77, v77, v5
	v_cndmask_b32_e32 v111, v75, v111, vcc_lo
	s_delay_alu instid0(VALU_DEP_1) | instskip(SKIP_2) | instid1(VALU_DEP_1)
	v_lshlrev_b32_e32 v111, 2, v111
	s_waitcnt lgkmcnt(0)
	v_max_f32_e32 v77, v77, v77
	v_max_f32_e32 v5, v5, v77
	ds_bpermute_b32 v77, v111, v5
	v_xor_b32_e32 v111, 4, v75
	s_delay_alu instid0(VALU_DEP_1) | instskip(SKIP_1) | instid1(VALU_DEP_1)
	v_cmp_gt_i32_e32 vcc_lo, 32, v111
	v_cndmask_b32_e32 v111, v75, v111, vcc_lo
	v_lshlrev_b32_e32 v111, 2, v111
	s_waitcnt lgkmcnt(0)
	v_max_f32_e32 v77, v77, v77
	s_delay_alu instid0(VALU_DEP_1) | instskip(SKIP_2) | instid1(VALU_DEP_1)
	v_max_f32_e32 v5, v5, v77
	ds_bpermute_b32 v77, v111, v5
	v_xor_b32_e32 v111, 2, v75
	v_cmp_gt_i32_e32 vcc_lo, 32, v111
	v_cndmask_b32_e32 v111, v75, v111, vcc_lo
	s_delay_alu instid0(VALU_DEP_1) | instskip(SKIP_2) | instid1(VALU_DEP_1)
	v_lshlrev_b32_e32 v111, 2, v111
	s_waitcnt lgkmcnt(0)
	v_max_f32_e32 v77, v77, v77
	v_max_f32_e32 v5, v5, v77
	ds_bpermute_b32 v77, v111, v5
	v_xor_b32_e32 v111, 1, v75
	s_delay_alu instid0(VALU_DEP_1) | instskip(SKIP_1) | instid1(VALU_DEP_1)
	v_cmp_gt_i32_e32 vcc_lo, 32, v111
	v_cndmask_b32_e32 v111, v75, v111, vcc_lo
	v_lshlrev_b32_e32 v111, 2, v111
	s_waitcnt lgkmcnt(0)
	v_max_f32_e32 v77, v77, v77
	s_delay_alu instid0(VALU_DEP_1) | instskip(SKIP_3) | instid1(VALU_DEP_1)
	v_max_f32_e32 v5, v5, v77
	ds_bpermute_b32 v77, v111, v5
	s_waitcnt lgkmcnt(0)
	v_max_f32_e32 v77, v77, v77
	v_max_f32_e32 v5, v5, v77
	s_delay_alu instid0(VALU_DEP_1) | instskip(SKIP_1) | instid1(VALU_DEP_1)
	v_sub_f32_e32 v77, v78, v5
	v_sub_f32_e32 v76, v76, v5
	v_dual_mul_f32 v78, 0x3fb8aa3b, v77 :: v_dual_mul_f32 v113, 0x3fb8aa3b, v76
	v_cmp_ngt_f32_e32 vcc_lo, 0xc2ce8ed0, v77
	s_delay_alu instid0(VALU_DEP_2) | instskip(SKIP_1) | instid1(VALU_DEP_4)
	v_fma_f32 v111, 0x3fb8aa3b, v77, -v78
	v_rndne_f32_e32 v112, v78
	v_fma_f32 v114, 0x3fb8aa3b, v76, -v113
	v_rndne_f32_e32 v115, v113
	s_delay_alu instid0(VALU_DEP_3) | instskip(NEXT) | instid1(VALU_DEP_3)
	v_dual_fmac_f32 v111, 0x32a5705f, v77 :: v_dual_sub_f32 v78, v78, v112
	v_fmac_f32_e32 v114, 0x32a5705f, v76
	v_cvt_i32_f32_e32 v112, v112
	s_delay_alu instid0(VALU_DEP_3) | instskip(SKIP_1) | instid1(VALU_DEP_2)
	v_add_f32_e32 v78, v78, v111
	v_sub_f32_e32 v111, v113, v115
	v_exp_f32_e32 v78, v78
	s_delay_alu instid0(VALU_DEP_1) | instskip(NEXT) | instid1(VALU_DEP_1)
	v_add_f32_e32 v111, v111, v114
	v_exp_f32_e32 v111, v111
	s_waitcnt_depctr 0xfff
	v_ldexp_f32 v78, v78, v112
	v_cvt_i32_f32_e32 v112, v115
	s_delay_alu instid0(VALU_DEP_2) | instskip(SKIP_1) | instid1(VALU_DEP_3)
	v_cndmask_b32_e32 v78, 0, v78, vcc_lo
	v_cmp_nlt_f32_e32 vcc_lo, 0x42b17218, v77
	v_ldexp_f32 v111, v111, v112
	s_delay_alu instid0(VALU_DEP_3) | instskip(SKIP_1) | instid1(VALU_DEP_2)
	v_cndmask_b32_e32 v128, 0x7f800000, v78, vcc_lo
	v_cmp_ngt_f32_e32 vcc_lo, 0xc2ce8ed0, v76
	v_cvt_f16_f32_e64 v78, v128
	s_delay_alu instid0(VALU_DEP_4)
	v_cndmask_b32_e32 v77, 0, v111, vcc_lo
	v_cmp_nlt_f32_e32 vcc_lo, 0x42b17218, v76
	ds_store_b16 v67, v78
	s_waitcnt vmcnt(7)
	ds_store_b128 v59, v[79:82]
	s_waitcnt vmcnt(6)
	ds_store_b128 v68, v[83:86]
	;; [unrolled: 2-line block ×8, first 2 shown]
	v_cndmask_b32_e32 v129, 0x7f800000, v77, vcc_lo
	s_waitcnt lgkmcnt(0)
	s_barrier
	buffer_gl0_inv
	ds_load_2addr_b64 v[76:79], v44 offset1:32
	ds_load_b128 v[80:83], v58
	ds_load_2addr_b64 v[84:87], v44 offset0:64 offset1:96
	v_cvt_f16_f32_e64 v133, v129
	ds_load_b128 v[88:91], v58 offset:16
	ds_load_2addr_b64 v[92:95], v44 offset0:128 offset1:160
	ds_load_b128 v[96:99], v58 offset:32
	ds_load_b128 v[100:103], v58 offset:48
	ds_load_2addr_b64 v[104:107], v44 offset0:192 offset1:224
	ds_load_2addr_b64 v[108:111], v120 offset1:32
	ds_load_2addr_b64 v[112:115], v120 offset0:64 offset1:96
	ds_load_2addr_b64 v[116:119], v120 offset0:128 offset1:160
	;; [unrolled: 1-line block ×3, first 2 shown]
	ds_load_2addr_b64 v[124:127], v130 offset1:32
	v_fma_f32 v43, v43, v129, v128
	v_pk_mul_f16 v47, v133, v47 op_sel_hi:[0,1]
	v_pk_mul_f16 v46, v133, v46 op_sel_hi:[0,1]
	s_waitcnt lgkmcnt(11)
	v_pk_mul_f16 v76, v76, v80 op_sel_hi:[1,0]
	v_pk_mul_f16 v77, v77, v80 op_sel_hi:[1,0]
	v_pk_fma_f16 v78, v78, v80, v47 op_sel_hi:[1,0,1]
	v_pk_fma_f16 v79, v79, v80, v46 op_sel_hi:[1,0,1]
	s_delay_alu instid0(VALU_DEP_4) | instskip(NEXT) | instid1(VALU_DEP_4)
	v_pk_fma_f16 v76, v45, v133, v76 op_sel_hi:[1,0,1]
	v_pk_fma_f16 v77, v48, v133, v77 op_sel_hi:[1,0,1]
	s_waitcnt lgkmcnt(10)
	v_pk_fma_f16 v86, v86, v80, v78 op_sel:[0,1,0]
	v_pk_fma_f16 v87, v87, v80, v79 op_sel:[0,1,0]
	ds_load_2addr_b64 v[45:48], v130 offset0:64 offset1:96
	v_pk_fma_f16 v84, v84, v80, v76 op_sel:[0,1,0]
	v_pk_fma_f16 v80, v85, v80, v77 op_sel:[0,1,0]
	s_waitcnt lgkmcnt(9)
	v_pk_fma_f16 v94, v94, v81, v86 op_sel_hi:[1,0,1]
	v_pk_fma_f16 v95, v95, v81, v87 op_sel_hi:[1,0,1]
	ds_load_2addr_b64 v[76:79], v130 offset0:128 offset1:160
	v_pk_fma_f16 v92, v92, v81, v84 op_sel_hi:[1,0,1]
	v_pk_fma_f16 v80, v93, v81, v80 op_sel_hi:[1,0,1]
	s_waitcnt lgkmcnt(7)
	v_pk_fma_f16 v106, v106, v81, v94 op_sel:[0,1,0]
	v_pk_fma_f16 v107, v107, v81, v95 op_sel:[0,1,0]
	ds_load_2addr_b64 v[84:87], v130 offset0:192 offset1:224
	v_pk_fma_f16 v104, v104, v81, v92 op_sel:[0,1,0]
	v_pk_fma_f16 v80, v105, v81, v80 op_sel:[0,1,0]
	s_waitcnt lgkmcnt(7)
	v_pk_fma_f16 v81, v110, v82, v106 op_sel_hi:[1,0,1]
	v_pk_fma_f16 v110, v111, v82, v107 op_sel_hi:[1,0,1]
	ds_load_2addr_b64 v[92:95], v131 offset1:32
	v_pk_fma_f16 v108, v108, v82, v104 op_sel_hi:[1,0,1]
	v_pk_fma_f16 v80, v109, v82, v80 op_sel_hi:[1,0,1]
	s_waitcnt lgkmcnt(7)
	v_pk_fma_f16 v81, v114, v82, v81 op_sel:[0,1,0]
	v_pk_fma_f16 v114, v115, v82, v110 op_sel:[0,1,0]
	ds_load_2addr_b64 v[104:107], v131 offset0:64 offset1:96
	v_pk_fma_f16 v112, v112, v82, v108 op_sel:[0,1,0]
	v_pk_fma_f16 v80, v113, v82, v80 op_sel:[0,1,0]
	s_waitcnt lgkmcnt(7)
	v_pk_fma_f16 v81, v118, v83, v81 op_sel_hi:[1,0,1]
	v_pk_fma_f16 v82, v119, v83, v114 op_sel_hi:[1,0,1]
	ds_load_2addr_b64 v[108:111], v131 offset0:128 offset1:160
	v_pk_fma_f16 v116, v116, v83, v112 op_sel_hi:[1,0,1]
	v_pk_fma_f16 v80, v117, v83, v80 op_sel_hi:[1,0,1]
	s_waitcnt lgkmcnt(7)
	v_pk_fma_f16 v117, v122, v83, v81 op_sel:[0,1,0]
	v_pk_fma_f16 v118, v123, v83, v82 op_sel:[0,1,0]
	ds_load_2addr_b64 v[112:115], v131 offset0:192 offset1:224
	v_pk_fma_f16 v116, v120, v83, v116 op_sel:[0,1,0]
	v_pk_fma_f16 v119, v121, v83, v80 op_sel:[0,1,0]
	s_waitcnt lgkmcnt(7)
	v_pk_fma_f16 v120, v126, v88, v117 op_sel_hi:[1,0,1]
	v_pk_fma_f16 v121, v127, v88, v118 op_sel_hi:[1,0,1]
	ds_load_2addr_b64 v[80:83], v132 offset1:32
	;; [unrolled: 24-line block ×5, first 2 shown]
	v_pk_fma_f16 v116, v84, v98, v116 op_sel_hi:[1,0,1]
	v_pk_fma_f16 v96, v85, v98, v96 op_sel_hi:[1,0,1]
	s_waitcnt lgkmcnt(7)
	v_pk_fma_f16 v97, v94, v98, v97 op_sel:[0,1,0]
	v_pk_fma_f16 v117, v95, v98, v117 op_sel:[0,1,0]
	ds_load_2addr_b64 v[84:87], v136 offset0:64 offset1:96
	v_pk_fma_f16 v116, v92, v98, v116 op_sel:[0,1,0]
	v_pk_fma_f16 v96, v93, v98, v96 op_sel:[0,1,0]
	s_waitcnt lgkmcnt(7)
	v_pk_fma_f16 v97, v106, v99, v97 op_sel_hi:[1,0,1]
	v_pk_fma_f16 v98, v107, v99, v117 op_sel_hi:[1,0,1]
	ds_load_2addr_b64 v[92:95], v136 offset0:128 offset1:160
	v_pk_fma_f16 v116, v104, v99, v116 op_sel_hi:[1,0,1]
	v_pk_fma_f16 v96, v105, v99, v96 op_sel_hi:[1,0,1]
	s_waitcnt lgkmcnt(7)
	v_pk_fma_f16 v97, v110, v99, v97 op_sel:[0,1,0]
	v_pk_fma_f16 v98, v111, v99, v98 op_sel:[0,1,0]
	ds_load_2addr_b64 v[104:107], v136 offset0:192 offset1:224
	v_pk_fma_f16 v108, v108, v99, v116 op_sel:[0,1,0]
	v_pk_fma_f16 v96, v109, v99, v96 op_sel:[0,1,0]
	s_waitcnt lgkmcnt(7)
	v_pk_fma_f16 v90, v90, v100, v97 op_sel_hi:[1,0,1]
	v_pk_fma_f16 v91, v91, v100, v98 op_sel_hi:[1,0,1]
	s_waitcnt lgkmcnt(0)
	v_pk_fma_f16 v88, v88, v100, v108 op_sel_hi:[1,0,1]
	v_pk_fma_f16 v89, v89, v100, v96 op_sel_hi:[1,0,1]
	v_pk_fma_f16 v82, v82, v100, v90 op_sel:[0,1,0]
	v_pk_fma_f16 v83, v83, v100, v91 op_sel:[0,1,0]
	s_barrier
	v_pk_fma_f16 v80, v80, v100, v88 op_sel:[0,1,0]
	v_pk_fma_f16 v81, v81, v100, v89 op_sel:[0,1,0]
	v_pk_fma_f16 v82, v114, v101, v82 op_sel_hi:[1,0,1]
	v_pk_fma_f16 v83, v115, v101, v83 op_sel_hi:[1,0,1]
	buffer_gl0_inv
	v_pk_fma_f16 v80, v112, v101, v80 op_sel_hi:[1,0,1]
	v_pk_fma_f16 v81, v113, v101, v81 op_sel_hi:[1,0,1]
	s_load_b32 s13, s[4:5], 0x4
	v_pk_fma_f16 v47, v47, v101, v82 op_sel:[0,1,0]
	v_pk_fma_f16 v48, v48, v101, v83 op_sel:[0,1,0]
	;; [unrolled: 1-line block ×4, first 2 shown]
	s_delay_alu instid0(VALU_DEP_4) | instskip(NEXT) | instid1(VALU_DEP_4)
	v_pk_fma_f16 v47, v78, v102, v47 op_sel_hi:[1,0,1]
	v_pk_fma_f16 v48, v79, v102, v48 op_sel_hi:[1,0,1]
	s_delay_alu instid0(VALU_DEP_4) | instskip(NEXT) | instid1(VALU_DEP_4)
	v_pk_fma_f16 v45, v76, v102, v45 op_sel_hi:[1,0,1]
	v_pk_fma_f16 v46, v77, v102, v46 op_sel_hi:[1,0,1]
	s_delay_alu instid0(VALU_DEP_4) | instskip(NEXT) | instid1(VALU_DEP_4)
	v_pk_fma_f16 v47, v86, v102, v47 op_sel:[0,1,0]
	v_pk_fma_f16 v48, v87, v102, v48 op_sel:[0,1,0]
	s_delay_alu instid0(VALU_DEP_4) | instskip(NEXT) | instid1(VALU_DEP_4)
	v_pk_fma_f16 v45, v84, v102, v45 op_sel:[0,1,0]
	v_pk_fma_f16 v46, v85, v102, v46 op_sel:[0,1,0]
	s_delay_alu instid0(VALU_DEP_4) | instskip(NEXT) | instid1(VALU_DEP_4)
	v_pk_fma_f16 v47, v94, v103, v47 op_sel_hi:[1,0,1]
	v_pk_fma_f16 v48, v95, v103, v48 op_sel_hi:[1,0,1]
	s_delay_alu instid0(VALU_DEP_4) | instskip(NEXT) | instid1(VALU_DEP_4)
	v_pk_fma_f16 v45, v92, v103, v45 op_sel_hi:[1,0,1]
	v_pk_fma_f16 v76, v93, v103, v46 op_sel_hi:[1,0,1]
	s_waitcnt lgkmcnt(0)
	s_lshl_b32 s13, s13, 5
	v_pk_fma_f16 v47, v106, v103, v47 op_sel:[0,1,0]
	v_pk_fma_f16 v46, v107, v103, v48 op_sel:[0,1,0]
	;; [unrolled: 1-line block ×4, first 2 shown]
	s_add_i32 s18, s13, s18
	s_delay_alu instid0(SALU_CYCLE_1)
	s_cmp_lt_i32 s18, s7
	s_cbranch_scc0 .LBB73_18
; %bb.16:                               ;   in Loop: Header=BB73_8 Depth=1
	v_mov_b32_e32 v76, v5
	s_branch .LBB73_8
.LBB73_17:
	v_dual_mov_b32 v5, 0xfeffffff :: v_dual_mov_b32 v48, 0
	v_dual_mov_b32 v43, 0 :: v_dual_mov_b32 v46, 0
	v_mov_b32_e32 v47, 0
.LBB73_18:
	s_cmp_gt_i32 s42, s18
	s_cbranch_scc1 .LBB73_20
; %bb.19:
	v_mbcnt_lo_u32_b32 v9, -1, 0
	v_mov_b32_e32 v8, 32
	s_delay_alu instid0(VALU_DEP_2)
	v_xor_b32_e32 v13, 16, v9
	v_xor_b32_e32 v14, 8, v9
	;; [unrolled: 1-line block ×5, first 2 shown]
	s_cbranch_execz .LBB73_21
	s_branch .LBB73_31
.LBB73_20:
                                        ; implicit-def: $vgpr9
                                        ; implicit-def: $vgpr8
                                        ; implicit-def: $vgpr13
                                        ; implicit-def: $vgpr14
                                        ; implicit-def: $vgpr15
                                        ; implicit-def: $vgpr16
                                        ; implicit-def: $vgpr17
.LBB73_21:
	s_mul_hi_i32 s5, s18, s8
	s_mul_i32 s4, s18, s8
	v_lshlrev_b64 v[7:8], 2, v[6:7]
	s_lshl_b64 s[4:5], s[4:5], 2
	s_sub_i32 s19, s42, s18
	s_add_u32 s13, s6, s4
	s_addc_u32 s20, s9, s5
	s_mov_b32 s4, 0
	v_add_co_u32 v7, vcc_lo, s13, v7
	v_add_co_ci_u32_e32 v8, vcc_lo, s20, v8, vcc_lo
	v_cmp_gt_i32_e64 s7, s19, v50
	s_delay_alu instid0(VALU_DEP_3) | instskip(NEXT) | instid1(VALU_DEP_3)
	v_add_co_u32 v7, vcc_lo, v7, v49
	v_add_co_ci_u32_e32 v8, vcc_lo, 0, v8, vcc_lo
	s_mov_b32 s6, s4
	s_mov_b64 s[10:11], src_private_base
	s_mov_b32 s5, s4
	v_dual_mov_b32 v13, 0 :: v_dual_mov_b32 v20, s6
	v_dual_mov_b32 v19, s5 :: v_dual_mov_b32 v18, s4
	v_cndmask_b32_e64 v8, s11, v8, s7
	v_cndmask_b32_e64 v7, 0, v7, s7
	s_clause 0x1
	scratch_store_b32 off, v13, off
	scratch_store_b96 off, v[18:20], off offset:4
	s_lshl_b32 s21, s8, 2
	v_mad_u32_u24 v23, 0x210, v50, v49
	flat_load_b128 v[7:10], v[7:8]
	v_add_nc_u32_e32 v14, s21, v6
	s_clause 0x1
	scratch_store_b32 off, v13, off
	scratch_store_b96 off, v[18:20], off offset:4
	v_ashrrev_i32_e32 v15, 31, v14
	s_delay_alu instid0(VALU_DEP_1) | instskip(SKIP_1) | instid1(VALU_DEP_2)
	v_lshlrev_b64 v[11:12], 2, v[14:15]
	v_add_nc_u32_e32 v14, s21, v14
	v_add_co_u32 v6, vcc_lo, s13, v11
	s_delay_alu instid0(VALU_DEP_3) | instskip(SKIP_1) | instid1(VALU_DEP_3)
	v_add_co_ci_u32_e32 v12, vcc_lo, s20, v12, vcc_lo
	v_add_nc_u32_e32 v11, 4, v50
	v_add_co_u32 v6, vcc_lo, v6, v49
	s_delay_alu instid0(VALU_DEP_3) | instskip(NEXT) | instid1(VALU_DEP_3)
	v_add_co_ci_u32_e32 v12, vcc_lo, 0, v12, vcc_lo
	v_cmp_gt_i32_e64 s9, s19, v11
	v_add_nc_u32_e32 v21, s21, v14
	s_delay_alu instid0(VALU_DEP_2) | instskip(SKIP_2) | instid1(VALU_DEP_4)
	v_cndmask_b32_e64 v16, s11, v12, s9
	v_cndmask_b32_e64 v15, 0, v6, s9
	v_add_nc_u32_e32 v12, 8, v50
	v_ashrrev_i32_e32 v22, 31, v21
	s_delay_alu instid0(VALU_DEP_2)
	v_cmp_gt_i32_e64 s10, s19, v12
	s_waitcnt vmcnt(0) lgkmcnt(0)
	ds_store_b128 v23, v[7:10]
	flat_load_b128 v[6:9], v[15:16]
	v_ashrrev_i32_e32 v15, 31, v14
	s_clause 0x1
	scratch_store_b32 off, v13, off
	scratch_store_b96 off, v[18:20], off offset:4
	v_lshlrev_b64 v[15:16], 2, v[14:15]
	s_delay_alu instid0(VALU_DEP_1) | instskip(NEXT) | instid1(VALU_DEP_2)
	v_add_co_u32 v10, vcc_lo, s13, v15
	v_add_co_ci_u32_e32 v15, vcc_lo, s20, v16, vcc_lo
	s_delay_alu instid0(VALU_DEP_2) | instskip(NEXT) | instid1(VALU_DEP_2)
	v_add_co_u32 v10, vcc_lo, v10, v49
	v_add_co_ci_u32_e32 v15, vcc_lo, 0, v15, vcc_lo
	s_delay_alu instid0(VALU_DEP_1) | instskip(NEXT) | instid1(VALU_DEP_3)
	v_cndmask_b32_e64 v16, s11, v15, s10
	v_cndmask_b32_e64 v15, 0, v10, s10
	v_add_nc_u32_e32 v10, 12, v50
	s_delay_alu instid0(VALU_DEP_1)
	v_cmp_gt_i32_e64 s8, s19, v10
	s_waitcnt vmcnt(0) lgkmcnt(0)
	ds_store_b128 v23, v[6:9] offset:2112
	flat_load_b128 v[6:9], v[15:16]
	v_lshlrev_b64 v[14:15], 2, v[21:22]
	s_clause 0x1
	scratch_store_b32 off, v13, off
	scratch_store_b96 off, v[18:20], off offset:4
	v_add_co_u32 v14, vcc_lo, s13, v14
	v_add_co_ci_u32_e32 v15, vcc_lo, s20, v15, vcc_lo
	s_delay_alu instid0(VALU_DEP_2) | instskip(NEXT) | instid1(VALU_DEP_2)
	v_add_co_u32 v14, vcc_lo, v14, v49
	v_add_co_ci_u32_e32 v15, vcc_lo, 0, v15, vcc_lo
	s_delay_alu instid0(VALU_DEP_2) | instskip(NEXT) | instid1(VALU_DEP_2)
	v_cndmask_b32_e64 v14, 0, v14, s8
	v_cndmask_b32_e64 v15, s11, v15, s8
	s_waitcnt vmcnt(0) lgkmcnt(0)
	ds_store_b128 v23, v[6:9] offset:4224
	flat_load_b128 v[14:17], v[14:15]
	v_add_nc_u32_e32 v6, s21, v21
	v_add_nc_u32_e32 v9, 16, v50
	s_clause 0x1
	scratch_store_b32 off, v13, off
	scratch_store_b96 off, v[18:20], off offset:4
	v_ashrrev_i32_e32 v7, 31, v6
	v_cmp_gt_i32_e64 s6, s19, v9
	s_delay_alu instid0(VALU_DEP_2) | instskip(SKIP_1) | instid1(VALU_DEP_2)
	v_lshlrev_b64 v[7:8], 2, v[6:7]
	v_add_nc_u32_e32 v6, s21, v6
	v_add_co_u32 v7, vcc_lo, s13, v7
	s_delay_alu instid0(VALU_DEP_3) | instskip(NEXT) | instid1(VALU_DEP_2)
	v_add_co_ci_u32_e32 v8, vcc_lo, s20, v8, vcc_lo
	v_add_co_u32 v7, vcc_lo, v7, v49
	s_delay_alu instid0(VALU_DEP_2) | instskip(NEXT) | instid1(VALU_DEP_2)
	v_add_co_ci_u32_e32 v8, vcc_lo, 0, v8, vcc_lo
	v_cndmask_b32_e64 v7, 0, v7, s6
	s_delay_alu instid0(VALU_DEP_2)
	v_cndmask_b32_e64 v8, s11, v8, s6
	s_waitcnt vmcnt(0) lgkmcnt(0)
	ds_store_b128 v23, v[14:17] offset:6336
	flat_load_b128 v[14:17], v[7:8]
	v_ashrrev_i32_e32 v7, 31, v6
	s_clause 0x1
	scratch_store_b32 off, v13, off
	scratch_store_b96 off, v[18:20], off offset:4
	v_lshlrev_b64 v[7:8], 2, v[6:7]
	v_add_nc_u32_e32 v6, s21, v6
	s_delay_alu instid0(VALU_DEP_2) | instskip(NEXT) | instid1(VALU_DEP_3)
	v_add_co_u32 v7, vcc_lo, s13, v7
	v_add_co_ci_u32_e32 v21, vcc_lo, s20, v8, vcc_lo
	v_add_nc_u32_e32 v8, 20, v50
	s_delay_alu instid0(VALU_DEP_3) | instskip(NEXT) | instid1(VALU_DEP_3)
	v_add_co_u32 v7, vcc_lo, v7, v49
	v_add_co_ci_u32_e32 v21, vcc_lo, 0, v21, vcc_lo
	s_delay_alu instid0(VALU_DEP_3) | instskip(NEXT) | instid1(VALU_DEP_1)
	v_cmp_gt_i32_e64 s5, s19, v8
	v_cndmask_b32_e64 v22, s11, v21, s5
	s_delay_alu instid0(VALU_DEP_4)
	v_cndmask_b32_e64 v21, 0, v7, s5
	v_ashrrev_i32_e32 v7, 31, v6
	s_waitcnt vmcnt(0) lgkmcnt(0)
	ds_store_b128 v23, v[14:17] offset:8448
	flat_load_b128 v[14:17], v[21:22]
	v_lshlrev_b64 v[21:22], 2, v[6:7]
	v_add_nc_u32_e32 v7, 24, v50
	s_clause 0x1
	scratch_store_b32 off, v13, off
	scratch_store_b96 off, v[18:20], off offset:4
	v_add_co_u32 v21, vcc_lo, s13, v21
	v_add_co_ci_u32_e32 v22, vcc_lo, s20, v22, vcc_lo
	v_cmp_gt_i32_e64 s4, s19, v7
	s_delay_alu instid0(VALU_DEP_3) | instskip(NEXT) | instid1(VALU_DEP_3)
	v_add_co_u32 v21, vcc_lo, v21, v49
	v_add_co_ci_u32_e32 v22, vcc_lo, 0, v22, vcc_lo
	s_delay_alu instid0(VALU_DEP_2) | instskip(NEXT) | instid1(VALU_DEP_2)
	v_cndmask_b32_e64 v21, 0, v21, s4
	v_cndmask_b32_e64 v22, s11, v22, s4
	s_waitcnt vmcnt(0) lgkmcnt(0)
	ds_store_b128 v23, v[14:17] offset:10560
	flat_load_b128 v[14:17], v[21:22]
	v_add_nc_u32_e32 v21, s21, v6
	v_add_nc_u32_e32 v6, 28, v50
	s_clause 0x1
	scratch_store_b32 off, v13, off
	scratch_store_b96 off, v[18:20], off offset:4
	v_ashrrev_i32_e32 v22, 31, v21
	s_delay_alu instid0(VALU_DEP_1) | instskip(NEXT) | instid1(VALU_DEP_1)
	v_lshlrev_b64 v[21:22], 2, v[21:22]
	v_add_co_u32 v21, vcc_lo, s13, v21
	s_delay_alu instid0(VALU_DEP_2) | instskip(SKIP_1) | instid1(VALU_DEP_2)
	v_add_co_ci_u32_e32 v22, vcc_lo, s20, v22, vcc_lo
	s_mov_b32 s13, exec_lo
	v_add_co_u32 v21, vcc_lo, v21, v49
	s_delay_alu instid0(VALU_DEP_2) | instskip(SKIP_1) | instid1(VALU_DEP_3)
	v_add_co_ci_u32_e32 v22, vcc_lo, 0, v22, vcc_lo
	v_cmp_gt_i32_e32 vcc_lo, s19, v6
	v_cndmask_b32_e32 v21, 0, v21, vcc_lo
	s_delay_alu instid0(VALU_DEP_3)
	v_cndmask_b32_e32 v22, s11, v22, vcc_lo
	s_waitcnt vmcnt(0) lgkmcnt(0)
	ds_store_b128 v23, v[14:17] offset:12672
	flat_load_b128 v[14:17], v[21:22]
	s_waitcnt vmcnt(0) lgkmcnt(0)
	ds_store_b128 v23, v[14:17] offset:14784
	s_waitcnt lgkmcnt(0)
	s_waitcnt_vscnt null, 0x0
	s_barrier
	buffer_gl0_inv
	ds_load_b128 v[14:17], v55
	ds_load_b128 v[18:21], v52 offset:16896
	s_waitcnt lgkmcnt(0)
	;;#ASMSTART
	v_dot2_f32_f16 v13, v14, v18, v13
	;;#ASMEND
	;;#ASMSTART
	v_dot2_f32_f16 v13, v15, v19, v13
	;;#ASMEND
	;;#ASMSTART
	v_dot2_f32_f16 v13, v16, v20, v13
	;;#ASMEND
	;;#ASMSTART
	v_dot2_f32_f16 v13, v17, v21, v13
	;;#ASMEND
	ds_load_b128 v[14:17], v55 offset:16
	ds_load_b128 v[18:21], v52 offset:16912
	s_waitcnt lgkmcnt(0)
	;;#ASMSTART
	v_dot2_f32_f16 v13, v14, v18, v13
	;;#ASMEND
	;;#ASMSTART
	v_dot2_f32_f16 v13, v15, v19, v13
	;;#ASMEND
	;;#ASMSTART
	v_dot2_f32_f16 v13, v16, v20, v13
	;;#ASMEND
	;;#ASMSTART
	v_dot2_f32_f16 v13, v17, v21, v13
	;;#ASMEND
	ds_load_b128 v[14:17], v55 offset:32
	;; [unrolled: 15-line block ×31, first 2 shown]
	ds_load_b128 v[18:21], v52 offset:17392
	s_waitcnt lgkmcnt(0)
	;;#ASMSTART
	v_dot2_f32_f16 v13, v14, v18, v13
	;;#ASMEND
	;;#ASMSTART
	v_dot2_f32_f16 v13, v15, v19, v13
	;;#ASMEND
	;; [unrolled: 3-line block ×4, first 2 shown]
                                        ; implicit-def: $vgpr14
	v_cmpx_ngt_f32_e64 0x3f200000, |v13|
	s_xor_b32 s13, exec_lo, s13
	s_cbranch_execz .LBB73_23
; %bb.22:
	v_add_f32_e64 v14, |v13|, |v13|
	s_delay_alu instid0(VALU_DEP_1) | instskip(SKIP_1) | instid1(VALU_DEP_2)
	v_mul_f32_e32 v15, 0x3fb8aa3b, v14
	v_cmp_ngt_f32_e64 s11, 0xc2ce8ed0, v14
	v_rndne_f32_e32 v16, v15
	v_fma_f32 v17, 0x3fb8aa3b, v14, -v15
	s_delay_alu instid0(VALU_DEP_2) | instskip(NEXT) | instid1(VALU_DEP_2)
	v_sub_f32_e32 v15, v15, v16
	v_fmamk_f32 v17, v14, 0x32a5705f, v17
	v_cvt_i32_f32_e32 v16, v16
	s_delay_alu instid0(VALU_DEP_2) | instskip(NEXT) | instid1(VALU_DEP_1)
	v_add_f32_e32 v15, v15, v17
	v_exp_f32_e32 v15, v15
	s_waitcnt_depctr 0xfff
	v_ldexp_f32 v15, v15, v16
	s_delay_alu instid0(VALU_DEP_1) | instskip(SKIP_1) | instid1(VALU_DEP_1)
	v_cndmask_b32_e64 v15, 0, v15, s11
	v_cmp_nlt_f32_e64 s11, 0x42b17218, v14
	v_cndmask_b32_e64 v14, 0x7f800000, v15, s11
	s_delay_alu instid0(VALU_DEP_1) | instskip(NEXT) | instid1(VALU_DEP_1)
	v_add_f32_e32 v14, 1.0, v14
	v_rcp_f32_e32 v14, v14
	s_waitcnt_depctr 0xfff
	v_fma_f32 v14, v14, -2.0, 1.0
.LBB73_23:
	s_and_not1_saveexec_b32 s11, s13
; %bb.24:
	v_mul_f32_e32 v14, v13, v13
	s_mov_b32 s13, 0xbbbac73d
	s_delay_alu instid0(VALU_DEP_1) | instid1(SALU_CYCLE_1)
	v_fmaak_f32 v15, s13, v14, 0x3ca908c9
	s_delay_alu instid0(VALU_DEP_1) | instskip(NEXT) | instid1(VALU_DEP_1)
	v_fmaak_f32 v15, v14, v15, 0xbd5c1c4e
	v_fmaak_f32 v15, v14, v15, 0x3e088382
	s_delay_alu instid0(VALU_DEP_1) | instskip(NEXT) | instid1(VALU_DEP_1)
	v_fmaak_f32 v15, v14, v15, 0xbeaaaa99
	v_mul_f32_e64 v15, |v13|, v15
	s_delay_alu instid0(VALU_DEP_1)
	v_fma_f32 v14, v14, v15, |v13|
; %bb.25:
	s_or_b32 exec_lo, exec_lo, s11
	s_delay_alu instid0(VALU_DEP_1) | instskip(SKIP_2) | instid1(VALU_DEP_2)
	v_bfi_b32 v13, 0x7fffffff, v14, v13
	v_mov_b32_e32 v15, v5
	s_mov_b32 s13, exec_lo
	v_mul_f32_e32 v19, s23, v13
	v_cmpx_gt_i32_e64 s19, v1
	s_cbranch_execz .LBB73_30
; %bb.26:
	s_cmp_eq_u64 s[40:41], 0
	s_cbranch_scc1 .LBB73_28
; %bb.27:
	v_mul_lo_u32 v13, v54, s12
	s_delay_alu instid0(VALU_DEP_1) | instskip(NEXT) | instid1(VALU_DEP_1)
	v_add3_u32 v13, v13, v1, s18
	v_ashrrev_i32_e32 v14, 31, v13
	s_delay_alu instid0(VALU_DEP_1) | instskip(NEXT) | instid1(VALU_DEP_1)
	v_lshlrev_b64 v[13:14], 1, v[13:14]
	v_add_co_u32 v13, s11, s40, v13
	s_delay_alu instid0(VALU_DEP_1) | instskip(SKIP_3) | instid1(VALU_DEP_1)
	v_add_co_ci_u32_e64 v14, s11, s41, v14, s11
	flat_load_u16 v13, v[13:14]
	s_waitcnt vmcnt(0) lgkmcnt(0)
	v_cvt_f32_f16_e32 v13, v13
	v_mul_f32_e32 v13, v53, v13
	s_branch .LBB73_29
.LBB73_28:
	v_mov_b32_e32 v13, 0
.LBB73_29:
	s_delay_alu instid0(VALU_DEP_1) | instskip(NEXT) | instid1(VALU_DEP_1)
	v_add_f32_e32 v19, v19, v13
	v_dual_max_f32 v14, v5, v5 :: v_dual_add_f32 v13, 0x40051340, v19
	s_delay_alu instid0(VALU_DEP_1)
	v_max_f32_e32 v15, v14, v13
.LBB73_30:
	s_or_b32 exec_lo, exec_lo, s13
	v_xor_b32_e32 v13, 16, v42
	s_load_b64 s[12:13], s[0:1], 0x4
	s_mov_b64 s[0:1], src_shared_base
	s_mul_hi_i32 s21, s18, s15
	s_mul_i32 s20, s18, s15
	v_cmp_gt_i32_e64 s11, 32, v13
	s_lshl_b64 s[20:21], s[20:21], 2
	v_bfe_u32 v0, v0, 20, 10
	s_waitcnt lgkmcnt(0)
	s_barrier
	v_cndmask_b32_e64 v14, v42, v13, s11
	buffer_gl0_inv
	v_add_nc_u32_e32 v30, v52, v49
	v_lshl_add_u32 v11, v11, 9, v49
	v_lshl_add_u32 v8, v8, 9, v49
	v_lshlrev_b32_e32 v14, 2, v14
	v_lshl_add_u32 v7, v7, 9, v49
	v_add_nc_u32_e32 v58, 0x2000, v44
	v_add_nc_u32_e32 v60, 0x2800, v44
	;; [unrolled: 1-line block ×3, first 2 shown]
	ds_bpermute_b32 v16, v14, v15
	v_max_f32_e32 v15, v15, v15
	v_xor_b32_e32 v14, 8, v42
	s_lshr_b32 s0, s12, 16
	v_add_nc_u32_e32 v62, 0x3800, v44
	s_mul_i32 s0, s0, s13
	v_add_nc_u32_e32 v40, 0x800, v44
	v_cmp_gt_i32_e64 s11, 32, v14
	v_add_nc_u32_e32 v57, 0x1800, v44
	s_delay_alu instid0(VALU_DEP_2) | instskip(SKIP_1) | instid1(VALU_DEP_1)
	v_cndmask_b32_e64 v17, v42, v14, s11
	s_waitcnt lgkmcnt(0)
	v_dual_max_f32 v16, v16, v16 :: v_dual_lshlrev_b32 v17, 2, v17
	s_delay_alu instid0(VALU_DEP_1) | instskip(SKIP_3) | instid1(VALU_DEP_1)
	v_max_f32_e32 v16, v15, v16
	v_xor_b32_e32 v15, 4, v42
	ds_bpermute_b32 v17, v17, v16
	v_cmp_gt_i32_e64 s11, 32, v15
	v_cndmask_b32_e64 v18, v42, v15, s11
	s_waitcnt lgkmcnt(0)
	s_delay_alu instid0(VALU_DEP_1) | instskip(NEXT) | instid1(VALU_DEP_1)
	v_dual_max_f32 v17, v17, v17 :: v_dual_lshlrev_b32 v18, 2, v18
	v_max_f32_e32 v17, v16, v17
	v_xor_b32_e32 v16, 2, v42
	ds_bpermute_b32 v18, v18, v17
	v_cmp_gt_i32_e64 s11, 32, v16
	s_delay_alu instid0(VALU_DEP_1) | instskip(NEXT) | instid1(VALU_DEP_1)
	v_cndmask_b32_e64 v20, v42, v16, s11
	v_lshlrev_b32_e32 v20, 2, v20
	s_waitcnt lgkmcnt(0)
	v_max_f32_e32 v18, v18, v18
	s_delay_alu instid0(VALU_DEP_1) | instskip(SKIP_3) | instid1(VALU_DEP_1)
	v_max_f32_e32 v18, v17, v18
	v_xor_b32_e32 v17, 1, v42
	ds_bpermute_b32 v20, v20, v18
	v_cmp_gt_i32_e64 s11, 32, v17
	v_cndmask_b32_e64 v21, v42, v17, s11
	s_add_u32 s11, s17, s20
	s_addc_u32 s12, s16, s21
	s_waitcnt lgkmcnt(0)
	s_delay_alu instid0(VALU_DEP_1) | instskip(NEXT) | instid1(VALU_DEP_1)
	v_dual_max_f32 v20, v20, v20 :: v_dual_lshlrev_b32 v21, 2, v21
	v_max_f32_e32 v18, v18, v20
	ds_bpermute_b32 v20, v21, v18
	s_waitcnt lgkmcnt(0)
	v_max_f32_e32 v20, v20, v20
	s_delay_alu instid0(VALU_DEP_1) | instskip(NEXT) | instid1(VALU_DEP_1)
	v_max_f32_e32 v18, v18, v20
	v_sub_f32_e32 v22, v19, v18
	s_delay_alu instid0(VALU_DEP_1) | instskip(NEXT) | instid1(VALU_DEP_1)
	v_mul_f32_e32 v19, 0x3fb8aa3b, v22
	v_fma_f32 v20, 0x3fb8aa3b, v22, -v19
	v_rndne_f32_e32 v23, v19
	s_delay_alu instid0(VALU_DEP_1) | instskip(NEXT) | instid1(VALU_DEP_1)
	v_dual_fmac_f32 v20, 0x32a5705f, v22 :: v_dual_sub_f32 v19, v19, v23
	v_dual_add_f32 v20, v19, v20 :: v_dual_lshlrev_b32 v19, 6, v50
	s_delay_alu instid0(VALU_DEP_1) | instskip(SKIP_3) | instid1(VALU_DEP_1)
	v_exp_f32_e32 v24, v20
	v_lshlrev_b64 v[20:21], 2, v[3:4]
	v_cvt_i32_f32_e32 v4, v23
	v_mul_u32_u24_e32 v23, s13, v50
	v_mad_u32_u24 v23, s0, v1, v23
	v_cmp_ngt_f32_e64 s0, 0xc2ce8ed0, v22
	s_waitcnt_depctr 0xfff
	v_ldexp_f32 v4, v24, v4
	v_add_lshl_u32 v27, v23, v0, 4
	s_delay_alu instid0(VALU_DEP_2) | instskip(SKIP_1) | instid1(VALU_DEP_1)
	v_cndmask_b32_e64 v4, 0, v4, s0
	v_add_co_u32 v20, s0, s11, v20
	v_add_co_ci_u32_e64 v21, s0, s12, v21, s0
	v_cmp_nlt_f32_e64 s0, 0x42b17218, v22
	v_add_nc_u32_e32 v28, 0x4b00, v27
	v_add_nc_u32_e32 v29, 0x4b04, v27
	v_add3_u32 v22, 0x4a00, v19, v51
	s_delay_alu instid0(VALU_DEP_4) | instskip(SKIP_1) | instid1(VALU_DEP_1)
	v_cndmask_b32_e64 v0, 0x7f800000, v4, s0
	v_add_co_u32 v4, s0, v20, v49
	v_add_co_ci_u32_e64 v20, s0, 0, v21, s0
	v_cmp_gt_u32_e64 s0, s19, v1
	s_delay_alu instid0(VALU_DEP_2) | instskip(NEXT) | instid1(VALU_DEP_4)
	v_cndmask_b32_e64 v21, s1, v20, s7
	v_cndmask_b32_e64 v20, v28, v4, s7
	s_delay_alu instid0(VALU_DEP_3) | instskip(SKIP_1) | instid1(SALU_CYCLE_1)
	v_cndmask_b32_e64 v0, 0, v0, s0
	s_lshl_b32 s7, s15, 2
	v_dual_mov_b32 v26, 0 :: v_dual_add_nc_u32 v3, s7, v3
	s_delay_alu instid0(VALU_DEP_2)
	v_cvt_f16_f32_e32 v23, v0
	ds_store_b32 v27, v26 offset:19200
	ds_store_b32 v27, v26 offset:19212
	ds_store_2addr_b32 v29, v26, v26 offset1:1
	ds_store_b16 v22, v23
	flat_load_b128 v[20:23], v[20:21]
	v_ashrrev_i32_e32 v4, 31, v3
	ds_store_b32 v27, v26 offset:19200
	ds_store_2addr_b32 v29, v26, v26 offset1:1
	ds_store_b32 v27, v26 offset:19212
	s_waitcnt vmcnt(0) lgkmcnt(3)
	ds_store_b128 v30, v[20:23]
	v_lshlrev_b64 v[24:25], 2, v[3:4]
	v_add_nc_u32_e32 v3, s7, v3
	s_delay_alu instid0(VALU_DEP_2) | instskip(NEXT) | instid1(VALU_DEP_1)
	v_add_co_u32 v4, s0, s11, v24
	v_add_co_ci_u32_e64 v24, s0, s12, v25, s0
	s_delay_alu instid0(VALU_DEP_2) | instskip(NEXT) | instid1(VALU_DEP_1)
	v_add_co_u32 v4, s0, v4, v49
	v_add_co_ci_u32_e64 v24, s0, 0, v24, s0
	s_delay_alu instid0(VALU_DEP_1) | instskip(NEXT) | instid1(VALU_DEP_3)
	v_cndmask_b32_e64 v25, s1, v24, s9
	v_cndmask_b32_e64 v24, v28, v4, s9
	v_ashrrev_i32_e32 v4, 31, v3
	flat_load_b128 v[20:23], v[24:25]
	v_lshlrev_b64 v[24:25], 2, v[3:4]
	ds_store_b32 v27, v26 offset:19200
	ds_store_2addr_b32 v29, v26, v26 offset1:1
	ds_store_b32 v27, v26 offset:19212
	s_waitcnt vmcnt(0) lgkmcnt(3)
	ds_store_b128 v11, v[20:23]
	v_add_co_u32 v4, s0, s11, v24
	s_delay_alu instid0(VALU_DEP_1) | instskip(SKIP_1) | instid1(VALU_DEP_3)
	v_add_co_ci_u32_e64 v24, s0, s12, v25, s0
	v_add_nc_u32_e32 v3, s7, v3
	v_add_co_u32 v4, s0, v4, v49
	s_delay_alu instid0(VALU_DEP_1) | instskip(NEXT) | instid1(VALU_DEP_1)
	v_add_co_ci_u32_e64 v24, s0, 0, v24, s0
	v_cndmask_b32_e64 v25, s1, v24, s10
	s_delay_alu instid0(VALU_DEP_3) | instskip(SKIP_4) | instid1(VALU_DEP_2)
	v_cndmask_b32_e64 v24, v28, v4, s10
	v_ashrrev_i32_e32 v4, 31, v3
	flat_load_b128 v[20:23], v[24:25]
	v_lshlrev_b64 v[24:25], 2, v[3:4]
	v_add_nc_u32_e32 v3, s7, v3
	v_add_co_u32 v4, s0, s11, v24
	s_delay_alu instid0(VALU_DEP_1) | instskip(SKIP_1) | instid1(VALU_DEP_3)
	v_add_co_ci_u32_e64 v11, s0, s12, v25, s0
	v_lshl_add_u32 v24, v12, 9, v49
	v_add_co_u32 v4, s0, v4, v49
	s_delay_alu instid0(VALU_DEP_1)
	v_add_co_ci_u32_e64 v11, s0, 0, v11, s0
	ds_store_b32 v27, v26 offset:19200
	ds_store_2addr_b32 v29, v26, v26 offset1:1
	ds_store_b32 v27, v26 offset:19212
	s_waitcnt vmcnt(0) lgkmcnt(3)
	ds_store_b128 v24, v[20:23]
	v_cndmask_b32_e64 v12, s1, v11, s8
	v_cndmask_b32_e64 v11, v28, v4, s8
	v_ashrrev_i32_e32 v4, 31, v3
	flat_load_b128 v[20:23], v[11:12]
	v_lshlrev_b64 v[11:12], 2, v[3:4]
	v_add_nc_u32_e32 v3, s7, v3
	s_delay_alu instid0(VALU_DEP_2) | instskip(NEXT) | instid1(VALU_DEP_1)
	v_add_co_u32 v4, s0, s11, v11
	v_add_co_ci_u32_e64 v11, s0, s12, v12, s0
	v_lshl_add_u32 v12, v10, 9, v49
	s_delay_alu instid0(VALU_DEP_3) | instskip(NEXT) | instid1(VALU_DEP_1)
	v_add_co_u32 v4, s0, v4, v49
	v_add_co_ci_u32_e64 v11, s0, 0, v11, s0
	ds_store_b32 v27, v26 offset:19200
	ds_store_2addr_b32 v29, v26, v26 offset1:1
	ds_store_b32 v27, v26 offset:19212
	s_waitcnt vmcnt(0) lgkmcnt(3)
	ds_store_b128 v12, v[20:23]
	v_cndmask_b32_e64 v11, s1, v11, s6
	v_cndmask_b32_e64 v10, v28, v4, s6
	v_ashrrev_i32_e32 v4, 31, v3
	flat_load_b128 v[20:23], v[10:11]
	v_lshlrev_b64 v[10:11], 2, v[3:4]
	v_add_nc_u32_e32 v3, s7, v3
	s_delay_alu instid0(VALU_DEP_2) | instskip(NEXT) | instid1(VALU_DEP_1)
	v_add_co_u32 v4, s0, s11, v10
	v_add_co_ci_u32_e64 v10, s0, s12, v11, s0
	v_lshl_add_u32 v11, v9, 9, v49
	s_delay_alu instid0(VALU_DEP_3) | instskip(NEXT) | instid1(VALU_DEP_1)
	v_add_co_u32 v4, s0, v4, v49
	v_add_co_ci_u32_e64 v10, s0, 0, v10, s0
	ds_store_b32 v27, v26 offset:19200
	ds_store_2addr_b32 v29, v26, v26 offset1:1
	ds_store_b32 v27, v26 offset:19212
	s_waitcnt vmcnt(0) lgkmcnt(3)
	ds_store_b128 v11, v[20:23]
	v_cndmask_b32_e64 v10, s1, v10, s5
	v_cndmask_b32_e64 v9, v28, v4, s5
	v_ashrrev_i32_e32 v4, 31, v3
	flat_load_b128 v[9:12], v[9:10]
	v_lshlrev_b64 v[20:21], 2, v[3:4]
	ds_store_b32 v27, v26 offset:19200
	ds_store_2addr_b32 v29, v26, v26 offset1:1
	ds_store_b32 v27, v26 offset:19212
	s_waitcnt vmcnt(0) lgkmcnt(3)
	ds_store_b128 v8, v[9:12]
	v_add_co_u32 v4, s0, s11, v20
	s_delay_alu instid0(VALU_DEP_1) | instskip(SKIP_1) | instid1(VALU_DEP_3)
	v_add_co_ci_u32_e64 v20, s0, s12, v21, s0
	v_add_nc_u32_e32 v3, s7, v3
	v_add_co_u32 v4, s0, v4, v49
	s_delay_alu instid0(VALU_DEP_1) | instskip(NEXT) | instid1(VALU_DEP_1)
	v_add_co_ci_u32_e64 v20, s0, 0, v20, s0
	v_cndmask_b32_e64 v21, s1, v20, s4
	s_delay_alu instid0(VALU_DEP_3)
	v_cndmask_b32_e64 v20, v28, v4, s4
	v_ashrrev_i32_e32 v4, 31, v3
	flat_load_b128 v[8:11], v[20:21]
	v_lshlrev_b64 v[3:4], 2, v[3:4]
	ds_store_b32 v27, v26 offset:19200
	ds_store_2addr_b32 v29, v26, v26 offset1:1
	ds_store_b32 v27, v26 offset:19212
	s_waitcnt vmcnt(0) lgkmcnt(3)
	ds_store_b128 v7, v[8:11]
	v_add_co_u32 v3, s0, s11, v3
	s_delay_alu instid0(VALU_DEP_1) | instskip(SKIP_1) | instid1(VALU_DEP_3)
	v_add_co_ci_u32_e64 v4, s0, s12, v4, s0
	v_sub_f32_e32 v11, v5, v18
	v_add_co_u32 v3, s0, v3, v49
	s_delay_alu instid0(VALU_DEP_1) | instskip(NEXT) | instid1(VALU_DEP_2)
	v_add_co_ci_u32_e64 v4, s0, 0, v4, s0
	v_cndmask_b32_e32 v3, v28, v3, vcc_lo
	s_delay_alu instid0(VALU_DEP_2) | instskip(SKIP_3) | instid1(VALU_DEP_1)
	v_cndmask_b32_e32 v4, s1, v4, vcc_lo
	v_cmp_ngt_f32_e32 vcc_lo, 0xc2ce8ed0, v11
	flat_load_b128 v[7:10], v[3:4]
	v_mul_f32_e32 v3, 0x3fb8aa3b, v11
	v_fma_f32 v4, 0x3fb8aa3b, v11, -v3
	v_rndne_f32_e32 v5, v3
	s_delay_alu instid0(VALU_DEP_1) | instskip(NEXT) | instid1(VALU_DEP_1)
	v_dual_fmac_f32 v4, 0x32a5705f, v11 :: v_dual_sub_f32 v3, v3, v5
	v_add_f32_e32 v3, v3, v4
	v_cvt_i32_f32_e32 v4, v5
	s_delay_alu instid0(VALU_DEP_2) | instskip(SKIP_3) | instid1(VALU_DEP_2)
	v_exp_f32_e32 v3, v3
	s_waitcnt_depctr 0xfff
	v_ldexp_f32 v3, v3, v4
	v_lshl_add_u32 v4, v6, 9, v49
	v_cndmask_b32_e32 v12, 0, v3, vcc_lo
	v_cmp_nlt_f32_e32 vcc_lo, 0x42b17218, v11
	s_delay_alu instid0(VALU_DEP_2) | instskip(SKIP_1) | instid1(VALU_DEP_2)
	v_cndmask_b32_e32 v11, 0x7f800000, v12, vcc_lo
	v_add_nc_u32_e32 v12, 0x1000, v44
	v_cvt_f16_f32_e32 v59, v11
	v_fma_f32 v43, v43, v11, v0
	s_delay_alu instid0(VALU_DEP_2)
	v_pk_mul_f16 v47, v59, v47 op_sel_hi:[0,1]
	v_pk_mul_f16 v46, v59, v46 op_sel_hi:[0,1]
	s_waitcnt vmcnt(0) lgkmcnt(0)
	ds_store_b128 v4, v[7:10]
	s_waitcnt lgkmcnt(0)
	s_barrier
	buffer_gl0_inv
	ds_load_2addr_b64 v[3:6], v44 offset1:32
	ds_load_b128 v[7:10], v19 offset:18944
	ds_load_2addr_b64 v[20:23], v44 offset0:64 offset1:96
	ds_load_2addr_b64 v[24:27], v44 offset0:128 offset1:160
	ds_load_b128 v[28:31], v19 offset:18960
	ds_load_2addr_b64 v[32:35], v44 offset0:192 offset1:224
	ds_load_b128 v[36:39], v19 offset:18976
	ds_load_b128 v[49:52], v19 offset:18992
	ds_load_2addr_b64 v[53:56], v40 offset1:32
	s_waitcnt lgkmcnt(7)
	v_pk_mul_f16 v3, v3, v7 op_sel_hi:[1,0]
	v_pk_mul_f16 v4, v4, v7 op_sel_hi:[1,0]
	v_pk_fma_f16 v19, v5, v7, v47 op_sel_hi:[1,0,1]
	v_pk_fma_f16 v44, v6, v7, v46 op_sel_hi:[1,0,1]
	s_delay_alu instid0(VALU_DEP_4) | instskip(NEXT) | instid1(VALU_DEP_4)
	v_pk_fma_f16 v45, v45, v59, v3 op_sel_hi:[1,0,1]
	v_pk_fma_f16 v46, v48, v59, v4 op_sel_hi:[1,0,1]
	ds_load_2addr_b64 v[3:6], v40 offset0:64 offset1:96
	s_waitcnt lgkmcnt(7)
	v_pk_fma_f16 v47, v22, v7, v19 op_sel:[0,1,0]
	v_pk_fma_f16 v23, v23, v7, v44 op_sel:[0,1,0]
	v_pk_fma_f16 v44, v20, v7, v45 op_sel:[0,1,0]
	v_pk_fma_f16 v7, v21, v7, v46 op_sel:[0,1,0]
	ds_load_2addr_b64 v[19:22], v40 offset0:128 offset1:160
	s_waitcnt lgkmcnt(7)
	v_pk_fma_f16 v45, v26, v8, v47 op_sel_hi:[1,0,1]
	v_pk_fma_f16 v27, v27, v8, v23 op_sel_hi:[1,0,1]
	v_pk_fma_f16 v44, v24, v8, v44 op_sel_hi:[1,0,1]
	v_pk_fma_f16 v7, v25, v8, v7 op_sel_hi:[1,0,1]
	ds_load_2addr_b64 v[23:26], v40 offset0:192 offset1:224
	s_waitcnt lgkmcnt(6)
	v_pk_fma_f16 v40, v34, v8, v45 op_sel:[0,1,0]
	v_pk_fma_f16 v27, v35, v8, v27 op_sel:[0,1,0]
	v_pk_fma_f16 v44, v32, v8, v44 op_sel:[0,1,0]
	v_pk_fma_f16 v7, v33, v8, v7 op_sel:[0,1,0]
	ds_load_2addr_b64 v[32:35], v12 offset1:32
	s_waitcnt lgkmcnt(4)
	v_pk_fma_f16 v8, v55, v9, v40 op_sel_hi:[1,0,1]
	v_pk_fma_f16 v27, v56, v9, v27 op_sel_hi:[1,0,1]
	v_pk_fma_f16 v40, v53, v9, v44 op_sel_hi:[1,0,1]
	v_pk_fma_f16 v7, v54, v9, v7 op_sel_hi:[1,0,1]
	ds_load_2addr_b64 v[44:47], v12 offset0:64 offset1:96
	s_waitcnt lgkmcnt(4)
	v_pk_fma_f16 v8, v5, v9, v8 op_sel:[0,1,0]
	v_pk_fma_f16 v27, v6, v9, v27 op_sel:[0,1,0]
	v_pk_fma_f16 v40, v3, v9, v40 op_sel:[0,1,0]
	v_pk_fma_f16 v7, v4, v9, v7 op_sel:[0,1,0]
	ds_load_2addr_b64 v[3:6], v12 offset0:128 offset1:160
	s_waitcnt lgkmcnt(4)
	v_pk_fma_f16 v8, v21, v10, v8 op_sel_hi:[1,0,1]
	v_pk_fma_f16 v9, v22, v10, v27 op_sel_hi:[1,0,1]
	v_pk_fma_f16 v27, v19, v10, v40 op_sel_hi:[1,0,1]
	v_pk_fma_f16 v7, v20, v10, v7 op_sel_hi:[1,0,1]
	ds_load_2addr_b64 v[19:22], v12 offset0:192 offset1:224
	s_waitcnt lgkmcnt(4)
	v_pk_fma_f16 v12, v25, v10, v8 op_sel:[0,1,0]
	v_pk_fma_f16 v25, v26, v10, v9 op_sel:[0,1,0]
	v_pk_fma_f16 v23, v23, v10, v27 op_sel:[0,1,0]
	v_pk_fma_f16 v24, v24, v10, v7 op_sel:[0,1,0]
	ds_load_2addr_b64 v[7:10], v57 offset1:32
	s_waitcnt lgkmcnt(4)
	v_pk_fma_f16 v12, v34, v28, v12 op_sel_hi:[1,0,1]
	v_pk_fma_f16 v27, v35, v28, v25 op_sel_hi:[1,0,1]
	;; [unrolled: 24-line block ×6, first 2 shown]
	v_pk_fma_f16 v32, v27, v49, v32 op_sel_hi:[1,0,1]
	v_pk_fma_f16 v31, v28, v49, v31 op_sel_hi:[1,0,1]
	ds_load_2addr_b64 v[27:30], v62 offset0:64 offset1:96
	s_waitcnt lgkmcnt(4)
	v_pk_fma_f16 v5, v5, v49, v12 op_sel:[0,1,0]
	v_pk_fma_f16 v6, v6, v49, v33 op_sel:[0,1,0]
	;; [unrolled: 1-line block ×4, first 2 shown]
	ds_load_2addr_b64 v[31:34], v62 offset0:128 offset1:160
	s_waitcnt lgkmcnt(4)
	v_pk_fma_f16 v5, v21, v50, v5 op_sel_hi:[1,0,1]
	v_pk_fma_f16 v6, v22, v50, v6 op_sel_hi:[1,0,1]
	;; [unrolled: 1-line block ×4, first 2 shown]
	ds_load_2addr_b64 v[19:22], v62 offset0:192 offset1:224
	s_waitcnt lgkmcnt(4)
	v_pk_fma_f16 v5, v9, v50, v5 op_sel:[0,1,0]
	v_mov_b32_e32 v9, v42
	v_pk_fma_f16 v6, v10, v50, v6 op_sel:[0,1,0]
	v_pk_fma_f16 v3, v7, v50, v3 op_sel:[0,1,0]
	;; [unrolled: 1-line block ×3, first 2 shown]
	s_waitcnt lgkmcnt(3)
	v_pk_fma_f16 v5, v25, v51, v5 op_sel_hi:[1,0,1]
	v_mov_b32_e32 v8, 32
	v_pk_fma_f16 v6, v26, v51, v6 op_sel_hi:[1,0,1]
	v_pk_fma_f16 v3, v23, v51, v3 op_sel_hi:[1,0,1]
	;; [unrolled: 1-line block ×3, first 2 shown]
	s_waitcnt lgkmcnt(2)
	v_pk_fma_f16 v7, v29, v51, v5 op_sel:[0,1,0]
	v_mov_b32_e32 v5, v18
	v_pk_fma_f16 v6, v30, v51, v6 op_sel:[0,1,0]
	v_pk_fma_f16 v3, v27, v51, v3 op_sel:[0,1,0]
	;; [unrolled: 1-line block ×3, first 2 shown]
	s_waitcnt lgkmcnt(1)
	v_pk_fma_f16 v7, v33, v52, v7 op_sel_hi:[1,0,1]
	s_waitcnt lgkmcnt(0)
	v_pk_fma_f16 v6, v34, v52, v6 op_sel_hi:[1,0,1]
	v_pk_fma_f16 v3, v31, v52, v3 op_sel_hi:[1,0,1]
	;; [unrolled: 1-line block ×3, first 2 shown]
	v_pk_fma_f16 v47, v21, v52, v7 op_sel:[0,1,0]
	s_barrier
	v_pk_fma_f16 v46, v22, v52, v6 op_sel:[0,1,0]
	v_pk_fma_f16 v45, v19, v52, v3 op_sel:[0,1,0]
	;; [unrolled: 1-line block ×3, first 2 shown]
	buffer_gl0_inv
.LBB73_31:
	v_cmp_lt_i32_e32 vcc_lo, v13, v8
	s_cmp_eq_u64 s[24:25], 0
	s_cselect_b32 s0, -1, 0
	s_cmp_lg_u32 s14, 0
	v_cndmask_b32_e32 v0, v9, v13, vcc_lo
	v_cmp_lt_i32_e32 vcc_lo, v14, v8
	s_cselect_b32 s1, -1, 0
	s_delay_alu instid0(SALU_CYCLE_1) | instskip(SKIP_2) | instid1(VALU_DEP_2)
	s_or_b32 s0, s1, s0
	v_cndmask_b32_e32 v3, v9, v14, vcc_lo
	v_cmp_lt_i32_e32 vcc_lo, v15, v8
	v_lshlrev_b32_e32 v3, 2, v3
	v_lshlrev_b32_e32 v0, 2, v0
	v_cndmask_b32_e32 v4, v9, v15, vcc_lo
	v_cmp_lt_i32_e32 vcc_lo, v16, v8
	ds_bpermute_b32 v0, v0, v43
	v_lshlrev_b32_e32 v4, 2, v4
	s_waitcnt lgkmcnt(0)
	v_add_f32_e32 v0, v43, v0
	ds_bpermute_b32 v3, v3, v0
	s_waitcnt lgkmcnt(0)
	v_add_f32_e32 v0, v0, v3
	ds_bpermute_b32 v3, v4, v0
	v_cndmask_b32_e32 v4, v9, v16, vcc_lo
	v_cmp_lt_i32_e32 vcc_lo, v17, v8
	s_delay_alu instid0(VALU_DEP_2)
	v_lshlrev_b32_e32 v4, 2, v4
	s_waitcnt lgkmcnt(0)
	v_add_f32_e32 v0, v0, v3
	ds_bpermute_b32 v3, v4, v0
	v_cndmask_b32_e32 v4, v9, v17, vcc_lo
	s_and_b32 vcc_lo, exec_lo, s0
	s_delay_alu instid0(VALU_DEP_1)
	v_lshlrev_b32_e32 v4, 2, v4
	s_waitcnt lgkmcnt(0)
	v_add_f32_e32 v0, v0, v3
	ds_bpermute_b32 v3, v4, v0
	s_waitcnt lgkmcnt(0)
	v_add_f32_e32 v6, v0, v3
	s_cbranch_vccnz .LBB73_33
; %bb.32:
	s_lshl_b64 s[0:1], s[34:35], 2
	v_dual_mov_b32 v0, 0 :: v_dual_max_f32 v3, v5, v5
	s_add_u32 s0, s24, s0
	s_addc_u32 s1, s25, s1
	global_load_b32 v0, v0, s[0:1]
	s_waitcnt vmcnt(0)
	v_max_f32_e32 v4, v0, v0
	s_delay_alu instid0(VALU_DEP_1) | instskip(NEXT) | instid1(VALU_DEP_1)
	v_max_f32_e32 v3, v3, v4
	v_sub_f32_e32 v0, v0, v3
	s_delay_alu instid0(VALU_DEP_1) | instskip(NEXT) | instid1(VALU_DEP_1)
	v_dual_sub_f32 v4, v5, v3 :: v_dual_mul_f32 v7, 0x3fb8aa3b, v0
	v_mul_f32_e32 v5, 0x3fb8aa3b, v4
	v_cmp_ngt_f32_e32 vcc_lo, 0xc2ce8ed0, v4
	s_delay_alu instid0(VALU_DEP_3) | instskip(NEXT) | instid1(VALU_DEP_3)
	v_rndne_f32_e32 v11, v7
	v_fma_f32 v8, 0x3fb8aa3b, v4, -v5
	v_rndne_f32_e32 v9, v5
	v_fma_f32 v10, 0x3fb8aa3b, v0, -v7
	s_delay_alu instid0(VALU_DEP_3) | instskip(NEXT) | instid1(VALU_DEP_3)
	v_dual_sub_f32 v7, v7, v11 :: v_dual_fmac_f32 v8, 0x32a5705f, v4
	v_sub_f32_e32 v5, v5, v9
	s_delay_alu instid0(VALU_DEP_1) | instskip(SKIP_2) | instid1(VALU_DEP_3)
	v_add_f32_e32 v5, v5, v8
	v_cvt_i32_f32_e32 v8, v9
	v_cvt_i32_f32_e32 v9, v11
	v_exp_f32_e32 v5, v5
	s_waitcnt_depctr 0xfff
	v_ldexp_f32 v5, v5, v8
	s_delay_alu instid0(VALU_DEP_1) | instskip(NEXT) | instid1(VALU_DEP_1)
	v_dual_fmac_f32 v10, 0x32a5705f, v0 :: v_dual_cndmask_b32 v5, 0, v5
	v_add_f32_e32 v7, v7, v10
	v_cmp_ngt_f32_e32 vcc_lo, 0xc2ce8ed0, v0
	s_delay_alu instid0(VALU_DEP_2) | instskip(SKIP_2) | instid1(VALU_DEP_1)
	v_exp_f32_e32 v7, v7
	s_waitcnt_depctr 0xfff
	v_ldexp_f32 v7, v7, v9
	v_cndmask_b32_e32 v7, 0, v7, vcc_lo
	v_cmp_nlt_f32_e32 vcc_lo, 0x42b17218, v4
	v_cndmask_b32_e32 v4, 0x7f800000, v5, vcc_lo
	v_cmp_nlt_f32_e32 vcc_lo, 0x42b17218, v0
	s_delay_alu instid0(VALU_DEP_2) | instskip(SKIP_1) | instid1(VALU_DEP_2)
	v_cvt_f16_f32_e32 v5, v4
	v_cndmask_b32_e32 v0, 0x7f800000, v7, vcc_lo
	v_pk_mul_f16 v45, v5, v45 op_sel_hi:[0,1]
	s_delay_alu instid0(VALU_DEP_2) | instskip(SKIP_3) | instid1(VALU_DEP_4)
	v_fmac_f32_e32 v0, v6, v4
	v_pk_mul_f16 v48, v5, v48 op_sel_hi:[0,1]
	v_pk_mul_f16 v47, v5, v47 op_sel_hi:[0,1]
	;; [unrolled: 1-line block ×3, first 2 shown]
	v_dual_mov_b32 v5, v3 :: v_dual_mov_b32 v6, v0
.LBB73_33:
	s_mov_b32 s0, exec_lo
	v_cmpx_gt_i32_e64 s38, v2
	s_cbranch_execz .LBB73_36
; %bb.34:
	s_delay_alu instid0(VALU_DEP_2) | instskip(SKIP_2) | instid1(VALU_DEP_2)
	v_div_scale_f32 v0, null, v6, v6, 1.0
	s_load_b32 s1, s[2:3], 0xd4
	v_mad_u64_u32 v[3:4], null, s33, s38, v[2:3]
	v_rcp_f32_e32 v9, v0
	v_div_scale_f32 v10, vcc_lo, 1.0, v6, 1.0
	v_lshrrev_b32_e32 v12, 16, v45
	v_cmp_eq_u32_e64 s0, 0, v1
	v_lshrrev_b32_e32 v16, 16, v47
	v_mad_u64_u32 v[7:8], null, v3, s39, s[34:35]
	v_lshrrev_b32_e32 v8, 16, v48
	v_cvt_f32_f16_e32 v12, v12
	s_delay_alu instid0(TRANS32_DEP_1)
	v_fma_f32 v2, -v0, v9, 1.0
	v_cvt_f32_f16_e32 v11, v48
	v_cvt_f32_f16_e32 v14, v45
	;; [unrolled: 1-line block ×4, first 2 shown]
	v_dual_fmac_f32 v9, v2, v9 :: v_dual_mov_b32 v4, 0
	s_waitcnt lgkmcnt(0)
	v_mad_u64_u32 v[2:3], null, s1, v7, s[14:15]
	v_lshrrev_b32_e32 v7, 16, v46
	s_delay_alu instid0(VALU_DEP_3)
	v_mul_f32_e32 v13, v10, v9
	s_cmp_lg_u32 s1, 1
	v_cvt_f32_f16_e32 v17, v47
	s_cselect_b32 s1, -1, 0
	v_cvt_f32_f16_e32 v16, v16
	v_fma_f32 v3, -v0, v13, v10
	s_and_b32 s0, s0, s1
	s_delay_alu instid0(VALU_DEP_1) | instskip(SKIP_1) | instid1(VALU_DEP_2)
	v_fmac_f32_e32 v13, v3, v9
	v_lshl_add_u32 v3, v2, 8, v41
	v_fma_f32 v10, -v0, v13, v10
	s_delay_alu instid0(VALU_DEP_2) | instskip(NEXT) | instid1(VALU_DEP_2)
	v_lshlrev_b64 v[0:1], 2, v[3:4]
	v_div_fmas_f32 v9, v10, v9, v13
	v_cvt_f32_f16_e32 v13, v7
	s_delay_alu instid0(VALU_DEP_3) | instskip(NEXT) | instid1(VALU_DEP_4)
	v_add_co_u32 v0, vcc_lo, s28, v0
	v_add_co_ci_u32_e32 v1, vcc_lo, s29, v1, vcc_lo
	s_delay_alu instid0(VALU_DEP_4) | instskip(NEXT) | instid1(VALU_DEP_1)
	v_div_fixup_f32 v7, v9, v6, 1.0
	v_cndmask_b32_e64 v18, v7, 1.0, s1
	s_delay_alu instid0(VALU_DEP_1) | instskip(SKIP_1) | instid1(VALU_DEP_2)
	v_dual_mul_f32 v10, v18, v8 :: v_dual_add_nc_u32 v3, 0x80, v3
	v_mul_f32_e32 v8, v18, v12
	v_lshlrev_b64 v[3:4], 2, v[3:4]
	v_mul_f32_e32 v9, v18, v11
	v_mul_f32_e32 v7, v18, v14
	;; [unrolled: 1-line block ×5, first 2 shown]
	v_add_co_u32 v3, vcc_lo, s28, v3
	v_add_co_ci_u32_e32 v4, vcc_lo, s29, v4, vcc_lo
	v_mul_f32_e32 v11, v18, v17
	s_clause 0x1
	global_store_b128 v[0:1], v[7:10], off
	global_store_b128 v[3:4], v[11:14], off
	s_and_b32 exec_lo, exec_lo, s0
	s_cbranch_execz .LBB73_36
; %bb.35:
	v_ashrrev_i32_e32 v3, 31, v2
	s_delay_alu instid0(VALU_DEP_1) | instskip(NEXT) | instid1(VALU_DEP_1)
	v_lshlrev_b64 v[0:1], 3, v[2:3]
	v_add_co_u32 v0, vcc_lo, s30, v0
	s_delay_alu instid0(VALU_DEP_2)
	v_add_co_ci_u32_e32 v1, vcc_lo, s31, v1, vcc_lo
	global_store_b64 v[0:1], v[5:6], off
.LBB73_36:
	s_nop 0
	s_sendmsg sendmsg(MSG_DEALLOC_VGPRS)
	s_endpgm
	.section	.rodata,"a",@progbits
	.p2align	6, 0x0
	.amdhsa_kernel _ZL15flash_attn_tileILi256ELi256ELi4ELi1ELb1EEvPKcS1_S1_S1_S1_PKiPfP15HIP_vector_typeIfLj2EEffffjfiS5_IjLj3EEiiiiiiiiiiiliiliiiiil
		.amdhsa_group_segment_fixed_size 21248
		.amdhsa_private_segment_fixed_size 32
		.amdhsa_kernarg_size 464
		.amdhsa_user_sgpr_count 13
		.amdhsa_user_sgpr_dispatch_ptr 1
		.amdhsa_user_sgpr_queue_ptr 0
		.amdhsa_user_sgpr_kernarg_segment_ptr 1
		.amdhsa_user_sgpr_dispatch_id 0
		.amdhsa_user_sgpr_private_segment_size 0
		.amdhsa_wavefront_size32 1
		.amdhsa_uses_dynamic_stack 0
		.amdhsa_enable_private_segment 1
		.amdhsa_system_sgpr_workgroup_id_x 1
		.amdhsa_system_sgpr_workgroup_id_y 1
		.amdhsa_system_sgpr_workgroup_id_z 1
		.amdhsa_system_sgpr_workgroup_info 0
		.amdhsa_system_vgpr_workitem_id 2
		.amdhsa_next_free_vgpr 137
		.amdhsa_next_free_sgpr 52
		.amdhsa_reserve_vcc 1
		.amdhsa_float_round_mode_32 0
		.amdhsa_float_round_mode_16_64 0
		.amdhsa_float_denorm_mode_32 3
		.amdhsa_float_denorm_mode_16_64 3
		.amdhsa_dx10_clamp 1
		.amdhsa_ieee_mode 1
		.amdhsa_fp16_overflow 0
		.amdhsa_workgroup_processor_mode 1
		.amdhsa_memory_ordered 1
		.amdhsa_forward_progress 0
		.amdhsa_shared_vgpr_count 0
		.amdhsa_exception_fp_ieee_invalid_op 0
		.amdhsa_exception_fp_denorm_src 0
		.amdhsa_exception_fp_ieee_div_zero 0
		.amdhsa_exception_fp_ieee_overflow 0
		.amdhsa_exception_fp_ieee_underflow 0
		.amdhsa_exception_fp_ieee_inexact 0
		.amdhsa_exception_int_div_zero 0
	.end_amdhsa_kernel
	.section	.text._ZL15flash_attn_tileILi256ELi256ELi4ELi1ELb1EEvPKcS1_S1_S1_S1_PKiPfP15HIP_vector_typeIfLj2EEffffjfiS5_IjLj3EEiiiiiiiiiiiliiliiiiil,"axG",@progbits,_ZL15flash_attn_tileILi256ELi256ELi4ELi1ELb1EEvPKcS1_S1_S1_S1_PKiPfP15HIP_vector_typeIfLj2EEffffjfiS5_IjLj3EEiiiiiiiiiiiliiliiiiil,comdat
.Lfunc_end73:
	.size	_ZL15flash_attn_tileILi256ELi256ELi4ELi1ELb1EEvPKcS1_S1_S1_S1_PKiPfP15HIP_vector_typeIfLj2EEffffjfiS5_IjLj3EEiiiiiiiiiiiliiliiiiil, .Lfunc_end73-_ZL15flash_attn_tileILi256ELi256ELi4ELi1ELb1EEvPKcS1_S1_S1_S1_PKiPfP15HIP_vector_typeIfLj2EEffffjfiS5_IjLj3EEiiiiiiiiiiiliiliiiiil
                                        ; -- End function
	.section	.AMDGPU.csdata,"",@progbits
; Kernel info:
; codeLenInByte = 18264
; NumSgprs: 54
; NumVgprs: 137
; ScratchSize: 32
; MemoryBound: 0
; FloatMode: 240
; IeeeMode: 1
; LDSByteSize: 21248 bytes/workgroup (compile time only)
; SGPRBlocks: 6
; VGPRBlocks: 17
; NumSGPRsForWavesPerEU: 54
; NumVGPRsForWavesPerEU: 137
; Occupancy: 6
; WaveLimiterHint : 1
; COMPUTE_PGM_RSRC2:SCRATCH_EN: 1
; COMPUTE_PGM_RSRC2:USER_SGPR: 13
; COMPUTE_PGM_RSRC2:TRAP_HANDLER: 0
; COMPUTE_PGM_RSRC2:TGID_X_EN: 1
; COMPUTE_PGM_RSRC2:TGID_Y_EN: 1
; COMPUTE_PGM_RSRC2:TGID_Z_EN: 1
; COMPUTE_PGM_RSRC2:TIDIG_COMP_CNT: 2
	.section	.text._ZL15flash_attn_tileILi256ELi256ELi2ELi1ELb1EEvPKcS1_S1_S1_S1_PKiPfP15HIP_vector_typeIfLj2EEffffjfiS5_IjLj3EEiiiiiiiiiiiliiliiiiil,"axG",@progbits,_ZL15flash_attn_tileILi256ELi256ELi2ELi1ELb1EEvPKcS1_S1_S1_S1_PKiPfP15HIP_vector_typeIfLj2EEffffjfiS5_IjLj3EEiiiiiiiiiiiliiliiiiil,comdat
	.globl	_ZL15flash_attn_tileILi256ELi256ELi2ELi1ELb1EEvPKcS1_S1_S1_S1_PKiPfP15HIP_vector_typeIfLj2EEffffjfiS5_IjLj3EEiiiiiiiiiiiliiliiiiil ; -- Begin function _ZL15flash_attn_tileILi256ELi256ELi2ELi1ELb1EEvPKcS1_S1_S1_S1_PKiPfP15HIP_vector_typeIfLj2EEffffjfiS5_IjLj3EEiiiiiiiiiiiliiliiiiil
	.p2align	8
	.type	_ZL15flash_attn_tileILi256ELi256ELi2ELi1ELb1EEvPKcS1_S1_S1_S1_PKiPfP15HIP_vector_typeIfLj2EEffffjfiS5_IjLj3EEiiiiiiiiiiiliiliiiiil,@function
_ZL15flash_attn_tileILi256ELi256ELi2ELi1ELb1EEvPKcS1_S1_S1_S1_PKiPfP15HIP_vector_typeIfLj2EEffffjfiS5_IjLj3EEiiiiiiiiiiiliiliiiiil: ; @_ZL15flash_attn_tileILi256ELi256ELi2ELi1ELb1EEvPKcS1_S1_S1_S1_PKiPfP15HIP_vector_typeIfLj2EEffffjfiS5_IjLj3EEiiiiiiiiiiiliiliiiiil
; %bb.0:
	s_clause 0x3
	s_load_b128 s[8:11], s[0:1], 0x5c
	s_load_b64 s[42:43], s[0:1], 0x80
	s_load_b512 s[16:31], s[0:1], 0x0
	s_load_b64 s[44:45], s[0:1], 0xb8
	s_mov_b64 s[40:41], 0
	s_waitcnt lgkmcnt(0)
	v_cvt_f32_u32_e32 v1, s11
	s_sub_i32 s3, 0, s11
	s_delay_alu instid0(VALU_DEP_1) | instskip(SKIP_2) | instid1(VALU_DEP_1)
	v_rcp_iflag_f32_e32 v1, v1
	s_waitcnt_depctr 0xfff
	v_mul_f32_e32 v1, 0x4f7ffffe, v1
	v_cvt_u32_f32_e32 v1, v1
	s_delay_alu instid0(VALU_DEP_1) | instskip(NEXT) | instid1(VALU_DEP_1)
	v_readfirstlane_b32 s2, v1
	s_mul_i32 s3, s3, s2
	s_delay_alu instid0(SALU_CYCLE_1) | instskip(NEXT) | instid1(SALU_CYCLE_1)
	s_mul_hi_u32 s3, s2, s3
	s_add_i32 s2, s2, s3
	s_delay_alu instid0(SALU_CYCLE_1) | instskip(NEXT) | instid1(SALU_CYCLE_1)
	s_mul_hi_u32 s2, s15, s2
	s_mul_i32 s3, s2, s11
	s_add_i32 s4, s2, 1
	s_sub_i32 s3, s15, s3
	s_delay_alu instid0(SALU_CYCLE_1)
	s_sub_i32 s5, s3, s11
	s_cmp_ge_u32 s3, s11
	s_cselect_b32 s2, s4, s2
	s_cselect_b32 s3, s5, s3
	s_add_i32 s4, s2, 1
	s_cmp_ge_u32 s3, s11
	s_cselect_b32 s12, s4, s2
	s_abs_i32 s2, s43
	s_abs_i32 s6, s11
	v_cvt_f32_u32_e32 v1, s2
	s_sub_i32 s4, 0, s2
	s_mul_i32 s5, s12, s11
	s_delay_alu instid0(SALU_CYCLE_1) | instskip(NEXT) | instid1(VALU_DEP_1)
	s_sub_i32 s34, s15, s5
	v_rcp_iflag_f32_e32 v1, v1
	s_waitcnt_depctr 0xfff
	v_mul_f32_e32 v1, 0x4f7ffffe, v1
	s_delay_alu instid0(VALU_DEP_1) | instskip(NEXT) | instid1(VALU_DEP_1)
	v_cvt_u32_f32_e32 v1, v1
	v_readfirstlane_b32 s3, v1
	s_delay_alu instid0(VALU_DEP_1) | instskip(NEXT) | instid1(SALU_CYCLE_1)
	s_mul_i32 s4, s4, s3
	s_mul_hi_u32 s4, s3, s4
	s_delay_alu instid0(SALU_CYCLE_1) | instskip(SKIP_4) | instid1(SALU_CYCLE_1)
	s_add_i32 s3, s3, s4
	s_xor_b32 s4, s11, s43
	s_mul_hi_u32 s3, s6, s3
	s_ashr_i32 s4, s4, 31
	s_mul_i32 s5, s3, s2
	s_sub_i32 s5, s6, s5
	s_add_i32 s6, s3, 1
	s_sub_i32 s7, s5, s2
	s_cmp_ge_u32 s5, s2
	s_cselect_b32 s3, s6, s3
	s_cselect_b32 s5, s7, s5
	s_add_i32 s6, s3, 1
	s_cmp_ge_u32 s5, s2
	s_cselect_b32 s2, s6, s3
	s_abs_i32 s33, s34
	s_xor_b32 s2, s2, s4
	s_delay_alu instid0(SALU_CYCLE_1) | instskip(NEXT) | instid1(SALU_CYCLE_1)
	s_sub_i32 s5, s2, s4
	s_abs_i32 s15, s5
	s_delay_alu instid0(SALU_CYCLE_1) | instskip(SKIP_1) | instid1(VALU_DEP_1)
	v_cvt_f32_u32_e32 v1, s15
	s_sub_i32 s3, 0, s15
	v_rcp_iflag_f32_e32 v1, v1
	s_waitcnt_depctr 0xfff
	v_mul_f32_e32 v1, 0x4f7ffffe, v1
	s_delay_alu instid0(VALU_DEP_1) | instskip(NEXT) | instid1(VALU_DEP_1)
	v_cvt_u32_f32_e32 v1, v1
	v_readfirstlane_b32 s2, v1
	s_delay_alu instid0(VALU_DEP_1) | instskip(NEXT) | instid1(SALU_CYCLE_1)
	s_mul_i32 s3, s3, s2
	s_mul_hi_u32 s3, s2, s3
	s_delay_alu instid0(SALU_CYCLE_1)
	s_add_i32 s2, s2, s3
	s_cmp_eq_u64 s[22:23], 0
	s_cbranch_scc1 .LBB74_2
; %bb.1:
	s_abs_i32 s3, s44
	s_abs_i32 s35, s12
	v_cvt_f32_u32_e32 v1, s3
	s_sub_i32 s6, 0, s3
	s_delay_alu instid0(VALU_DEP_1) | instskip(SKIP_2) | instid1(VALU_DEP_1)
	v_rcp_iflag_f32_e32 v1, v1
	s_waitcnt_depctr 0xfff
	v_mul_f32_e32 v1, 0x4f7ffffe, v1
	v_cvt_u32_f32_e32 v1, v1
	s_delay_alu instid0(VALU_DEP_1) | instskip(NEXT) | instid1(VALU_DEP_1)
	v_readfirstlane_b32 s4, v1
	s_mul_i32 s6, s6, s4
	s_delay_alu instid0(SALU_CYCLE_1) | instskip(NEXT) | instid1(SALU_CYCLE_1)
	s_mul_hi_u32 s6, s4, s6
	s_add_i32 s4, s4, s6
	s_load_b64 s[6:7], s[0:1], 0xc8
	s_mul_hi_u32 s4, s35, s4
	s_delay_alu instid0(SALU_CYCLE_1) | instskip(NEXT) | instid1(SALU_CYCLE_1)
	s_mul_i32 s4, s4, s3
	s_sub_i32 s4, s35, s4
	s_ashr_i32 s35, s12, 31
	s_sub_i32 s36, s4, s3
	s_cmp_ge_u32 s4, s3
	s_cselect_b32 s4, s36, s4
	s_delay_alu instid0(SALU_CYCLE_1) | instskip(SKIP_2) | instid1(SALU_CYCLE_1)
	s_sub_i32 s36, s4, s3
	s_cmp_ge_u32 s4, s3
	s_cselect_b32 s3, s36, s4
	s_xor_b32 s3, s3, s35
	s_delay_alu instid0(SALU_CYCLE_1)
	s_sub_i32 s3, s3, s35
	s_waitcnt lgkmcnt(0)
	s_mul_i32 s4, s3, s7
	s_mul_hi_u32 s7, s3, s6
	s_ashr_i32 s35, s3, 31
	s_add_i32 s4, s7, s4
	s_mul_i32 s35, s35, s6
	s_mul_i32 s3, s3, s6
	s_add_i32 s4, s4, s35
	s_add_u32 s40, s22, s3
	s_addc_u32 s41, s23, s4
.LBB74_2:
	s_clause 0x1
	s_load_b128 s[36:39], s[0:1], 0x40
	s_load_b64 s[22:23], s[0:1], 0x50
	v_mov_b32_e32 v28, 1.0
	s_waitcnt lgkmcnt(0)
	v_cmp_le_f32_e64 s3, s37, 0
	s_mul_hi_u32 s37, s33, s2
	s_delay_alu instid0(VALU_DEP_1)
	s_and_b32 vcc_lo, exec_lo, s3
	s_cbranch_vccnz .LBB74_4
; %bb.3:
	s_sub_i32 s2, s34, s22
	s_add_i32 s3, s34, 1
	s_lshl_b32 s2, s2, 1
	v_mov_b32_e32 v1, s38
	s_or_b32 s2, s2, 1
	s_cmp_lt_u32 s34, s22
	s_cselect_b32 vcc_lo, -1, 0
	s_delay_alu instid0(VALU_DEP_1)
	v_cndmask_b32_e32 v3, s39, v1, vcc_lo
	s_and_b32 s4, vcc_lo, exec_lo
	s_cselect_b32 s2, s3, s2
	s_mov_b32 s3, 0x3e76c4e1
	v_cvt_f32_i32_e32 v1, s2
	v_cmp_neq_f32_e32 vcc_lo, 1.0, v3
	s_delay_alu instid0(VALU_DEP_2) | instskip(NEXT) | instid1(VALU_DEP_1)
	v_cndmask_b32_e32 v4, 1.0, v1, vcc_lo
	v_cmp_eq_f32_e32 vcc_lo, 0, v4
	v_cndmask_b32_e64 v5, |v3|, 1.0, vcc_lo
	s_delay_alu instid0(VALU_DEP_1) | instskip(NEXT) | instid1(VALU_DEP_1)
	v_frexp_mant_f32_e32 v1, v5
	v_cmp_gt_f32_e64 s2, 0x3f2aaaab, v1
	s_delay_alu instid0(VALU_DEP_1) | instskip(NEXT) | instid1(VALU_DEP_1)
	v_cndmask_b32_e64 v2, 1.0, 2.0, s2
	v_mul_f32_e32 v1, v1, v2
	s_delay_alu instid0(VALU_DEP_1) | instskip(SKIP_1) | instid1(VALU_DEP_2)
	v_add_f32_e32 v2, 1.0, v1
	v_add_f32_e32 v7, -1.0, v1
	v_rcp_f32_e32 v6, v2
	s_waitcnt_depctr 0xfff
	v_mul_f32_e32 v8, v7, v6
	s_delay_alu instid0(VALU_DEP_1) | instskip(NEXT) | instid1(VALU_DEP_1)
	v_dual_add_f32 v9, -1.0, v2 :: v_dual_mul_f32 v10, v2, v8
	v_sub_f32_e32 v1, v1, v9
	v_cndmask_b32_e64 v3, v3, 1.0, vcc_lo
	s_delay_alu instid0(VALU_DEP_3) | instskip(NEXT) | instid1(VALU_DEP_2)
	v_fma_f32 v2, v8, v2, -v10
	v_cmp_eq_f32_e64 s4, 0, v3
	s_delay_alu instid0(VALU_DEP_2) | instskip(NEXT) | instid1(VALU_DEP_1)
	v_fmac_f32_e32 v2, v8, v1
	v_add_f32_e32 v1, v10, v2
	s_delay_alu instid0(VALU_DEP_1) | instskip(NEXT) | instid1(VALU_DEP_1)
	v_dual_sub_f32 v10, v1, v10 :: v_dual_sub_f32 v9, v7, v1
	v_dual_sub_f32 v2, v10, v2 :: v_dual_sub_f32 v7, v7, v9
	s_delay_alu instid0(VALU_DEP_1) | instskip(NEXT) | instid1(VALU_DEP_1)
	v_sub_f32_e32 v1, v7, v1
	v_add_f32_e32 v1, v2, v1
	s_delay_alu instid0(VALU_DEP_1) | instskip(NEXT) | instid1(VALU_DEP_1)
	v_add_f32_e32 v1, v9, v1
	v_mul_f32_e32 v1, v6, v1
	s_delay_alu instid0(VALU_DEP_1) | instskip(NEXT) | instid1(VALU_DEP_1)
	v_add_f32_e32 v6, v8, v1
	v_sub_f32_e32 v2, v6, v8
	v_mul_f32_e32 v7, v6, v6
	s_delay_alu instid0(VALU_DEP_2) | instskip(NEXT) | instid1(VALU_DEP_2)
	v_sub_f32_e32 v8, v1, v2
	v_fma_f32 v9, v6, v6, -v7
	s_delay_alu instid0(VALU_DEP_2) | instskip(NEXT) | instid1(VALU_DEP_1)
	v_add_f32_e32 v1, v8, v8
	v_fmac_f32_e32 v9, v6, v1
	v_cvt_f64_f32_e32 v[1:2], v5
	s_delay_alu instid0(VALU_DEP_2) | instskip(NEXT) | instid1(VALU_DEP_1)
	v_add_f32_e32 v10, v7, v9
	v_fmaak_f32 v11, s3, v10, 0x3e91f4c4
	v_sub_f32_e32 v7, v10, v7
	v_mul_f32_e32 v14, v6, v10
	s_delay_alu instid0(VALU_DEP_3) | instskip(NEXT) | instid1(VALU_DEP_3)
	v_fmaak_f32 v11, v10, v11, 0x3ecccdef
	v_sub_f32_e32 v7, v9, v7
	s_delay_alu instid0(VALU_DEP_2) | instskip(NEXT) | instid1(VALU_DEP_1)
	v_mul_f32_e32 v12, v10, v11
	v_fma_f32 v9, v10, v11, -v12
	s_delay_alu instid0(VALU_DEP_1) | instskip(NEXT) | instid1(VALU_DEP_1)
	v_fmac_f32_e32 v9, v7, v11
	v_add_f32_e32 v11, v12, v9
	v_frexp_exp_i32_f64_e32 v1, v[1:2]
	s_delay_alu instid0(VALU_DEP_2) | instskip(NEXT) | instid1(VALU_DEP_1)
	v_sub_f32_e32 v12, v11, v12
	v_sub_f32_e32 v2, v9, v12
	v_fma_f32 v12, v10, v6, -v14
	s_delay_alu instid0(VALU_DEP_2) | instskip(NEXT) | instid1(VALU_DEP_2)
	v_add_f32_e32 v2, 0x31739010, v2
	v_dual_add_f32 v13, 0x3f2aaaaa, v11 :: v_dual_fmac_f32 v12, v10, v8
	v_ldexp_f32 v8, v8, 1
	s_delay_alu instid0(VALU_DEP_2) | instskip(NEXT) | instid1(VALU_DEP_1)
	v_dual_add_f32 v9, 0xbf2aaaaa, v13 :: v_dual_fmac_f32 v12, v7, v6
	v_sub_f32_e32 v9, v11, v9
	s_delay_alu instid0(VALU_DEP_1) | instskip(NEXT) | instid1(VALU_DEP_3)
	v_add_f32_e32 v2, v2, v9
	v_add_f32_e32 v9, v14, v12
	s_delay_alu instid0(VALU_DEP_2) | instskip(NEXT) | instid1(VALU_DEP_1)
	v_add_f32_e32 v7, v13, v2
	v_sub_f32_e32 v10, v13, v7
	s_delay_alu instid0(VALU_DEP_3) | instskip(SKIP_2) | instid1(VALU_DEP_4)
	v_mul_f32_e32 v11, v9, v7
	v_sub_f32_e32 v13, v9, v14
	v_subrev_co_ci_u32_e64 v1, s2, 0, v1, s2
	v_add_f32_e32 v2, v2, v10
	s_delay_alu instid0(VALU_DEP_4) | instskip(NEXT) | instid1(VALU_DEP_4)
	v_fma_f32 v10, v9, v7, -v11
	v_sub_f32_e32 v12, v12, v13
	s_delay_alu instid0(VALU_DEP_4) | instskip(NEXT) | instid1(VALU_DEP_3)
	v_cvt_f32_i32_e32 v1, v1
	v_fmac_f32_e32 v10, v9, v2
	v_ldexp_f32 v2, v6, 1
	s_delay_alu instid0(VALU_DEP_2) | instskip(NEXT) | instid1(VALU_DEP_1)
	v_fmac_f32_e32 v10, v12, v7
	v_add_f32_e32 v6, v11, v10
	s_delay_alu instid0(VALU_DEP_1) | instskip(NEXT) | instid1(VALU_DEP_1)
	v_add_f32_e32 v7, v2, v6
	v_dual_sub_f32 v2, v7, v2 :: v_dual_sub_f32 v9, v6, v11
	s_delay_alu instid0(VALU_DEP_1) | instskip(NEXT) | instid1(VALU_DEP_2)
	v_sub_f32_e32 v2, v6, v2
	v_sub_f32_e32 v9, v10, v9
	s_delay_alu instid0(VALU_DEP_1) | instskip(NEXT) | instid1(VALU_DEP_1)
	v_add_f32_e32 v6, v8, v9
	v_dual_mul_f32 v11, 0x3f317218, v1 :: v_dual_add_f32 v2, v6, v2
	s_delay_alu instid0(VALU_DEP_1) | instskip(NEXT) | instid1(VALU_DEP_2)
	v_fma_f32 v10, 0x3f317218, v1, -v11
	v_add_f32_e32 v8, v7, v2
	s_delay_alu instid0(VALU_DEP_1) | instskip(NEXT) | instid1(VALU_DEP_1)
	v_sub_f32_e32 v7, v8, v7
	v_dual_fmamk_f32 v1, v1, 0xb102e308, v10 :: v_dual_sub_f32 v2, v2, v7
	s_delay_alu instid0(VALU_DEP_1) | instskip(NEXT) | instid1(VALU_DEP_1)
	v_add_f32_e32 v6, v11, v1
	v_add_f32_e32 v9, v6, v8
	s_delay_alu instid0(VALU_DEP_1) | instskip(NEXT) | instid1(VALU_DEP_1)
	v_dual_sub_f32 v11, v6, v11 :: v_dual_sub_f32 v10, v9, v6
	v_sub_f32_e32 v12, v9, v10
	s_delay_alu instid0(VALU_DEP_2) | instskip(NEXT) | instid1(VALU_DEP_2)
	v_sub_f32_e32 v1, v1, v11
	v_dual_sub_f32 v7, v8, v10 :: v_dual_sub_f32 v6, v6, v12
	s_delay_alu instid0(VALU_DEP_2) | instskip(NEXT) | instid1(VALU_DEP_2)
	v_add_f32_e32 v8, v1, v2
	v_add_f32_e32 v6, v7, v6
	s_delay_alu instid0(VALU_DEP_1) | instskip(NEXT) | instid1(VALU_DEP_1)
	v_add_f32_e32 v6, v8, v6
	v_dual_sub_f32 v7, v8, v1 :: v_dual_add_f32 v10, v9, v6
	s_delay_alu instid0(VALU_DEP_1) | instskip(SKIP_1) | instid1(VALU_DEP_3)
	v_sub_f32_e32 v8, v8, v7
	v_sub_f32_e32 v2, v2, v7
	;; [unrolled: 1-line block ×3, first 2 shown]
	s_delay_alu instid0(VALU_DEP_3) | instskip(NEXT) | instid1(VALU_DEP_1)
	v_sub_f32_e32 v1, v1, v8
	v_add_f32_e32 v1, v2, v1
	s_delay_alu instid0(VALU_DEP_3) | instskip(NEXT) | instid1(VALU_DEP_1)
	v_sub_f32_e32 v2, v6, v7
	v_add_f32_e32 v1, v1, v2
	s_delay_alu instid0(VALU_DEP_1) | instskip(NEXT) | instid1(VALU_DEP_1)
	v_add_f32_e32 v2, v10, v1
	v_mul_f32_e32 v7, v4, v2
	v_sub_f32_e32 v6, v2, v10
	s_delay_alu instid0(VALU_DEP_2) | instskip(NEXT) | instid1(VALU_DEP_2)
	v_fma_f32 v2, v4, v2, -v7
	v_sub_f32_e32 v1, v1, v6
	v_cmp_class_f32_e64 s2, v7, 0x204
	s_delay_alu instid0(VALU_DEP_2) | instskip(NEXT) | instid1(VALU_DEP_1)
	v_fmac_f32_e32 v2, v4, v1
	v_add_f32_e32 v1, v7, v2
	s_delay_alu instid0(VALU_DEP_1) | instskip(NEXT) | instid1(VALU_DEP_1)
	v_cndmask_b32_e64 v6, v1, v7, s2
	v_cmp_eq_f32_e64 s2, 0x42b17218, v6
	s_delay_alu instid0(VALU_DEP_1) | instskip(SKIP_1) | instid1(VALU_DEP_2)
	v_cndmask_b32_e64 v8, 0, 0x37000000, s2
	v_cmp_neq_f32_e64 s2, 0x7f800000, |v6|
	v_sub_f32_e32 v9, v6, v8
	v_trunc_f32_e32 v6, v4
	s_delay_alu instid0(VALU_DEP_2) | instskip(NEXT) | instid1(VALU_DEP_1)
	v_mul_f32_e32 v10, 0x3fb8aa3b, v9
	v_fma_f32 v11, 0x3fb8aa3b, v9, -v10
	v_rndne_f32_e32 v12, v10
	s_delay_alu instid0(VALU_DEP_1) | instskip(NEXT) | instid1(VALU_DEP_1)
	v_dual_fmamk_f32 v11, v9, 0x32a5705f, v11 :: v_dual_sub_f32 v10, v10, v12
	v_add_f32_e32 v10, v10, v11
	v_sub_f32_e32 v1, v1, v7
	v_cvt_i32_f32_e32 v7, v12
	s_delay_alu instid0(VALU_DEP_3) | instskip(NEXT) | instid1(VALU_DEP_2)
	v_exp_f32_e32 v10, v10
	v_sub_f32_e32 v1, v2, v1
	s_delay_alu instid0(VALU_DEP_1)
	v_cndmask_b32_e64 v1, 0, v1, s2
	v_cmp_ngt_f32_e64 s2, 0xc2ce8ed0, v9
	s_waitcnt_depctr 0xfff
	v_ldexp_f32 v2, v10, v7
	v_mul_f32_e32 v7, 0.5, v4
	v_add_f32_e32 v1, v8, v1
	s_delay_alu instid0(VALU_DEP_3) | instskip(NEXT) | instid1(VALU_DEP_3)
	v_cndmask_b32_e64 v2, 0, v2, s2
	v_trunc_f32_e32 v10, v7
	v_cmp_nlt_f32_e64 s2, 0x42b17218, v9
	s_delay_alu instid0(VALU_DEP_2) | instskip(NEXT) | instid1(VALU_DEP_2)
	v_cmp_neq_f32_e64 s3, v10, v7
	v_cndmask_b32_e64 v2, 0x7f800000, v2, s2
	v_cmp_eq_f32_e64 s2, v6, v4
	s_delay_alu instid0(VALU_DEP_2) | instskip(NEXT) | instid1(VALU_DEP_2)
	v_fma_f32 v1, v2, v1, v2
	s_and_b32 vcc_lo, s2, s3
	v_cmp_class_f32_e64 s3, v2, 0x204
	v_cndmask_b32_e32 v6, 1.0, v3, vcc_lo
	s_delay_alu instid0(VALU_DEP_2) | instskip(SKIP_1) | instid1(VALU_DEP_2)
	v_cndmask_b32_e64 v1, v1, v2, s3
	v_cmp_gt_f32_e64 s3, 0, v4
	v_bfi_b32 v1, 0x7fffffff, v1, v6
	s_delay_alu instid0(VALU_DEP_2)
	s_xor_b32 s3, s3, s4
	v_cndmask_b32_e32 v6, 0, v3, vcc_lo
	v_cndmask_b32_e64 v2, 0x7f800000, 0, s3
	v_cmp_eq_f32_e32 vcc_lo, 0x7f800000, v5
	v_cndmask_b32_e64 v4, 0x7fc00000, v1, s2
	v_cmp_gt_f32_e64 s2, 0, v3
	s_delay_alu instid0(VALU_DEP_4) | instskip(SKIP_1) | instid1(VALU_DEP_2)
	v_bfi_b32 v2, 0x7fffffff, v2, v6
	s_or_b32 vcc_lo, vcc_lo, s4
	v_cndmask_b32_e64 v1, v1, v4, s2
	s_delay_alu instid0(VALU_DEP_1) | instskip(SKIP_1) | instid1(VALU_DEP_2)
	v_cndmask_b32_e32 v1, v1, v2, vcc_lo
	v_cmp_o_f32_e32 vcc_lo, v3, v3
	v_cndmask_b32_e32 v28, 0x7fc00000, v1, vcc_lo
.LBB74_4:
	v_bfe_u32 v54, v0, 10, 10
	s_load_b128 s[48:51], s[0:1], 0x70
	s_ashr_i32 s35, s34, 31
	s_ashr_i32 s22, s5, 31
	v_and_b32_e32 v39, 0x3ff, v0
	v_lshl_add_u32 v40, s13, 1, v54
	v_lshlrev_b32_e32 v27, 9, v54
	s_delay_alu instid0(VALU_DEP_3) | instskip(NEXT) | instid1(VALU_DEP_3)
	v_lshlrev_b32_e32 v50, 2, v39
	v_mul_hi_u32 v1, s8, v40
	s_delay_alu instid0(VALU_DEP_3) | instskip(NEXT) | instid1(VALU_DEP_2)
	v_lshl_or_b32 v12, v39, 3, v27
	v_add_nc_u32_e32 v1, v40, v1
	s_waitcnt lgkmcnt(0)
	s_mul_i32 s2, s12, s50
	s_mul_i32 s3, s34, s49
	s_delay_alu instid0(VALU_DEP_1)
	v_lshrrev_b32_e32 v1, s9, v1
	s_ashr_i32 s4, s2, 31
	s_add_u32 s2, s16, s2
	s_addc_u32 s4, s17, s4
	s_ashr_i32 s5, s3, 31
	v_mul_lo_u32 v1, v1, s10
	s_add_u32 s2, s2, s3
	s_addc_u32 s3, s4, s5
	s_ashr_i32 s4, s48, 31
	s_delay_alu instid0(SALU_CYCLE_1) | instskip(SKIP_2) | instid1(VALU_DEP_2)
	v_alignbit_b32 v3, s4, s48, 2
	s_lshr_b32 s4, s4, 2
	s_cmp_eq_u64 s[26:27], 0
	v_sub_nc_u32_e32 v29, v40, v1
	s_delay_alu instid0(VALU_DEP_1) | instskip(NEXT) | instid1(VALU_DEP_1)
	v_mad_u64_u32 v[1:2], null, v3, v29, 0
	v_mad_u64_u32 v[3:4], null, s4, v29, v[2:3]
	s_delay_alu instid0(VALU_DEP_1) | instskip(NEXT) | instid1(VALU_DEP_1)
	v_mov_b32_e32 v2, v3
	v_lshlrev_b64 v[0:1], 2, v[1:2]
	v_lshlrev_b32_e32 v2, 4, v39
	s_delay_alu instid0(VALU_DEP_2) | instskip(NEXT) | instid1(VALU_DEP_3)
	v_add_co_u32 v0, vcc_lo, s2, v0
	v_add_co_ci_u32_e32 v1, vcc_lo, s3, v1, vcc_lo
	s_mov_b32 s3, 0
	s_delay_alu instid0(VALU_DEP_2) | instskip(NEXT) | instid1(VALU_DEP_2)
	v_add_co_u32 v4, vcc_lo, v0, v2
	v_add_co_ci_u32_e32 v5, vcc_lo, 0, v1, vcc_lo
	s_clause 0x1
	global_load_b128 v[0:3], v[4:5], off
	global_load_b128 v[4:7], v[4:5], off offset:512
	s_waitcnt vmcnt(1)
	v_fma_mixlo_f16 v9, v2, s36, 0
	v_fma_mixlo_f16 v8, v0, s36, 0
	s_waitcnt vmcnt(0)
	v_fma_mixlo_f16 v11, v6, s36, 0
	v_fma_mixlo_f16 v10, v4, s36, 0
	v_add_nc_u32_e32 v0, 0x1000, v12
	v_fma_mixhi_f16 v9, v3, s36, 0
	v_fma_mixhi_f16 v8, v1, s36, 0
	;; [unrolled: 1-line block ×4, first 2 shown]
	ds_store_2addr_b64 v0, v[8:9], v[10:11] offset0:64 offset1:96
	s_waitcnt lgkmcnt(0)
	s_barrier
	buffer_gl0_inv
	s_cbranch_scc1 .LBB74_6
; %bb.5:
	s_load_b32 s2, s[0:1], 0xd0
	s_waitcnt lgkmcnt(0)
	s_mul_i32 s2, s2, s12
	s_delay_alu instid0(SALU_CYCLE_1) | instskip(NEXT) | instid1(SALU_CYCLE_1)
	s_add_i32 s2, s2, s13
	s_lshl_b64 s[2:3], s[2:3], 2
	s_delay_alu instid0(SALU_CYCLE_1)
	s_add_u32 s2, s26, s2
	s_addc_u32 s3, s27, s3
	s_load_b32 s42, s[2:3], 0x0
.LBB74_6:
	s_clause 0x2
	s_load_b64 s[2:3], s[0:1], 0x8c
	s_load_b128 s[4:7], s[0:1], 0x98
	s_load_b64 s[26:27], s[0:1], 0xa8
	s_ashr_i32 s9, s12, 31
	s_ashr_i32 s16, s45, 1
	s_mul_i32 s13, s37, s15
	v_dual_mov_b32 v56, 0 :: v_dual_and_b32 v31, 28, v50
	v_lshrrev_b32_e32 v32, 3, v39
	v_mul_u32_u24_e32 v30, 0x90, v39
	v_lshlrev_b32_e32 v52, 3, v39
	v_mbcnt_lo_u32_b32 v51, -1, 0
	s_waitcnt lgkmcnt(0)
	s_ashr_i32 s17, s2, 2
	s_mul_i32 s2, s12, s5
	s_mul_hi_u32 s5, s12, s4
	s_ashr_i32 s8, s6, 2
	s_mul_i32 s6, s9, s4
	s_add_i32 s2, s5, s2
	s_mul_i32 s4, s12, s4
	s_add_i32 s2, s2, s6
	s_add_u32 s4, s18, s4
	s_addc_u32 s2, s19, s2
	s_sub_i32 s6, s33, s13
	s_xor_b32 s5, s35, s22
	s_add_i32 s13, s37, 1
	s_sub_i32 s18, s6, s15
	s_cmp_ge_u32 s6, s15
	v_mul_lo_u32 v4, s8, v54
	s_cselect_b32 s13, s13, s37
	s_cselect_b32 s6, s18, s6
	s_add_i32 s18, s13, 1
	s_cmp_ge_u32 s6, s15
	s_mul_i32 s19, s12, s27
	s_cselect_b32 s6, s18, s13
	s_mul_hi_u32 s13, s12, s26
	s_xor_b32 s6, s6, s5
	s_mul_i32 s9, s9, s26
	s_sub_i32 s6, s6, s5
	s_mul_i32 s15, s12, s26
	s_mul_i32 s3, s6, s3
	;; [unrolled: 1-line block ×3, first 2 shown]
	s_ashr_i32 s5, s3, 31
	s_add_u32 s4, s4, s3
	s_addc_u32 s5, s2, s5
	s_add_i32 s2, s13, s19
	v_ashrrev_i32_e32 v5, 31, v4
	s_add_i32 s2, s2, s9
	s_add_u32 s3, s20, s15
	s_addc_u32 s2, s21, s2
	s_ashr_i32 s7, s6, 31
	s_add_u32 s9, s3, s6
	s_addc_u32 s13, s2, s7
	s_lshl_b32 s15, s14, 5
	s_sub_i32 s6, s42, 32
	s_delay_alu instid0(SALU_CYCLE_1)
	s_cmp_ge_i32 s15, s6
	s_cbranch_scc1 .LBB74_17
; %bb.7:
	v_lshl_add_u32 v1, v54, 2, v32
	s_lshl_b32 s2, s17, 3
	s_cmp_lg_u64 s[40:41], 0
	v_dual_mov_b32 v58, 0 :: v_dual_lshlrev_b32 v3, 2, v31
	s_delay_alu instid0(VALU_DEP_2)
	v_mul_lo_u32 v0, s17, v1
	s_cselect_b32 s7, -1, 0
	s_lshl_b32 s3, s8, 1
	v_mov_b32_e32 v55, 0
	v_add_nc_u32_e32 v17, s3, v4
	v_mad_u32_u24 v36, 0x90, v1, v3
	v_lshl_add_u32 v34, v54, 6, 0x1600
	v_lshl_add_u32 v35, v50, 2, v27
	v_add_nc_u32_e32 v2, s2, v0
	v_add_nc_u32_e32 v19, s3, v17
	v_ashrrev_i32_e32 v1, 31, v0
	v_ashrrev_i32_e32 v18, 31, v17
	v_mad_u64_u32 v[6:7], null, v29, s16, v[39:40]
	v_add_nc_u32_e32 v11, s2, v2
	v_add_nc_u32_e32 v21, s3, v19
	v_ashrrev_i32_e32 v3, 31, v2
	v_ashrrev_i32_e32 v20, 31, v19
	v_lshlrev_b64 v[7:8], 2, v[0:1]
	v_add_nc_u32_e32 v13, s2, v11
	v_ashrrev_i32_e32 v12, 31, v11
	v_ashrrev_i32_e32 v22, 31, v21
	v_lshlrev_b64 v[9:10], 2, v[2:3]
	v_lshlrev_b64 v[15:16], 2, v[4:5]
	v_ashrrev_i32_e32 v14, 31, v13
	v_lshlrev_b64 v[11:12], 2, v[11:12]
	v_lshlrev_b64 v[17:18], 2, v[17:18]
	;; [unrolled: 1-line block ×5, first 2 shown]
	v_dual_mov_b32 v56, 0 :: v_dual_add_nc_u32 v33, 0x1200, v27
	v_lshl_add_u32 v37, v39, 1, v34
	v_dual_mov_b32 v57, 0 :: v_dual_add_nc_u32 v38, 0x400, v35
	v_dual_mov_b32 v53, 0 :: v_dual_add_nc_u32 v42, 0x480, v36
	v_add_nc_u32_e32 v43, 0x900, v36
	v_add_nc_u32_e32 v44, 0xd80, v36
	;; [unrolled: 1-line block ×4, first 2 shown]
	v_mov_b32_e32 v49, 0xfeffffff
	v_lshlrev_b32_e32 v47, 2, v31
	v_mbcnt_lo_u32_b32 v48, -1, 0
	s_add_u32 s2, s0, 0xd0
	s_addc_u32 s3, s1, 0
	s_mov_b32 s18, 0xbbbac73d
.LBB74_8:                               ; =>This Inner Loop Header: Depth=1
	s_mul_hi_i32 s21, s15, s17
	s_mul_i32 s20, s15, s17
	v_mov_b32_e32 v41, 0
	s_lshl_b64 s[20:21], s[20:21], 2
	s_delay_alu instid0(SALU_CYCLE_1)
	s_add_u32 s19, s4, s20
	s_addc_u32 s20, s5, s21
	v_add_co_u32 v0, vcc_lo, s19, v7
	v_add_co_ci_u32_e32 v1, vcc_lo, s20, v8, vcc_lo
	v_add_co_u32 v2, vcc_lo, s19, v9
	v_add_co_ci_u32_e32 v3, vcc_lo, s20, v10, vcc_lo
	s_delay_alu instid0(VALU_DEP_4) | instskip(NEXT) | instid1(VALU_DEP_4)
	v_add_co_u32 v0, vcc_lo, v0, v47
	v_add_co_ci_u32_e32 v1, vcc_lo, 0, v1, vcc_lo
	s_delay_alu instid0(VALU_DEP_4) | instskip(NEXT) | instid1(VALU_DEP_4)
	v_add_co_u32 v2, vcc_lo, v2, v47
	v_add_co_ci_u32_e32 v3, vcc_lo, 0, v3, vcc_lo
	v_add_co_u32 v23, vcc_lo, s19, v11
	v_add_co_ci_u32_e32 v24, vcc_lo, s20, v12, vcc_lo
	;; [unrolled: 2-line block ×3, first 2 shown]
	s_delay_alu instid0(VALU_DEP_4) | instskip(NEXT) | instid1(VALU_DEP_4)
	v_add_co_u32 v23, vcc_lo, v23, v47
	v_add_co_ci_u32_e32 v24, vcc_lo, 0, v24, vcc_lo
	s_delay_alu instid0(VALU_DEP_4) | instskip(NEXT) | instid1(VALU_DEP_4)
	v_add_co_u32 v25, vcc_lo, v25, v47
	v_add_co_ci_u32_e32 v26, vcc_lo, 0, v26, vcc_lo
	s_clause 0x3
	global_load_b128 v[59:62], v[0:1], off
	global_load_b128 v[63:66], v[2:3], off
	global_load_b128 v[67:70], v[23:24], off
	global_load_b128 v[71:74], v[25:26], off
	s_waitcnt vmcnt(3)
	ds_store_b128 v36, v[59:62]
	s_waitcnt vmcnt(2)
	ds_store_b128 v42, v[63:66]
	;; [unrolled: 2-line block ×4, first 2 shown]
	s_waitcnt lgkmcnt(0)
	s_barrier
	buffer_gl0_inv
	ds_load_b128 v[59:62], v30
	ds_load_b128 v[63:66], v33
	s_waitcnt lgkmcnt(0)
	;;#ASMSTART
	v_dot2_f32_f16 v41, v59, v63, v41
	;;#ASMEND
	;;#ASMSTART
	v_dot2_f32_f16 v41, v60, v64, v41
	;;#ASMEND
	;;#ASMSTART
	v_dot2_f32_f16 v41, v61, v65, v41
	;;#ASMEND
	;;#ASMSTART
	v_dot2_f32_f16 v41, v62, v66, v41
	;;#ASMEND
	ds_load_b128 v[59:62], v30 offset:16
	ds_load_b128 v[63:66], v33 offset:16
	s_waitcnt lgkmcnt(0)
	;;#ASMSTART
	v_dot2_f32_f16 v41, v59, v63, v41
	;;#ASMEND
	;;#ASMSTART
	v_dot2_f32_f16 v41, v60, v64, v41
	;;#ASMEND
	;;#ASMSTART
	v_dot2_f32_f16 v41, v61, v65, v41
	;;#ASMEND
	;;#ASMSTART
	v_dot2_f32_f16 v41, v62, v66, v41
	;;#ASMEND
	ds_load_b128 v[59:62], v30 offset:32
	ds_load_b128 v[63:66], v33 offset:32
	;; [unrolled: 15-line block ×7, first 2 shown]
	s_waitcnt lgkmcnt(0)
	;;#ASMSTART
	v_dot2_f32_f16 v41, v59, v63, v41
	;;#ASMEND
	;;#ASMSTART
	v_dot2_f32_f16 v41, v60, v64, v41
	;;#ASMEND
	;; [unrolled: 3-line block ×4, first 2 shown]
	s_barrier
	buffer_gl0_inv
	s_clause 0x3
	global_load_b128 v[59:62], v[0:1], off offset:128
	global_load_b128 v[63:66], v[2:3], off offset:128
	;; [unrolled: 1-line block ×4, first 2 shown]
	s_waitcnt vmcnt(3)
	ds_store_b128 v36, v[59:62]
	s_waitcnt vmcnt(2)
	ds_store_b128 v42, v[63:66]
	;; [unrolled: 2-line block ×4, first 2 shown]
	s_waitcnt lgkmcnt(0)
	s_barrier
	buffer_gl0_inv
	ds_load_b128 v[59:62], v30
	ds_load_b128 v[63:66], v33 offset:128
	s_waitcnt lgkmcnt(0)
	;;#ASMSTART
	v_dot2_f32_f16 v41, v59, v63, v41
	;;#ASMEND
	;;#ASMSTART
	v_dot2_f32_f16 v41, v60, v64, v41
	;;#ASMEND
	;;#ASMSTART
	v_dot2_f32_f16 v41, v61, v65, v41
	;;#ASMEND
	;;#ASMSTART
	v_dot2_f32_f16 v41, v62, v66, v41
	;;#ASMEND
	ds_load_b128 v[59:62], v30 offset:16
	ds_load_b128 v[63:66], v33 offset:144
	s_waitcnt lgkmcnt(0)
	;;#ASMSTART
	v_dot2_f32_f16 v41, v59, v63, v41
	;;#ASMEND
	;;#ASMSTART
	v_dot2_f32_f16 v41, v60, v64, v41
	;;#ASMEND
	;;#ASMSTART
	v_dot2_f32_f16 v41, v61, v65, v41
	;;#ASMEND
	;;#ASMSTART
	v_dot2_f32_f16 v41, v62, v66, v41
	;;#ASMEND
	ds_load_b128 v[59:62], v30 offset:32
	;; [unrolled: 15-line block ×7, first 2 shown]
	ds_load_b128 v[63:66], v33 offset:240
	s_waitcnt lgkmcnt(0)
	;;#ASMSTART
	v_dot2_f32_f16 v41, v59, v63, v41
	;;#ASMEND
	;;#ASMSTART
	v_dot2_f32_f16 v41, v60, v64, v41
	;;#ASMEND
	;; [unrolled: 3-line block ×4, first 2 shown]
	s_barrier
	buffer_gl0_inv
	s_clause 0x3
	global_load_b128 v[59:62], v[0:1], off offset:256
	global_load_b128 v[63:66], v[2:3], off offset:256
	global_load_b128 v[67:70], v[23:24], off offset:256
	global_load_b128 v[71:74], v[25:26], off offset:256
	s_waitcnt vmcnt(3)
	ds_store_b128 v36, v[59:62]
	s_waitcnt vmcnt(2)
	ds_store_b128 v42, v[63:66]
	;; [unrolled: 2-line block ×4, first 2 shown]
	s_waitcnt lgkmcnt(0)
	s_barrier
	buffer_gl0_inv
	ds_load_b128 v[59:62], v30
	ds_load_b128 v[63:66], v33 offset:256
	s_waitcnt lgkmcnt(0)
	;;#ASMSTART
	v_dot2_f32_f16 v41, v59, v63, v41
	;;#ASMEND
	;;#ASMSTART
	v_dot2_f32_f16 v41, v60, v64, v41
	;;#ASMEND
	;;#ASMSTART
	v_dot2_f32_f16 v41, v61, v65, v41
	;;#ASMEND
	;;#ASMSTART
	v_dot2_f32_f16 v41, v62, v66, v41
	;;#ASMEND
	ds_load_b128 v[59:62], v30 offset:16
	ds_load_b128 v[63:66], v33 offset:272
	s_waitcnt lgkmcnt(0)
	;;#ASMSTART
	v_dot2_f32_f16 v41, v59, v63, v41
	;;#ASMEND
	;;#ASMSTART
	v_dot2_f32_f16 v41, v60, v64, v41
	;;#ASMEND
	;;#ASMSTART
	v_dot2_f32_f16 v41, v61, v65, v41
	;;#ASMEND
	;;#ASMSTART
	v_dot2_f32_f16 v41, v62, v66, v41
	;;#ASMEND
	ds_load_b128 v[59:62], v30 offset:32
	;; [unrolled: 15-line block ×7, first 2 shown]
	ds_load_b128 v[63:66], v33 offset:368
	s_waitcnt lgkmcnt(0)
	;;#ASMSTART
	v_dot2_f32_f16 v41, v59, v63, v41
	;;#ASMEND
	;;#ASMSTART
	v_dot2_f32_f16 v41, v60, v64, v41
	;;#ASMEND
	;; [unrolled: 3-line block ×4, first 2 shown]
	s_barrier
	buffer_gl0_inv
	s_clause 0x3
	global_load_b128 v[59:62], v[0:1], off offset:384
	global_load_b128 v[0:3], v[2:3], off offset:384
	;; [unrolled: 1-line block ×4, first 2 shown]
	s_waitcnt vmcnt(3)
	ds_store_b128 v36, v[59:62]
	s_waitcnt vmcnt(2)
	ds_store_b128 v42, v[0:3]
	;; [unrolled: 2-line block ×4, first 2 shown]
	s_waitcnt lgkmcnt(0)
	s_barrier
	buffer_gl0_inv
	ds_load_b128 v[0:3], v30
	ds_load_b128 v[23:26], v33 offset:384
	s_waitcnt lgkmcnt(0)
	;;#ASMSTART
	v_dot2_f32_f16 v41, v0, v23, v41
	;;#ASMEND
	;;#ASMSTART
	v_dot2_f32_f16 v41, v1, v24, v41
	;;#ASMEND
	;;#ASMSTART
	v_dot2_f32_f16 v41, v2, v25, v41
	;;#ASMEND
	;;#ASMSTART
	v_dot2_f32_f16 v41, v3, v26, v41
	;;#ASMEND
	ds_load_b128 v[0:3], v30 offset:16
	ds_load_b128 v[23:26], v33 offset:400
	s_waitcnt lgkmcnt(0)
	;;#ASMSTART
	v_dot2_f32_f16 v41, v0, v23, v41
	;;#ASMEND
	;;#ASMSTART
	v_dot2_f32_f16 v41, v1, v24, v41
	;;#ASMEND
	;;#ASMSTART
	v_dot2_f32_f16 v41, v2, v25, v41
	;;#ASMEND
	;;#ASMSTART
	v_dot2_f32_f16 v41, v3, v26, v41
	;;#ASMEND
	ds_load_b128 v[0:3], v30 offset:32
	ds_load_b128 v[23:26], v33 offset:416
	s_waitcnt lgkmcnt(0)
	;;#ASMSTART
	v_dot2_f32_f16 v41, v0, v23, v41
	;;#ASMEND
	;;#ASMSTART
	v_dot2_f32_f16 v41, v1, v24, v41
	;;#ASMEND
	;;#ASMSTART
	v_dot2_f32_f16 v41, v2, v25, v41
	;;#ASMEND
	;;#ASMSTART
	v_dot2_f32_f16 v41, v3, v26, v41
	;;#ASMEND
	ds_load_b128 v[0:3], v30 offset:48
	ds_load_b128 v[23:26], v33 offset:432
	s_waitcnt lgkmcnt(0)
	;;#ASMSTART
	v_dot2_f32_f16 v41, v0, v23, v41
	;;#ASMEND
	;;#ASMSTART
	v_dot2_f32_f16 v41, v1, v24, v41
	;;#ASMEND
	;;#ASMSTART
	v_dot2_f32_f16 v41, v2, v25, v41
	;;#ASMEND
	;;#ASMSTART
	v_dot2_f32_f16 v41, v3, v26, v41
	;;#ASMEND
	ds_load_b128 v[0:3], v30 offset:64
	ds_load_b128 v[23:26], v33 offset:448
	s_waitcnt lgkmcnt(0)
	;;#ASMSTART
	v_dot2_f32_f16 v41, v0, v23, v41
	;;#ASMEND
	;;#ASMSTART
	v_dot2_f32_f16 v41, v1, v24, v41
	;;#ASMEND
	;;#ASMSTART
	v_dot2_f32_f16 v41, v2, v25, v41
	;;#ASMEND
	;;#ASMSTART
	v_dot2_f32_f16 v41, v3, v26, v41
	;;#ASMEND
	ds_load_b128 v[0:3], v30 offset:80
	ds_load_b128 v[23:26], v33 offset:464
	s_waitcnt lgkmcnt(0)
	;;#ASMSTART
	v_dot2_f32_f16 v41, v0, v23, v41
	;;#ASMEND
	;;#ASMSTART
	v_dot2_f32_f16 v41, v1, v24, v41
	;;#ASMEND
	;;#ASMSTART
	v_dot2_f32_f16 v41, v2, v25, v41
	;;#ASMEND
	;;#ASMSTART
	v_dot2_f32_f16 v41, v3, v26, v41
	;;#ASMEND
	ds_load_b128 v[0:3], v30 offset:96
	ds_load_b128 v[23:26], v33 offset:480
	s_waitcnt lgkmcnt(0)
	;;#ASMSTART
	v_dot2_f32_f16 v41, v0, v23, v41
	;;#ASMEND
	;;#ASMSTART
	v_dot2_f32_f16 v41, v1, v24, v41
	;;#ASMEND
	;;#ASMSTART
	v_dot2_f32_f16 v41, v2, v25, v41
	;;#ASMEND
	;;#ASMSTART
	v_dot2_f32_f16 v41, v3, v26, v41
	;;#ASMEND
	ds_load_b128 v[0:3], v30 offset:112
	ds_load_b128 v[23:26], v33 offset:496
	s_waitcnt lgkmcnt(0)
	;;#ASMSTART
	v_dot2_f32_f16 v41, v0, v23, v41
	;;#ASMEND
	;;#ASMSTART
	v_dot2_f32_f16 v41, v1, v24, v41
	;;#ASMEND
	;; [unrolled: 3-line block ×4, first 2 shown]
	v_cmp_ngt_f32_e64 s19, 0x3f200000, |v41|
                                        ; implicit-def: $vgpr0
	s_delay_alu instid0(VALU_DEP_1) | instskip(NEXT) | instid1(SALU_CYCLE_1)
	s_and_saveexec_b32 s20, s19
	s_xor_b32 s19, exec_lo, s20
	s_cbranch_execnz .LBB74_12
; %bb.9:                                ;   in Loop: Header=BB74_8 Depth=1
	s_and_not1_saveexec_b32 s19, s19
	s_cbranch_execnz .LBB74_13
.LBB74_10:                              ;   in Loop: Header=BB74_8 Depth=1
	s_or_b32 exec_lo, exec_lo, s19
	s_delay_alu instid0(SALU_CYCLE_1)
	s_and_not1_b32 vcc_lo, exec_lo, s7
	s_cbranch_vccnz .LBB74_14
.LBB74_11:                              ;   in Loop: Header=BB74_8 Depth=1
	v_add_nc_u32_e32 v1, s15, v6
	s_delay_alu instid0(VALU_DEP_1) | instskip(NEXT) | instid1(VALU_DEP_1)
	v_ashrrev_i32_e32 v2, 31, v1
	v_lshlrev_b64 v[1:2], 1, v[1:2]
	s_delay_alu instid0(VALU_DEP_1) | instskip(NEXT) | instid1(VALU_DEP_2)
	v_add_co_u32 v1, vcc_lo, s40, v1
	v_add_co_ci_u32_e32 v2, vcc_lo, s41, v2, vcc_lo
	flat_load_u16 v1, v[1:2]
	s_waitcnt vmcnt(0) lgkmcnt(0)
	v_cvt_f32_f16_e32 v1, v1
	s_delay_alu instid0(VALU_DEP_1)
	v_mul_f32_e32 v1, v28, v1
	s_branch .LBB74_15
.LBB74_12:                              ;   in Loop: Header=BB74_8 Depth=1
	v_add_f32_e64 v0, |v41|, |v41|
	s_delay_alu instid0(VALU_DEP_1) | instskip(SKIP_1) | instid1(VALU_DEP_2)
	v_mul_f32_e32 v1, 0x3fb8aa3b, v0
	v_cmp_ngt_f32_e32 vcc_lo, 0xc2ce8ed0, v0
	v_rndne_f32_e32 v2, v1
	v_fma_f32 v3, 0x3fb8aa3b, v0, -v1
	s_delay_alu instid0(VALU_DEP_2) | instskip(NEXT) | instid1(VALU_DEP_2)
	v_sub_f32_e32 v1, v1, v2
	v_fmac_f32_e32 v3, 0x32a5705f, v0
	v_cvt_i32_f32_e32 v2, v2
	s_delay_alu instid0(VALU_DEP_2) | instskip(NEXT) | instid1(VALU_DEP_1)
	v_add_f32_e32 v1, v1, v3
	v_exp_f32_e32 v1, v1
	s_waitcnt_depctr 0xfff
	v_ldexp_f32 v1, v1, v2
	s_delay_alu instid0(VALU_DEP_1) | instskip(SKIP_1) | instid1(VALU_DEP_2)
	v_cndmask_b32_e32 v1, 0, v1, vcc_lo
	v_cmp_nlt_f32_e32 vcc_lo, 0x42b17218, v0
	v_cndmask_b32_e32 v0, 0x7f800000, v1, vcc_lo
	s_delay_alu instid0(VALU_DEP_1) | instskip(NEXT) | instid1(VALU_DEP_1)
	v_add_f32_e32 v0, 1.0, v0
	v_rcp_f32_e32 v0, v0
	s_waitcnt_depctr 0xfff
	v_fma_f32 v0, v0, -2.0, 1.0
	s_and_not1_saveexec_b32 s19, s19
	s_cbranch_execz .LBB74_10
.LBB74_13:                              ;   in Loop: Header=BB74_8 Depth=1
	v_mul_f32_e32 v0, v41, v41
	s_delay_alu instid0(VALU_DEP_1) | instskip(NEXT) | instid1(VALU_DEP_1)
	v_fmaak_f32 v1, s18, v0, 0x3ca908c9
	v_fmaak_f32 v1, v0, v1, 0xbd5c1c4e
	s_delay_alu instid0(VALU_DEP_1) | instskip(NEXT) | instid1(VALU_DEP_1)
	v_fmaak_f32 v1, v0, v1, 0x3e088382
	v_fmaak_f32 v1, v0, v1, 0xbeaaaa99
	s_delay_alu instid0(VALU_DEP_1) | instskip(NEXT) | instid1(VALU_DEP_1)
	v_mul_f32_e64 v1, |v41|, v1
	v_fma_f32 v0, v0, v1, |v41|
	s_or_b32 exec_lo, exec_lo, s19
	s_delay_alu instid0(SALU_CYCLE_1)
	s_and_not1_b32 vcc_lo, exec_lo, s7
	s_cbranch_vccz .LBB74_11
.LBB74_14:                              ;   in Loop: Header=BB74_8 Depth=1
	v_mov_b32_e32 v1, 0
.LBB74_15:                              ;   in Loop: Header=BB74_8 Depth=1
	s_mul_hi_i32 s21, s15, s8
	s_mul_i32 s20, s15, s8
	v_lshlrev_b32_e32 v25, 2, v50
	s_lshl_b64 s[20:21], s[20:21], 2
	v_bfi_b32 v0, 0x7fffffff, v0, v41
	s_add_u32 s19, s9, s20
	s_addc_u32 s20, s13, s21
	v_add_co_u32 v2, vcc_lo, s19, v15
	v_add_co_ci_u32_e32 v3, vcc_lo, s20, v16, vcc_lo
	v_add_co_u32 v23, vcc_lo, s19, v17
	v_add_co_ci_u32_e32 v24, vcc_lo, s20, v18, vcc_lo
	v_dual_fmac_f32 v1, s23, v0 :: v_dual_max_f32 v0, v49, v49
	v_add_co_u32 v2, vcc_lo, v2, v25
	v_add_co_ci_u32_e32 v3, vcc_lo, 0, v3, vcc_lo
	v_add_co_u32 v23, vcc_lo, v23, v25
	v_add_co_ci_u32_e32 v24, vcc_lo, 0, v24, vcc_lo
	;; [unrolled: 2-line block ×4, first 2 shown]
	s_delay_alu instid0(VALU_DEP_4) | instskip(NEXT) | instid1(VALU_DEP_4)
	v_add_co_u32 v67, vcc_lo, v26, v25
	v_add_co_ci_u32_e32 v68, vcc_lo, 0, v59, vcc_lo
	s_delay_alu instid0(VALU_DEP_4) | instskip(NEXT) | instid1(VALU_DEP_4)
	v_add_co_u32 v71, vcc_lo, v60, v25
	v_add_co_ci_u32_e32 v72, vcc_lo, 0, v61, vcc_lo
	s_barrier
	buffer_gl0_inv
	s_clause 0x3
	global_load_b128 v[59:62], v[2:3], off
	global_load_b128 v[63:66], v[23:24], off
	;; [unrolled: 1-line block ×4, first 2 shown]
	v_xor_b32_e32 v2, 16, v48
	v_add_nc_u32_e32 v23, 0x800, v52
	s_or_b32 s19, s15, 8
	s_delay_alu instid0(SALU_CYCLE_1) | instskip(NEXT) | instid1(VALU_DEP_2)
	s_mul_hi_i32 s21, s19, s8
	v_cmp_gt_i32_e32 vcc_lo, 32, v2
	s_mul_i32 s20, s19, s8
	s_delay_alu instid0(SALU_CYCLE_1) | instskip(SKIP_3) | instid1(VALU_DEP_1)
	s_lshl_b64 s[20:21], s[20:21], 2
	v_dual_cndmask_b32 v2, v48, v2 :: v_dual_add_f32 v3, 0x40051340, v1
	s_add_u32 s19, s9, s20
	s_addc_u32 s20, s13, s21
	v_lshlrev_b32_e32 v2, 2, v2
	s_delay_alu instid0(VALU_DEP_2)
	v_max_f32_e32 v0, v0, v3
	v_xor_b32_e32 v3, 8, v48
	ds_bpermute_b32 v2, v2, v0
	v_cmp_gt_i32_e32 vcc_lo, 32, v3
	s_waitcnt lgkmcnt(0)
	v_dual_cndmask_b32 v3, v48, v3 :: v_dual_max_f32 v2, v2, v2
	s_delay_alu instid0(VALU_DEP_1) | instskip(SKIP_2) | instid1(VALU_DEP_1)
	v_dual_max_f32 v0, v0, v2 :: v_dual_lshlrev_b32 v3, 2, v3
	ds_bpermute_b32 v2, v3, v0
	v_xor_b32_e32 v3, 4, v48
	v_cmp_gt_i32_e32 vcc_lo, 32, v3
	s_waitcnt lgkmcnt(0)
	v_dual_cndmask_b32 v3, v48, v3 :: v_dual_max_f32 v2, v2, v2
	s_delay_alu instid0(VALU_DEP_1) | instskip(SKIP_2) | instid1(VALU_DEP_1)
	v_dual_max_f32 v0, v0, v2 :: v_dual_lshlrev_b32 v3, 2, v3
	ds_bpermute_b32 v2, v3, v0
	v_xor_b32_e32 v3, 2, v48
	;; [unrolled: 7-line block ×3, first 2 shown]
	v_cmp_gt_i32_e32 vcc_lo, 32, v3
	v_cndmask_b32_e32 v3, v48, v3, vcc_lo
	v_add_co_u32 v24, vcc_lo, s19, v15
	v_add_co_ci_u32_e32 v26, vcc_lo, s20, v16, vcc_lo
	s_waitcnt lgkmcnt(0)
	s_delay_alu instid0(VALU_DEP_3) | instskip(NEXT) | instid1(VALU_DEP_1)
	v_dual_max_f32 v2, v2, v2 :: v_dual_lshlrev_b32 v3, 2, v3
	v_max_f32_e32 v0, v0, v2
	ds_bpermute_b32 v2, v3, v0
	s_waitcnt lgkmcnt(0)
	v_max_f32_e32 v2, v2, v2
	s_delay_alu instid0(VALU_DEP_1) | instskip(NEXT) | instid1(VALU_DEP_1)
	v_max_f32_e32 v41, v0, v2
	v_sub_f32_e32 v0, v1, v41
	s_delay_alu instid0(VALU_DEP_1) | instskip(NEXT) | instid1(VALU_DEP_1)
	v_mul_f32_e32 v1, 0x3fb8aa3b, v0
	v_fma_f32 v2, 0x3fb8aa3b, v0, -v1
	v_rndne_f32_e32 v3, v1
	s_delay_alu instid0(VALU_DEP_1) | instskip(SKIP_1) | instid1(VALU_DEP_2)
	v_dual_fmac_f32 v2, 0x32a5705f, v0 :: v_dual_sub_f32 v1, v1, v3
	v_cvt_i32_f32_e32 v3, v3
	v_add_f32_e32 v1, v1, v2
	v_add_co_u32 v2, vcc_lo, s19, v17
	v_add_co_ci_u32_e32 v75, vcc_lo, s20, v18, vcc_lo
	s_delay_alu instid0(VALU_DEP_3)
	v_exp_f32_e32 v1, v1
	v_add_co_u32 v76, vcc_lo, s19, v19
	v_add_co_ci_u32_e32 v77, vcc_lo, s20, v20, vcc_lo
	v_add_co_u32 v78, vcc_lo, s19, v21
	v_add_co_ci_u32_e32 v79, vcc_lo, s20, v22, vcc_lo
	v_add_co_u32 v91, vcc_lo, v24, v25
	v_add_co_ci_u32_e32 v92, vcc_lo, 0, v26, vcc_lo
	s_delay_alu instid0(TRANS32_DEP_1) | instskip(SKIP_2) | instid1(SALU_CYCLE_1)
	v_ldexp_f32 v1, v1, v3
	v_cmp_ngt_f32_e32 vcc_lo, 0xc2ce8ed0, v0
	s_or_b32 s19, s15, 16
	s_mul_hi_i32 s21, s19, s8
	s_mul_i32 s20, s19, s8
	v_cndmask_b32_e32 v1, 0, v1, vcc_lo
	v_add_co_u32 v95, vcc_lo, v2, v25
	v_add_co_ci_u32_e32 v96, vcc_lo, 0, v75, vcc_lo
	v_cmp_nlt_f32_e32 vcc_lo, 0x42b17218, v0
	s_lshl_b64 s[20:21], s[20:21], 2
	s_delay_alu instid0(SALU_CYCLE_1) | instskip(SKIP_4) | instid1(VALU_DEP_3)
	s_add_u32 s19, s9, s20
	s_addc_u32 s20, s13, s21
	v_cndmask_b32_e32 v24, 0x7f800000, v1, vcc_lo
	v_add_co_u32 v99, vcc_lo, v76, v25
	v_add_co_ci_u32_e32 v100, vcc_lo, 0, v77, vcc_lo
	v_cvt_f16_f32_e32 v0, v24
	v_add_co_u32 v103, vcc_lo, v78, v25
	v_add_co_ci_u32_e32 v104, vcc_lo, 0, v79, vcc_lo
	v_add_co_u32 v26, vcc_lo, s19, v15
	v_add_co_ci_u32_e32 v107, vcc_lo, s20, v16, vcc_lo
	;; [unrolled: 2-line block ×9, first 2 shown]
	s_or_b32 s19, s15, 24
	ds_store_b16 v37, v0
	s_waitcnt vmcnt(3)
	ds_store_b128 v35, v[59:62]
	s_waitcnt vmcnt(2)
	ds_store_b128 v38, v[63:66]
	;; [unrolled: 2-line block ×4, first 2 shown]
	s_waitcnt lgkmcnt(0)
	s_barrier
	buffer_gl0_inv
	ds_load_2addr_b64 v[59:62], v52 offset1:32
	ds_load_b128 v[0:3], v34
	ds_load_2addr_b64 v[63:66], v52 offset0:64 offset1:96
	ds_load_2addr_b64 v[67:70], v52 offset0:128 offset1:160
	;; [unrolled: 1-line block ×3, first 2 shown]
	ds_load_2addr_b64 v[75:78], v23 offset1:32
	ds_load_2addr_b64 v[79:82], v23 offset0:64 offset1:96
	ds_load_2addr_b64 v[83:86], v23 offset0:128 offset1:160
	;; [unrolled: 1-line block ×3, first 2 shown]
	s_waitcnt lgkmcnt(0)
	s_barrier
	buffer_gl0_inv
	s_clause 0x3
	global_load_b128 v[91:94], v[91:92], off
	global_load_b128 v[95:98], v[95:96], off
	;; [unrolled: 1-line block ×4, first 2 shown]
	s_mul_hi_i32 s21, s19, s8
	s_mul_i32 s20, s19, s8
	s_waitcnt vmcnt(3)
	ds_store_b128 v35, v[91:94]
	s_waitcnt vmcnt(2)
	ds_store_b128 v38, v[95:98]
	;; [unrolled: 2-line block ×4, first 2 shown]
	s_waitcnt lgkmcnt(0)
	s_barrier
	buffer_gl0_inv
	ds_load_2addr_b64 v[91:94], v52 offset1:32
	ds_load_b128 v[95:98], v34 offset:16
	ds_load_2addr_b64 v[99:102], v52 offset0:64 offset1:96
	ds_load_2addr_b64 v[103:106], v52 offset0:128 offset1:160
	;; [unrolled: 1-line block ×3, first 2 shown]
	ds_load_2addr_b64 v[111:114], v23 offset1:32
	ds_load_2addr_b64 v[115:118], v23 offset0:64 offset1:96
	ds_load_2addr_b64 v[119:122], v23 offset0:128 offset1:160
	;; [unrolled: 1-line block ×3, first 2 shown]
	s_waitcnt lgkmcnt(0)
	s_barrier
	buffer_gl0_inv
	s_clause 0x3
	global_load_b128 v[127:130], v[127:128], off
	global_load_b128 v[131:134], v[131:132], off
	;; [unrolled: 1-line block ×4, first 2 shown]
	s_lshl_b64 s[20:21], s[20:21], 2
	s_waitcnt vmcnt(3)
	ds_store_b128 v35, v[127:130]
	s_waitcnt vmcnt(2)
	ds_store_b128 v38, v[131:134]
	;; [unrolled: 2-line block ×4, first 2 shown]
	s_add_u32 s19, s9, s20
	s_addc_u32 s20, s13, s21
	v_add_co_u32 v26, vcc_lo, s19, v15
	v_add_co_ci_u32_e32 v143, vcc_lo, s20, v16, vcc_lo
	v_add_co_u32 v144, vcc_lo, s19, v17
	v_add_co_ci_u32_e32 v145, vcc_lo, s20, v18, vcc_lo
	;; [unrolled: 2-line block ×8, first 2 shown]
	s_waitcnt lgkmcnt(0)
	s_barrier
	buffer_gl0_inv
	ds_load_2addr_b64 v[127:130], v52 offset1:32
	ds_load_b128 v[131:134], v34 offset:32
	ds_load_2addr_b64 v[135:138], v52 offset0:64 offset1:96
	ds_load_2addr_b64 v[139:142], v52 offset0:128 offset1:160
	;; [unrolled: 1-line block ×3, first 2 shown]
	ds_load_2addr_b64 v[147:150], v23 offset1:32
	ds_load_2addr_b64 v[151:154], v23 offset0:64 offset1:96
	ds_load_2addr_b64 v[155:158], v23 offset0:128 offset1:160
	;; [unrolled: 1-line block ×3, first 2 shown]
	s_waitcnt lgkmcnt(0)
	s_barrier
	buffer_gl0_inv
	s_clause 0x3
	global_load_b128 v[163:166], v[163:164], off
	global_load_b128 v[167:170], v[167:168], off
	;; [unrolled: 1-line block ×4, first 2 shown]
	v_sub_f32_e32 v25, v49, v41
	s_waitcnt vmcnt(3)
	ds_store_b128 v35, v[163:166]
	s_waitcnt vmcnt(2)
	ds_store_b128 v38, v[167:170]
	s_waitcnt vmcnt(1)
	ds_store_b128 v45, v[171:174]
	s_waitcnt vmcnt(0)
	ds_store_b128 v46, v[175:178]
	v_mul_f32_e32 v26, 0x3fb8aa3b, v25
	v_cmp_ngt_f32_e32 vcc_lo, 0xc2ce8ed0, v25
	s_waitcnt lgkmcnt(0)
	s_barrier
	buffer_gl0_inv
	v_fma_f32 v49, 0x3fb8aa3b, v25, -v26
	v_rndne_f32_e32 v179, v26
	s_delay_alu instid0(VALU_DEP_1) | instskip(NEXT) | instid1(VALU_DEP_1)
	v_dual_fmac_f32 v49, 0x32a5705f, v25 :: v_dual_sub_f32 v26, v26, v179
	v_add_f32_e32 v26, v26, v49
	v_cvt_i32_f32_e32 v49, v179
	s_delay_alu instid0(VALU_DEP_2) | instskip(SKIP_4) | instid1(VALU_DEP_3)
	v_exp_f32_e32 v26, v26
	s_waitcnt_depctr 0xfff
	v_ldexp_f32 v26, v26, v49
	v_pk_mul_f16 v49, v59, v0 op_sel_hi:[1,0]
	v_pk_mul_f16 v59, v60, v0 op_sel_hi:[1,0]
	v_cndmask_b32_e32 v26, 0, v26, vcc_lo
	v_cmp_nlt_f32_e32 vcc_lo, 0x42b17218, v25
	s_delay_alu instid0(VALU_DEP_2) | instskip(NEXT) | instid1(VALU_DEP_1)
	v_cndmask_b32_e32 v25, 0x7f800000, v26, vcc_lo
	v_cvt_f16_f32_e32 v26, v25
	v_fma_f32 v53, v53, v25, v24
	s_delay_alu instid0(VALU_DEP_2) | instskip(SKIP_3) | instid1(VALU_DEP_4)
	v_pk_mul_f16 v57, v26, v57 op_sel_hi:[0,1]
	v_pk_mul_f16 v55, v26, v55 op_sel_hi:[0,1]
	v_pk_fma_f16 v49, v56, v26, v49 op_sel_hi:[1,0,1]
	v_pk_fma_f16 v26, v58, v26, v59 op_sel_hi:[1,0,1]
	;; [unrolled: 1-line block ×3, first 2 shown]
	s_delay_alu instid0(VALU_DEP_4) | instskip(NEXT) | instid1(VALU_DEP_4)
	v_pk_fma_f16 v55, v62, v0, v55 op_sel_hi:[1,0,1]
	v_pk_fma_f16 v49, v63, v0, v49 op_sel:[0,1,0]
	s_delay_alu instid0(VALU_DEP_4) | instskip(NEXT) | instid1(VALU_DEP_4)
	v_pk_fma_f16 v26, v64, v0, v26 op_sel:[0,1,0]
	v_pk_fma_f16 v56, v65, v0, v56 op_sel:[0,1,0]
	s_delay_alu instid0(VALU_DEP_4) | instskip(NEXT) | instid1(VALU_DEP_4)
	v_pk_fma_f16 v0, v66, v0, v55 op_sel:[0,1,0]
	v_pk_fma_f16 v49, v67, v1, v49 op_sel_hi:[1,0,1]
	s_delay_alu instid0(VALU_DEP_4) | instskip(NEXT) | instid1(VALU_DEP_4)
	v_pk_fma_f16 v26, v68, v1, v26 op_sel_hi:[1,0,1]
	v_pk_fma_f16 v55, v69, v1, v56 op_sel_hi:[1,0,1]
	s_delay_alu instid0(VALU_DEP_4) | instskip(NEXT) | instid1(VALU_DEP_4)
	v_pk_fma_f16 v0, v70, v1, v0 op_sel_hi:[1,0,1]
	v_pk_fma_f16 v49, v71, v1, v49 op_sel:[0,1,0]
	s_delay_alu instid0(VALU_DEP_4) | instskip(NEXT) | instid1(VALU_DEP_4)
	v_pk_fma_f16 v26, v72, v1, v26 op_sel:[0,1,0]
	v_pk_fma_f16 v55, v73, v1, v55 op_sel:[0,1,0]
	s_delay_alu instid0(VALU_DEP_4) | instskip(NEXT) | instid1(VALU_DEP_4)
	v_pk_fma_f16 v0, v74, v1, v0 op_sel:[0,1,0]
	v_pk_fma_f16 v1, v75, v2, v49 op_sel_hi:[1,0,1]
	s_delay_alu instid0(VALU_DEP_4) | instskip(NEXT) | instid1(VALU_DEP_4)
	v_pk_fma_f16 v26, v76, v2, v26 op_sel_hi:[1,0,1]
	v_pk_fma_f16 v49, v77, v2, v55 op_sel_hi:[1,0,1]
	;; [unrolled: 12-line block ×10, first 2 shown]
	s_delay_alu instid0(VALU_DEP_4) | instskip(NEXT) | instid1(VALU_DEP_4)
	v_pk_fma_f16 v55, v150, v133, v0 op_sel_hi:[1,0,1]
	v_pk_fma_f16 v60, v151, v133, v1 op_sel:[0,1,0]
	ds_load_2addr_b64 v[0:3], v52 offset1:32
	ds_load_b128 v[56:59], v34 offset:48
	v_pk_fma_f16 v26, v152, v133, v26 op_sel:[0,1,0]
	v_pk_fma_f16 v49, v153, v133, v49 op_sel:[0,1,0]
	;; [unrolled: 1-line block ×3, first 2 shown]
	v_pk_fma_f16 v64, v155, v134, v60 op_sel_hi:[1,0,1]
	ds_load_2addr_b64 v[60:63], v52 offset0:64 offset1:96
	v_pk_fma_f16 v26, v156, v134, v26 op_sel_hi:[1,0,1]
	v_pk_fma_f16 v49, v157, v134, v49 op_sel_hi:[1,0,1]
	;; [unrolled: 1-line block ×3, first 2 shown]
	v_pk_fma_f16 v88, v159, v134, v64 op_sel:[0,1,0]
	ds_load_2addr_b64 v[64:67], v52 offset0:128 offset1:160
	v_pk_fma_f16 v26, v160, v134, v26 op_sel:[0,1,0]
	v_pk_fma_f16 v49, v161, v134, v49 op_sel:[0,1,0]
	;; [unrolled: 1-line block ×3, first 2 shown]
	ds_load_2addr_b64 v[68:71], v52 offset0:192 offset1:224
	ds_load_2addr_b64 v[72:75], v23 offset1:32
	ds_load_2addr_b64 v[76:79], v23 offset0:64 offset1:96
	ds_load_2addr_b64 v[80:83], v23 offset0:128 offset1:160
	;; [unrolled: 1-line block ×3, first 2 shown]
	s_waitcnt lgkmcnt(0)
	s_barrier
	buffer_gl0_inv
	s_load_b32 s19, s[2:3], 0x4
	v_pk_fma_f16 v0, v0, v56, v88 op_sel_hi:[1,0,1]
	v_pk_fma_f16 v1, v1, v56, v26 op_sel_hi:[1,0,1]
	;; [unrolled: 1-line block ×4, first 2 shown]
	s_delay_alu instid0(VALU_DEP_4) | instskip(NEXT) | instid1(VALU_DEP_4)
	v_pk_fma_f16 v0, v60, v56, v0 op_sel:[0,1,0]
	v_pk_fma_f16 v1, v61, v56, v1 op_sel:[0,1,0]
	s_delay_alu instid0(VALU_DEP_4) | instskip(NEXT) | instid1(VALU_DEP_4)
	v_pk_fma_f16 v2, v62, v56, v2 op_sel:[0,1,0]
	v_pk_fma_f16 v3, v63, v56, v3 op_sel:[0,1,0]
	s_delay_alu instid0(VALU_DEP_4) | instskip(NEXT) | instid1(VALU_DEP_4)
	v_pk_fma_f16 v0, v64, v57, v0 op_sel_hi:[1,0,1]
	v_pk_fma_f16 v1, v65, v57, v1 op_sel_hi:[1,0,1]
	s_delay_alu instid0(VALU_DEP_4) | instskip(NEXT) | instid1(VALU_DEP_4)
	v_pk_fma_f16 v2, v66, v57, v2 op_sel_hi:[1,0,1]
	v_pk_fma_f16 v3, v67, v57, v3 op_sel_hi:[1,0,1]
	s_delay_alu instid0(VALU_DEP_4) | instskip(NEXT) | instid1(VALU_DEP_4)
	v_pk_fma_f16 v0, v68, v57, v0 op_sel:[0,1,0]
	v_pk_fma_f16 v1, v69, v57, v1 op_sel:[0,1,0]
	s_delay_alu instid0(VALU_DEP_4) | instskip(NEXT) | instid1(VALU_DEP_4)
	v_pk_fma_f16 v2, v70, v57, v2 op_sel:[0,1,0]
	v_pk_fma_f16 v3, v71, v57, v3 op_sel:[0,1,0]
	s_waitcnt lgkmcnt(0)
	s_lshl_b32 s19, s19, 5
	v_pk_fma_f16 v0, v72, v58, v0 op_sel_hi:[1,0,1]
	v_pk_fma_f16 v1, v73, v58, v1 op_sel_hi:[1,0,1]
	;; [unrolled: 1-line block ×4, first 2 shown]
	s_add_i32 s15, s19, s15
	v_pk_fma_f16 v0, v76, v58, v0 op_sel:[0,1,0]
	v_pk_fma_f16 v1, v77, v58, v1 op_sel:[0,1,0]
	;; [unrolled: 1-line block ×4, first 2 shown]
	s_cmp_lt_i32 s15, s6
	v_pk_fma_f16 v0, v80, v59, v0 op_sel_hi:[1,0,1]
	v_pk_fma_f16 v1, v81, v59, v1 op_sel_hi:[1,0,1]
	;; [unrolled: 1-line block ×4, first 2 shown]
	s_delay_alu instid0(VALU_DEP_4) | instskip(NEXT) | instid1(VALU_DEP_4)
	v_pk_fma_f16 v56, v84, v59, v0 op_sel:[0,1,0]
	v_pk_fma_f16 v58, v85, v59, v1 op_sel:[0,1,0]
	s_delay_alu instid0(VALU_DEP_4) | instskip(NEXT) | instid1(VALU_DEP_4)
	v_pk_fma_f16 v57, v86, v59, v2 op_sel:[0,1,0]
	v_pk_fma_f16 v55, v87, v59, v3 op_sel:[0,1,0]
	s_cbranch_scc0 .LBB74_18
; %bb.16:                               ;   in Loop: Header=BB74_8 Depth=1
	v_mov_b32_e32 v49, v41
	s_branch .LBB74_8
.LBB74_17:
	v_dual_mov_b32 v41, 0xfeffffff :: v_dual_mov_b32 v58, 0
	v_mov_b32_e32 v53, 0
	v_mov_b32_e32 v57, 0
	v_mov_b32_e32 v55, 0
.LBB74_18:
	s_cmp_gt_i32 s42, s15
	s_cbranch_scc1 .LBB74_20
; %bb.19:
	v_mbcnt_lo_u32_b32 v1, -1, 0
	v_mov_b32_e32 v0, 32
	s_delay_alu instid0(VALU_DEP_2)
	v_xor_b32_e32 v59, 16, v1
	v_xor_b32_e32 v60, 8, v1
	;; [unrolled: 1-line block ×5, first 2 shown]
	s_cbranch_execz .LBB74_21
	s_branch .LBB74_31
.LBB74_20:
                                        ; implicit-def: $vgpr1
                                        ; implicit-def: $vgpr0
                                        ; implicit-def: $vgpr59
                                        ; implicit-def: $vgpr60
                                        ; implicit-def: $vgpr61
                                        ; implicit-def: $vgpr62
                                        ; implicit-def: $vgpr63
.LBB74_21:
	v_lshl_add_u32 v3, v54, 2, v32
	s_mul_hi_i32 s3, s15, s17
	s_mul_i32 s2, s15, s17
	s_sub_i32 s18, s42, s15
	s_lshl_b64 s[2:3], s[2:3], 2
	v_mul_lo_u32 v7, s17, v3
	s_mov_b32 s20, 0
	s_add_u32 s4, s4, s2
	s_addc_u32 s5, s5, s3
	s_mov_b32 s21, s20
	s_mov_b32 s22, s20
	v_lshlrev_b32_e32 v22, 2, v31
	s_mov_b64 s[6:7], src_private_base
	v_ashrrev_i32_e32 v8, 31, v7
	s_lshl_b32 s6, s17, 3
	s_delay_alu instid0(SALU_CYCLE_1) | instskip(NEXT) | instid1(VALU_DEP_2)
	v_add_nc_u32_e32 v18, s6, v7
	v_lshlrev_b64 v[0:1], 2, v[7:8]
	s_delay_alu instid0(VALU_DEP_2) | instskip(SKIP_1) | instid1(VALU_DEP_3)
	v_ashrrev_i32_e32 v19, 31, v18
	v_add_nc_u32_e32 v20, s6, v18
	v_add_co_u32 v0, vcc_lo, s4, v0
	s_delay_alu instid0(VALU_DEP_4) | instskip(NEXT) | instid1(VALU_DEP_3)
	v_add_co_ci_u32_e32 v1, vcc_lo, s5, v1, vcc_lo
	v_ashrrev_i32_e32 v21, 31, v20
	s_delay_alu instid0(VALU_DEP_3) | instskip(NEXT) | instid1(VALU_DEP_3)
	v_add_co_u32 v8, vcc_lo, v0, v22
	v_add_co_ci_u32_e32 v9, vcc_lo, 0, v1, vcc_lo
	v_cmp_gt_i32_e32 vcc_lo, s18, v3
	v_mov_b32_e32 v6, 0
	v_dual_mov_b32 v0, s20 :: v_dual_mov_b32 v1, s21
	v_mov_b32_e32 v2, s22
	v_cndmask_b32_e32 v11, s7, v9, vcc_lo
	v_cndmask_b32_e32 v10, 0, v8, vcc_lo
	s_clause 0x1
	scratch_store_b32 off, v6, off
	scratch_store_b96 off, v[0:2], off offset:4
	v_add_nc_u32_e32 v16, 8, v3
	flat_load_b128 v[12:15], v[10:11]
	v_lshlrev_b64 v[10:11], 2, v[18:19]
	v_add_nc_u32_e32 v18, 16, v3
	s_delay_alu instid0(VALU_DEP_2) | instskip(NEXT) | instid1(VALU_DEP_1)
	v_add_co_u32 v7, s2, s4, v10
	v_add_co_ci_u32_e64 v11, s2, s5, v11, s2
	s_delay_alu instid0(VALU_DEP_2) | instskip(NEXT) | instid1(VALU_DEP_1)
	v_add_co_u32 v10, s2, v7, v22
	v_add_co_ci_u32_e64 v11, s2, 0, v11, s2
	v_cmp_gt_i32_e64 s2, s18, v16
	v_mad_u32_u24 v7, 0x90, v3, v22
	v_add_nc_u32_e32 v3, 24, v3
	s_clause 0x1
	scratch_store_b32 off, v6, off
	scratch_store_b96 off, v[0:2], off offset:4
	v_cndmask_b32_e64 v17, s7, v11, s2
	v_cndmask_b32_e64 v16, 0, v10, s2
	s_waitcnt vmcnt(0) lgkmcnt(0)
	ds_store_b128 v7, v[12:15]
	flat_load_b128 v[14:17], v[16:17]
	v_lshlrev_b64 v[12:13], 2, v[20:21]
	s_clause 0x1
	scratch_store_b32 off, v6, off
	scratch_store_b96 off, v[0:2], off offset:4
	v_add_co_u32 v12, s3, s4, v12
	s_delay_alu instid0(VALU_DEP_1) | instskip(NEXT) | instid1(VALU_DEP_2)
	v_add_co_ci_u32_e64 v13, s3, s5, v13, s3
	v_add_co_u32 v12, s3, v12, v22
	s_delay_alu instid0(VALU_DEP_1) | instskip(SKIP_1) | instid1(VALU_DEP_1)
	v_add_co_ci_u32_e64 v13, s3, 0, v13, s3
	v_cmp_gt_i32_e64 s3, s18, v18
	v_cndmask_b32_e64 v19, s7, v13, s3
	s_delay_alu instid0(VALU_DEP_4) | instskip(SKIP_4) | instid1(VALU_DEP_1)
	v_cndmask_b32_e64 v18, 0, v12, s3
	s_waitcnt vmcnt(0) lgkmcnt(0)
	ds_store_b128 v7, v[14:17] offset:1152
	flat_load_b128 v[16:19], v[18:19]
	v_add_nc_u32_e32 v14, s6, v20
	v_ashrrev_i32_e32 v15, 31, v14
	s_delay_alu instid0(VALU_DEP_1) | instskip(NEXT) | instid1(VALU_DEP_1)
	v_lshlrev_b64 v[14:15], 2, v[14:15]
	v_add_co_u32 v14, s4, s4, v14
	s_delay_alu instid0(VALU_DEP_1) | instskip(SKIP_1) | instid1(VALU_DEP_3)
	v_add_co_ci_u32_e64 v15, s4, s5, v15, s4
	v_add_co_u32 v24, s5, 0x80, v8
	v_add_co_u32 v14, s4, v14, v22
	s_delay_alu instid0(VALU_DEP_1)
	v_add_co_ci_u32_e64 v15, s4, 0, v15, s4
	v_cmp_gt_i32_e64 s4, s18, v3
	v_mov_b32_e32 v3, 0
	s_clause 0x1
	scratch_store_b32 off, v6, off
	scratch_store_b96 off, v[0:2], off offset:4
	v_add_co_ci_u32_e64 v25, s5, 0, v9, s5
	v_cndmask_b32_e64 v21, s7, v15, s4
	v_cndmask_b32_e64 v20, 0, v14, s4
	v_cndmask_b32_e32 v24, 0, v24, vcc_lo
	s_delay_alu instid0(VALU_DEP_4)
	v_cndmask_b32_e32 v25, s7, v25, vcc_lo
	s_waitcnt vmcnt(0) lgkmcnt(0)
	ds_store_b128 v7, v[16:19] offset:2304
	flat_load_b128 v[16:19], v[20:21]
	s_waitcnt vmcnt(0) lgkmcnt(0)
	ds_store_b128 v7, v[16:19] offset:3456
	s_waitcnt lgkmcnt(0)
	s_waitcnt_vscnt null, 0x0
	s_barrier
	buffer_gl0_inv
	ds_load_b128 v[16:19], v30
	ds_load_b128 v[20:23], v27 offset:4608
	s_waitcnt lgkmcnt(0)
	;;#ASMSTART
	v_dot2_f32_f16 v3, v16, v20, v3
	;;#ASMEND
	;;#ASMSTART
	v_dot2_f32_f16 v3, v17, v21, v3
	;;#ASMEND
	;;#ASMSTART
	v_dot2_f32_f16 v3, v18, v22, v3
	;;#ASMEND
	;;#ASMSTART
	v_dot2_f32_f16 v3, v19, v23, v3
	;;#ASMEND
	ds_load_b128 v[16:19], v30 offset:16
	ds_load_b128 v[20:23], v27 offset:4624
	s_waitcnt lgkmcnt(0)
	;;#ASMSTART
	v_dot2_f32_f16 v3, v16, v20, v3
	;;#ASMEND
	;;#ASMSTART
	v_dot2_f32_f16 v3, v17, v21, v3
	;;#ASMEND
	;;#ASMSTART
	v_dot2_f32_f16 v3, v18, v22, v3
	;;#ASMEND
	;;#ASMSTART
	v_dot2_f32_f16 v3, v19, v23, v3
	;;#ASMEND
	ds_load_b128 v[16:19], v30 offset:32
	;; [unrolled: 15-line block ×7, first 2 shown]
	ds_load_b128 v[20:23], v27 offset:4720
	s_waitcnt lgkmcnt(0)
	;;#ASMSTART
	v_dot2_f32_f16 v3, v16, v20, v3
	;;#ASMEND
	;;#ASMSTART
	v_dot2_f32_f16 v3, v17, v21, v3
	;;#ASMEND
	;; [unrolled: 3-line block ×4, first 2 shown]
	s_barrier
	buffer_gl0_inv
	s_clause 0x1
	scratch_store_b32 off, v6, off
	scratch_store_b96 off, v[0:2], off offset:4
	flat_load_b128 v[16:19], v[24:25]
	v_add_co_u32 v20, s5, 0x80, v10
	s_delay_alu instid0(VALU_DEP_1)
	v_add_co_ci_u32_e64 v21, s5, 0, v11, s5
	s_clause 0x1
	scratch_store_b32 off, v6, off
	scratch_store_b96 off, v[0:2], off offset:4
	v_cndmask_b32_e64 v20, 0, v20, s2
	v_cndmask_b32_e64 v21, s7, v21, s2
	s_waitcnt vmcnt(0) lgkmcnt(0)
	ds_store_b128 v7, v[16:19]
	flat_load_b128 v[16:19], v[20:21]
	v_add_co_u32 v20, s5, 0x80, v12
	s_delay_alu instid0(VALU_DEP_1)
	v_add_co_ci_u32_e64 v21, s5, 0, v13, s5
	s_clause 0x1
	scratch_store_b32 off, v6, off
	scratch_store_b96 off, v[0:2], off offset:4
	v_cndmask_b32_e64 v20, 0, v20, s3
	v_cndmask_b32_e64 v21, s7, v21, s3
	s_waitcnt vmcnt(0) lgkmcnt(0)
	ds_store_b128 v7, v[16:19] offset:1152
	flat_load_b128 v[16:19], v[20:21]
	v_add_co_u32 v20, s5, 0x80, v14
	s_delay_alu instid0(VALU_DEP_1)
	v_add_co_ci_u32_e64 v21, s5, 0, v15, s5
	s_clause 0x1
	scratch_store_b32 off, v6, off
	scratch_store_b96 off, v[0:2], off offset:4
	v_cndmask_b32_e64 v20, 0, v20, s4
	v_add_co_u32 v24, s5, 0x100, v8
	v_cndmask_b32_e64 v21, s7, v21, s4
	v_add_co_ci_u32_e64 v25, s5, 0, v9, s5
	s_delay_alu instid0(VALU_DEP_3) | instskip(NEXT) | instid1(VALU_DEP_2)
	v_cndmask_b32_e32 v24, 0, v24, vcc_lo
	v_cndmask_b32_e32 v25, s7, v25, vcc_lo
	s_waitcnt vmcnt(0) lgkmcnt(0)
	ds_store_b128 v7, v[16:19] offset:2304
	flat_load_b128 v[16:19], v[20:21]
	s_waitcnt vmcnt(0) lgkmcnt(0)
	ds_store_b128 v7, v[16:19] offset:3456
	s_waitcnt lgkmcnt(0)
	s_waitcnt_vscnt null, 0x0
	s_barrier
	buffer_gl0_inv
	ds_load_b128 v[16:19], v30
	ds_load_b128 v[20:23], v27 offset:4736
	s_waitcnt lgkmcnt(0)
	;;#ASMSTART
	v_dot2_f32_f16 v3, v16, v20, v3
	;;#ASMEND
	;;#ASMSTART
	v_dot2_f32_f16 v3, v17, v21, v3
	;;#ASMEND
	;;#ASMSTART
	v_dot2_f32_f16 v3, v18, v22, v3
	;;#ASMEND
	;;#ASMSTART
	v_dot2_f32_f16 v3, v19, v23, v3
	;;#ASMEND
	ds_load_b128 v[16:19], v30 offset:16
	ds_load_b128 v[20:23], v27 offset:4752
	s_waitcnt lgkmcnt(0)
	;;#ASMSTART
	v_dot2_f32_f16 v3, v16, v20, v3
	;;#ASMEND
	;;#ASMSTART
	v_dot2_f32_f16 v3, v17, v21, v3
	;;#ASMEND
	;;#ASMSTART
	v_dot2_f32_f16 v3, v18, v22, v3
	;;#ASMEND
	;;#ASMSTART
	v_dot2_f32_f16 v3, v19, v23, v3
	;;#ASMEND
	ds_load_b128 v[16:19], v30 offset:32
	;; [unrolled: 15-line block ×7, first 2 shown]
	ds_load_b128 v[20:23], v27 offset:4848
	s_waitcnt lgkmcnt(0)
	;;#ASMSTART
	v_dot2_f32_f16 v3, v16, v20, v3
	;;#ASMEND
	;;#ASMSTART
	v_dot2_f32_f16 v3, v17, v21, v3
	;;#ASMEND
	;; [unrolled: 3-line block ×4, first 2 shown]
	s_barrier
	buffer_gl0_inv
	s_clause 0x1
	scratch_store_b32 off, v6, off
	scratch_store_b96 off, v[0:2], off offset:4
	flat_load_b128 v[16:19], v[24:25]
	v_add_co_u32 v20, s5, 0x100, v10
	s_delay_alu instid0(VALU_DEP_1)
	v_add_co_ci_u32_e64 v21, s5, 0, v11, s5
	s_clause 0x1
	scratch_store_b32 off, v6, off
	scratch_store_b96 off, v[0:2], off offset:4
	v_cndmask_b32_e64 v20, 0, v20, s2
	v_cndmask_b32_e64 v21, s7, v21, s2
	s_waitcnt vmcnt(0) lgkmcnt(0)
	ds_store_b128 v7, v[16:19]
	flat_load_b128 v[16:19], v[20:21]
	v_add_co_u32 v20, s5, 0x100, v12
	s_delay_alu instid0(VALU_DEP_1)
	v_add_co_ci_u32_e64 v21, s5, 0, v13, s5
	s_clause 0x1
	scratch_store_b32 off, v6, off
	scratch_store_b96 off, v[0:2], off offset:4
	v_cndmask_b32_e64 v20, 0, v20, s3
	v_cndmask_b32_e64 v21, s7, v21, s3
	s_waitcnt vmcnt(0) lgkmcnt(0)
	ds_store_b128 v7, v[16:19] offset:1152
	flat_load_b128 v[16:19], v[20:21]
	v_add_co_u32 v20, s5, 0x100, v14
	s_delay_alu instid0(VALU_DEP_1)
	v_add_co_ci_u32_e64 v21, s5, 0, v15, s5
	s_clause 0x1
	scratch_store_b32 off, v6, off
	scratch_store_b96 off, v[0:2], off offset:4
	v_cndmask_b32_e64 v20, 0, v20, s4
	v_add_co_u32 v8, s5, 0x180, v8
	v_cndmask_b32_e64 v21, s7, v21, s4
	v_add_co_ci_u32_e64 v9, s5, 0, v9, s5
	s_delay_alu instid0(VALU_DEP_3) | instskip(NEXT) | instid1(VALU_DEP_2)
	v_cndmask_b32_e32 v8, 0, v8, vcc_lo
	v_cndmask_b32_e32 v9, s7, v9, vcc_lo
	s_waitcnt vmcnt(0) lgkmcnt(0)
	ds_store_b128 v7, v[16:19] offset:2304
	flat_load_b128 v[16:19], v[20:21]
	s_waitcnt vmcnt(0) lgkmcnt(0)
	ds_store_b128 v7, v[16:19] offset:3456
	s_waitcnt lgkmcnt(0)
	s_waitcnt_vscnt null, 0x0
	s_barrier
	buffer_gl0_inv
	ds_load_b128 v[16:19], v30
	ds_load_b128 v[20:23], v27 offset:4864
	s_waitcnt lgkmcnt(0)
	;;#ASMSTART
	v_dot2_f32_f16 v3, v16, v20, v3
	;;#ASMEND
	;;#ASMSTART
	v_dot2_f32_f16 v3, v17, v21, v3
	;;#ASMEND
	;;#ASMSTART
	v_dot2_f32_f16 v3, v18, v22, v3
	;;#ASMEND
	;;#ASMSTART
	v_dot2_f32_f16 v3, v19, v23, v3
	;;#ASMEND
	ds_load_b128 v[16:19], v30 offset:16
	ds_load_b128 v[20:23], v27 offset:4880
	s_waitcnt lgkmcnt(0)
	;;#ASMSTART
	v_dot2_f32_f16 v3, v16, v20, v3
	;;#ASMEND
	;;#ASMSTART
	v_dot2_f32_f16 v3, v17, v21, v3
	;;#ASMEND
	;;#ASMSTART
	v_dot2_f32_f16 v3, v18, v22, v3
	;;#ASMEND
	;;#ASMSTART
	v_dot2_f32_f16 v3, v19, v23, v3
	;;#ASMEND
	ds_load_b128 v[16:19], v30 offset:32
	;; [unrolled: 15-line block ×7, first 2 shown]
	ds_load_b128 v[20:23], v27 offset:4976
	s_waitcnt lgkmcnt(0)
	;;#ASMSTART
	v_dot2_f32_f16 v3, v16, v20, v3
	;;#ASMEND
	;;#ASMSTART
	v_dot2_f32_f16 v3, v17, v21, v3
	;;#ASMEND
	;; [unrolled: 3-line block ×4, first 2 shown]
	s_barrier
	buffer_gl0_inv
	s_clause 0x1
	scratch_store_b32 off, v6, off
	scratch_store_b96 off, v[0:2], off offset:4
	flat_load_b128 v[16:19], v[8:9]
	v_add_co_u32 v8, vcc_lo, 0x180, v10
	v_add_co_ci_u32_e32 v9, vcc_lo, 0, v11, vcc_lo
	s_clause 0x1
	scratch_store_b32 off, v6, off
	scratch_store_b96 off, v[0:2], off offset:4
	v_cndmask_b32_e64 v8, 0, v8, s2
	v_add_co_u32 v12, vcc_lo, 0x180, v12
	v_cndmask_b32_e64 v9, s7, v9, s2
	v_add_co_ci_u32_e32 v13, vcc_lo, 0, v13, vcc_lo
	s_delay_alu instid0(VALU_DEP_3) | instskip(NEXT) | instid1(VALU_DEP_2)
	v_cndmask_b32_e64 v12, 0, v12, s3
	v_cndmask_b32_e64 v13, s7, v13, s3
	s_waitcnt vmcnt(0) lgkmcnt(0)
	ds_store_b128 v7, v[16:19]
	flat_load_b128 v[8:11], v[8:9]
	s_clause 0x1
	scratch_store_b32 off, v6, off
	scratch_store_b96 off, v[0:2], off offset:4
	s_waitcnt vmcnt(0) lgkmcnt(0)
	ds_store_b128 v7, v[8:11] offset:1152
	flat_load_b128 v[8:11], v[12:13]
	v_add_co_u32 v12, vcc_lo, 0x180, v14
	v_add_co_ci_u32_e32 v13, vcc_lo, 0, v15, vcc_lo
	s_clause 0x1
	scratch_store_b32 off, v6, off
	scratch_store_b96 off, v[0:2], off offset:4
	v_cndmask_b32_e64 v12, 0, v12, s4
                                        ; implicit-def: $vgpr0
	v_cndmask_b32_e64 v13, s7, v13, s4
	s_waitcnt vmcnt(0) lgkmcnt(0)
	ds_store_b128 v7, v[8:11] offset:2304
	flat_load_b128 v[8:11], v[12:13]
	s_waitcnt vmcnt(0) lgkmcnt(0)
	ds_store_b128 v7, v[8:11] offset:3456
	s_waitcnt lgkmcnt(0)
	s_waitcnt_vscnt null, 0x0
	s_barrier
	buffer_gl0_inv
	ds_load_b128 v[6:9], v30
	ds_load_b128 v[10:13], v27 offset:4992
	s_waitcnt lgkmcnt(0)
	;;#ASMSTART
	v_dot2_f32_f16 v3, v6, v10, v3
	;;#ASMEND
	;;#ASMSTART
	v_dot2_f32_f16 v3, v7, v11, v3
	;;#ASMEND
	;;#ASMSTART
	v_dot2_f32_f16 v3, v8, v12, v3
	;;#ASMEND
	;;#ASMSTART
	v_dot2_f32_f16 v3, v9, v13, v3
	;;#ASMEND
	ds_load_b128 v[6:9], v30 offset:16
	ds_load_b128 v[10:13], v27 offset:5008
	s_waitcnt lgkmcnt(0)
	;;#ASMSTART
	v_dot2_f32_f16 v3, v6, v10, v3
	;;#ASMEND
	;;#ASMSTART
	v_dot2_f32_f16 v3, v7, v11, v3
	;;#ASMEND
	;;#ASMSTART
	v_dot2_f32_f16 v3, v8, v12, v3
	;;#ASMEND
	;;#ASMSTART
	v_dot2_f32_f16 v3, v9, v13, v3
	;;#ASMEND
	ds_load_b128 v[6:9], v30 offset:32
	;; [unrolled: 15-line block ×7, first 2 shown]
	ds_load_b128 v[10:13], v27 offset:5104
	s_waitcnt lgkmcnt(0)
	;;#ASMSTART
	v_dot2_f32_f16 v3, v6, v10, v3
	;;#ASMEND
	;;#ASMSTART
	v_dot2_f32_f16 v3, v7, v11, v3
	;;#ASMEND
	;; [unrolled: 3-line block ×4, first 2 shown]
	v_cmp_ngt_f32_e64 s2, 0x3f200000, |v3|
	s_delay_alu instid0(VALU_DEP_1) | instskip(NEXT) | instid1(SALU_CYCLE_1)
	s_and_saveexec_b32 s3, s2
	s_xor_b32 s2, exec_lo, s3
	s_cbranch_execz .LBB74_23
; %bb.22:
	v_add_f32_e64 v0, |v3|, |v3|
	s_delay_alu instid0(VALU_DEP_1) | instskip(SKIP_1) | instid1(VALU_DEP_2)
	v_mul_f32_e32 v1, 0x3fb8aa3b, v0
	v_cmp_ngt_f32_e32 vcc_lo, 0xc2ce8ed0, v0
	v_rndne_f32_e32 v2, v1
	v_fma_f32 v6, 0x3fb8aa3b, v0, -v1
	s_delay_alu instid0(VALU_DEP_1) | instskip(SKIP_1) | instid1(VALU_DEP_2)
	v_dual_sub_f32 v1, v1, v2 :: v_dual_fmamk_f32 v6, v0, 0x32a5705f, v6
	v_cvt_i32_f32_e32 v2, v2
	v_add_f32_e32 v1, v1, v6
	s_delay_alu instid0(VALU_DEP_1) | instskip(SKIP_2) | instid1(VALU_DEP_1)
	v_exp_f32_e32 v1, v1
	s_waitcnt_depctr 0xfff
	v_ldexp_f32 v1, v1, v2
	v_cndmask_b32_e32 v1, 0, v1, vcc_lo
	v_cmp_nlt_f32_e32 vcc_lo, 0x42b17218, v0
	s_delay_alu instid0(VALU_DEP_2) | instskip(NEXT) | instid1(VALU_DEP_1)
	v_cndmask_b32_e32 v0, 0x7f800000, v1, vcc_lo
	v_add_f32_e32 v0, 1.0, v0
	s_delay_alu instid0(VALU_DEP_1)
	v_rcp_f32_e32 v0, v0
	s_waitcnt_depctr 0xfff
	v_fma_f32 v0, v0, -2.0, 1.0
.LBB74_23:
	s_and_not1_saveexec_b32 s2, s2
; %bb.24:
	v_mul_f32_e32 v0, v3, v3
	s_mov_b32 s3, 0xbbbac73d
	s_delay_alu instid0(VALU_DEP_1) | instid1(SALU_CYCLE_1)
	v_fmaak_f32 v1, s3, v0, 0x3ca908c9
	s_delay_alu instid0(VALU_DEP_1) | instskip(NEXT) | instid1(VALU_DEP_1)
	v_fmaak_f32 v1, v0, v1, 0xbd5c1c4e
	v_fmaak_f32 v1, v0, v1, 0x3e088382
	s_delay_alu instid0(VALU_DEP_1) | instskip(NEXT) | instid1(VALU_DEP_1)
	v_fmaak_f32 v1, v0, v1, 0xbeaaaa99
	v_mul_f32_e64 v1, |v3|, v1
	s_delay_alu instid0(VALU_DEP_1)
	v_fma_f32 v0, v0, v1, |v3|
; %bb.25:
	s_or_b32 exec_lo, exec_lo, s2
	s_delay_alu instid0(VALU_DEP_1) | instskip(SKIP_1) | instid1(VALU_DEP_1)
	v_bfi_b32 v0, 0x7fffffff, v0, v3
	s_mov_b32 s2, exec_lo
	v_dual_mov_b32 v1, v41 :: v_dual_mul_f32 v0, s23, v0
	v_cmpx_gt_i32_e64 s18, v39
	s_cbranch_execz .LBB74_30
; %bb.26:
	s_cmp_eq_u64 s[40:41], 0
	s_cbranch_scc1 .LBB74_28
; %bb.27:
	v_mul_lo_u32 v1, v29, s16
	s_delay_alu instid0(VALU_DEP_1) | instskip(NEXT) | instid1(VALU_DEP_1)
	v_add3_u32 v1, v1, v39, s15
	v_ashrrev_i32_e32 v2, 31, v1
	s_delay_alu instid0(VALU_DEP_1) | instskip(NEXT) | instid1(VALU_DEP_1)
	v_lshlrev_b64 v[1:2], 1, v[1:2]
	v_add_co_u32 v1, vcc_lo, s40, v1
	s_delay_alu instid0(VALU_DEP_2) | instskip(SKIP_3) | instid1(VALU_DEP_1)
	v_add_co_ci_u32_e32 v2, vcc_lo, s41, v2, vcc_lo
	flat_load_u16 v1, v[1:2]
	s_waitcnt vmcnt(0) lgkmcnt(0)
	v_cvt_f32_f16_e32 v1, v1
	v_mul_f32_e32 v1, v28, v1
	s_branch .LBB74_29
.LBB74_28:
	v_mov_b32_e32 v1, 0
.LBB74_29:
	s_delay_alu instid0(VALU_DEP_1) | instskip(NEXT) | instid1(VALU_DEP_1)
	v_add_f32_e32 v0, v0, v1
	v_dual_max_f32 v2, v41, v41 :: v_dual_add_f32 v1, 0x40051340, v0
	s_delay_alu instid0(VALU_DEP_1)
	v_max_f32_e32 v1, v2, v1
.LBB74_30:
	s_or_b32 exec_lo, exec_lo, s2
	v_xor_b32_e32 v59, 16, v51
	v_xor_b32_e32 v60, 8, v51
	v_xor_b32_e32 v61, 4, v51
	v_xor_b32_e32 v62, 2, v51
	v_xor_b32_e32 v63, 1, v51
	v_cmp_gt_i32_e32 vcc_lo, 32, v59
	s_mov_b32 s4, 0
	s_mul_hi_i32 s7, s15, s8
	s_mul_i32 s6, s15, s8
	s_mov_b32 s5, s4
	v_cndmask_b32_e32 v2, v51, v59, vcc_lo
	v_cmp_gt_i32_e32 vcc_lo, 32, v60
	s_lshl_b64 s[16:17], s[6:7], 2
	s_mov_b32 s6, s4
	s_mov_b64 s[2:3], src_private_base
	v_dual_cndmask_b32 v3, v51, v60 :: v_dual_lshlrev_b32 v2, 2, v2
	v_cmp_gt_i32_e32 vcc_lo, 32, v61
	s_lshl_b32 s2, s8, 1
	v_lshlrev_b64 v[42:43], 2, v[4:5]
	ds_bpermute_b32 v2, v2, v1
	v_max_f32_e32 v1, v1, v1
	s_add_u32 s7, s9, s16
	s_addc_u32 s16, s13, s17
	s_waitcnt lgkmcnt(0)
	s_barrier
	buffer_gl0_inv
	v_add_nc_u32_e32 v75, 2, v54
	v_add_nc_u32_e32 v69, 0x800, v52
	v_dual_mov_b32 v68, 0 :: v_dual_lshlrev_b32 v3, 2, v3
	v_mov_b32_e32 v38, s6
	v_lshlrev_b32_e32 v66, 6, v54
	v_mov_b32_e32 v36, s4
	v_dual_mov_b32 v37, s5 :: v_dual_add_nc_u32 v4, s2, v4
	s_clause 0x1
	scratch_store_b32 off, v68, off
	scratch_store_b96 off, v[36:38], off offset:4
	v_max_f32_e32 v2, v2, v2
	v_add_nc_u32_e32 v74, 4, v54
	v_add_nc_u32_e32 v72, 6, v54
	s_delay_alu instid0(VALU_DEP_3) | instskip(SKIP_4) | instid1(VALU_DEP_2)
	v_max_f32_e32 v1, v1, v2
	ds_bpermute_b32 v2, v3, v1
	v_cndmask_b32_e32 v3, v51, v61, vcc_lo
	v_cmp_gt_i32_e32 vcc_lo, 32, v62
	s_waitcnt lgkmcnt(0)
	v_dual_max_f32 v2, v2, v2 :: v_dual_lshlrev_b32 v3, 2, v3
	s_delay_alu instid0(VALU_DEP_1) | instskip(SKIP_4) | instid1(VALU_DEP_2)
	v_max_f32_e32 v1, v1, v2
	ds_bpermute_b32 v2, v3, v1
	v_cndmask_b32_e32 v3, v51, v62, vcc_lo
	v_cmp_gt_i32_e32 vcc_lo, 32, v63
	s_waitcnt lgkmcnt(0)
	v_dual_max_f32 v2, v2, v2 :: v_dual_lshlrev_b32 v3, 2, v3
	s_delay_alu instid0(VALU_DEP_1) | instskip(SKIP_3) | instid1(VALU_DEP_1)
	v_max_f32_e32 v1, v1, v2
	ds_bpermute_b32 v2, v3, v1
	s_waitcnt lgkmcnt(0)
	v_dual_cndmask_b32 v3, v51, v63 :: v_dual_max_f32 v2, v2, v2
	v_max_f32_e32 v1, v1, v2
	s_delay_alu instid0(VALU_DEP_2) | instskip(SKIP_3) | instid1(VALU_DEP_1)
	v_lshlrev_b32_e32 v3, 2, v3
	ds_bpermute_b32 v2, v3, v1
	s_waitcnt lgkmcnt(0)
	v_max_f32_e32 v2, v2, v2
	v_max_f32_e32 v64, v1, v2
	s_delay_alu instid0(VALU_DEP_1) | instskip(NEXT) | instid1(VALU_DEP_1)
	v_sub_f32_e32 v0, v0, v64
	v_mul_f32_e32 v1, 0x3fb8aa3b, v0
	v_cmp_ngt_f32_e32 vcc_lo, 0xc2ce8ed0, v0
	s_delay_alu instid0(VALU_DEP_2) | instskip(SKIP_1) | instid1(VALU_DEP_1)
	v_fma_f32 v2, 0x3fb8aa3b, v0, -v1
	v_rndne_f32_e32 v3, v1
	v_dual_fmac_f32 v2, 0x32a5705f, v0 :: v_dual_sub_f32 v1, v1, v3
	v_cvt_i32_f32_e32 v3, v3
	s_delay_alu instid0(VALU_DEP_2) | instskip(NEXT) | instid1(VALU_DEP_1)
	v_dual_add_f32 v1, v1, v2 :: v_dual_lshlrev_b32 v2, 1, v39
	v_exp_f32_e32 v1, v1
	s_delay_alu instid0(VALU_DEP_1) | instskip(SKIP_2) | instid1(VALU_DEP_1)
	v_add3_u32 v2, 0x1600, v66, v2
	s_waitcnt_depctr 0xfff
	v_ldexp_f32 v1, v1, v3
	v_cndmask_b32_e32 v1, 0, v1, vcc_lo
	v_add_co_u32 v3, vcc_lo, s7, v42
	v_add_co_ci_u32_e32 v5, vcc_lo, s16, v43, vcc_lo
	v_cmp_nlt_f32_e32 vcc_lo, 0x42b17218, v0
	s_delay_alu instid0(VALU_DEP_4) | instskip(NEXT) | instid1(VALU_DEP_1)
	v_dual_cndmask_b32 v0, 0x7f800000, v1 :: v_dual_lshlrev_b32 v67, 2, v50
	v_add_co_u32 v1, vcc_lo, v3, v67
	s_delay_alu instid0(VALU_DEP_4)
	v_add_co_ci_u32_e32 v3, vcc_lo, 0, v5, vcc_lo
	v_cmp_gt_u32_e32 vcc_lo, s18, v39
	v_add_nc_u32_e32 v76, v27, v67
	v_lshl_add_u32 v73, v75, 9, v67
	v_lshl_add_u32 v71, v74, 9, v67
	;; [unrolled: 1-line block ×3, first 2 shown]
	v_cndmask_b32_e32 v65, 0, v0, vcc_lo
	v_cmp_gt_i32_e32 vcc_lo, s18, v54
	v_cndmask_b32_e32 v0, 0, v1, vcc_lo
	s_delay_alu instid0(VALU_DEP_3) | instskip(SKIP_4) | instid1(VALU_DEP_1)
	v_cvt_f16_f32_e32 v5, v65
	v_cndmask_b32_e32 v1, s3, v3, vcc_lo
	ds_store_b16 v2, v5
	flat_load_b128 v[0:3], v[0:1]
	v_ashrrev_i32_e32 v5, 31, v4
	v_lshlrev_b64 v[46:47], 2, v[4:5]
	v_add_nc_u32_e32 v4, s2, v4
	s_clause 0x1
	scratch_store_b32 off, v68, off
	scratch_store_b96 off, v[36:38], off offset:4
	v_add_co_u32 v5, vcc_lo, s7, v46
	v_add_co_ci_u32_e32 v6, vcc_lo, s16, v47, vcc_lo
	s_delay_alu instid0(VALU_DEP_2) | instskip(NEXT) | instid1(VALU_DEP_2)
	v_add_co_u32 v5, vcc_lo, v5, v67
	v_add_co_ci_u32_e32 v6, vcc_lo, 0, v6, vcc_lo
	v_cmp_gt_i32_e32 vcc_lo, s18, v75
	s_delay_alu instid0(VALU_DEP_3) | instskip(NEXT) | instid1(VALU_DEP_3)
	v_cndmask_b32_e32 v5, 0, v5, vcc_lo
	v_cndmask_b32_e32 v6, s3, v6, vcc_lo
	s_waitcnt vmcnt(0) lgkmcnt(0)
	ds_store_b128 v76, v[0:3]
	flat_load_b128 v[0:3], v[5:6]
	v_ashrrev_i32_e32 v5, 31, v4
	s_clause 0x1
	scratch_store_b32 off, v68, off
	scratch_store_b96 off, v[36:38], off offset:4
	v_lshlrev_b64 v[48:49], 2, v[4:5]
	v_add_nc_u32_e32 v4, s2, v4
	s_or_b32 s2, s15, 8
	s_delay_alu instid0(SALU_CYCLE_1) | instskip(SKIP_1) | instid1(VALU_DEP_2)
	s_mul_hi_i32 s5, s2, s8
	s_mul_i32 s4, s2, s8
	v_add_co_u32 v5, vcc_lo, s7, v48
	v_add_co_ci_u32_e32 v6, vcc_lo, s16, v49, vcc_lo
	s_lshl_b64 s[4:5], s[4:5], 2
	s_delay_alu instid0(VALU_DEP_2) | instskip(NEXT) | instid1(VALU_DEP_2)
	v_add_co_u32 v5, vcc_lo, v5, v67
	v_add_co_ci_u32_e32 v6, vcc_lo, 0, v6, vcc_lo
	v_cmp_gt_i32_e32 vcc_lo, s18, v74
	s_add_u32 s2, s9, s4
	s_addc_u32 s4, s13, s5
	s_add_i32 s5, s18, -8
	v_cndmask_b32_e32 v5, 0, v5, vcc_lo
	v_cndmask_b32_e32 v6, s3, v6, vcc_lo
	s_waitcnt vmcnt(0) lgkmcnt(0)
	ds_store_b128 v73, v[0:3]
	flat_load_b128 v[0:3], v[5:6]
	v_ashrrev_i32_e32 v5, 31, v4
	s_clause 0x1
	scratch_store_b32 off, v68, off
	scratch_store_b96 off, v[36:38], off offset:4
	v_lshlrev_b64 v[44:45], 2, v[4:5]
	s_delay_alu instid0(VALU_DEP_1) | instskip(NEXT) | instid1(VALU_DEP_2)
	v_add_co_u32 v4, vcc_lo, s7, v44
	v_add_co_ci_u32_e32 v5, vcc_lo, s16, v45, vcc_lo
	s_delay_alu instid0(VALU_DEP_2) | instskip(NEXT) | instid1(VALU_DEP_2)
	v_add_co_u32 v4, vcc_lo, v4, v67
	v_add_co_ci_u32_e32 v5, vcc_lo, 0, v5, vcc_lo
	v_cmp_gt_i32_e32 vcc_lo, s18, v72
	s_delay_alu instid0(VALU_DEP_3) | instskip(NEXT) | instid1(VALU_DEP_3)
	v_cndmask_b32_e32 v4, 0, v4, vcc_lo
	v_cndmask_b32_e32 v5, s3, v5, vcc_lo
	s_waitcnt vmcnt(0) lgkmcnt(0)
	ds_store_b128 v71, v[0:3]
	flat_load_b128 v[0:3], v[4:5]
	v_add_co_u32 v4, vcc_lo, s2, v42
	v_add_co_ci_u32_e32 v5, vcc_lo, s4, v43, vcc_lo
	s_delay_alu instid0(VALU_DEP_2) | instskip(NEXT) | instid1(VALU_DEP_2)
	v_add_co_u32 v4, vcc_lo, v4, v67
	v_add_co_ci_u32_e32 v5, vcc_lo, 0, v5, vcc_lo
	v_cmp_gt_i32_e32 vcc_lo, s5, v54
	s_delay_alu instid0(VALU_DEP_3) | instskip(NEXT) | instid1(VALU_DEP_3)
	v_cndmask_b32_e32 v77, 0, v4, vcc_lo
	v_cndmask_b32_e32 v78, s3, v5, vcc_lo
	v_add_co_u32 v81, vcc_lo, s2, v46
	v_add_co_ci_u32_e32 v82, vcc_lo, s4, v47, vcc_lo
	s_delay_alu instid0(VALU_DEP_2) | instskip(NEXT) | instid1(VALU_DEP_2)
	v_add_co_u32 v81, vcc_lo, v81, v67
	v_add_co_ci_u32_e32 v82, vcc_lo, 0, v82, vcc_lo
	v_cmp_gt_i32_e32 vcc_lo, s5, v75
	s_delay_alu instid0(VALU_DEP_3) | instskip(NEXT) | instid1(VALU_DEP_3)
	v_cndmask_b32_e32 v81, 0, v81, vcc_lo
	v_cndmask_b32_e32 v82, s3, v82, vcc_lo
	s_waitcnt vmcnt(0) lgkmcnt(0)
	ds_store_b128 v70, v[0:3]
	s_waitcnt lgkmcnt(0)
	s_waitcnt_vscnt null, 0x0
	s_barrier
	buffer_gl0_inv
	ds_load_2addr_b64 v[32:35], v52 offset1:32
	ds_load_b128 v[0:3], v66 offset:5632
	ds_load_2addr_b64 v[28:31], v52 offset0:64 offset1:96
	ds_load_2addr_b64 v[24:27], v52 offset0:128 offset1:160
	;; [unrolled: 1-line block ×3, first 2 shown]
	ds_load_2addr_b64 v[16:19], v69 offset1:32
	ds_load_2addr_b64 v[12:15], v69 offset0:64 offset1:96
	ds_load_2addr_b64 v[8:11], v69 offset0:128 offset1:160
	;; [unrolled: 1-line block ×3, first 2 shown]
	s_waitcnt lgkmcnt(0)
	s_barrier
	buffer_gl0_inv
	s_clause 0x1
	scratch_store_b32 off, v68, off
	scratch_store_b96 off, v[36:38], off offset:4
	flat_load_b128 v[77:80], v[77:78]
	s_clause 0x1
	scratch_store_b32 off, v68, off
	scratch_store_b96 off, v[36:38], off offset:4
	v_pk_mul_f16 v32, v32, v0 op_sel_hi:[1,0]
	v_pk_mul_f16 v33, v33, v0 op_sel_hi:[1,0]
	s_waitcnt vmcnt(0) lgkmcnt(0)
	ds_store_b128 v76, v[77:80]
	flat_load_b128 v[77:80], v[81:82]
	v_add_co_u32 v81, vcc_lo, s2, v48
	v_add_co_ci_u32_e32 v82, vcc_lo, s4, v49, vcc_lo
	s_clause 0x1
	scratch_store_b32 off, v68, off
	scratch_store_b96 off, v[36:38], off offset:4
	v_add_co_u32 v81, vcc_lo, v81, v67
	v_add_co_ci_u32_e32 v82, vcc_lo, 0, v82, vcc_lo
	v_cmp_gt_i32_e32 vcc_lo, s5, v74
	s_delay_alu instid0(VALU_DEP_3) | instskip(NEXT) | instid1(VALU_DEP_3)
	v_cndmask_b32_e32 v81, 0, v81, vcc_lo
	v_cndmask_b32_e32 v82, s3, v82, vcc_lo
	s_waitcnt vmcnt(0) lgkmcnt(0)
	ds_store_b128 v73, v[77:80]
	flat_load_b128 v[77:80], v[81:82]
	v_add_co_u32 v81, vcc_lo, s2, v44
	v_add_co_ci_u32_e32 v82, vcc_lo, s4, v45, vcc_lo
	s_clause 0x1
	scratch_store_b32 off, v68, off
	scratch_store_b96 off, v[36:38], off offset:4
	v_add_co_u32 v81, vcc_lo, v81, v67
	v_add_co_ci_u32_e32 v82, vcc_lo, 0, v82, vcc_lo
	v_cmp_gt_i32_e32 vcc_lo, s5, v72
	s_or_b32 s2, s15, 16
	s_delay_alu instid0(SALU_CYCLE_1) | instskip(SKIP_4) | instid1(SALU_CYCLE_1)
	s_mul_hi_i32 s5, s2, s8
	s_mul_i32 s4, s2, s8
	v_cndmask_b32_e32 v81, 0, v81, vcc_lo
	v_cndmask_b32_e32 v82, s3, v82, vcc_lo
	s_lshl_b64 s[4:5], s[4:5], 2
	s_add_u32 s2, s9, s4
	s_addc_u32 s4, s13, s5
	s_add_i32 s5, s18, -16
	s_waitcnt vmcnt(0) lgkmcnt(0)
	ds_store_b128 v71, v[77:80]
	flat_load_b128 v[77:80], v[81:82]
	v_add_co_u32 v81, vcc_lo, s2, v42
	v_add_co_ci_u32_e32 v82, vcc_lo, s4, v43, vcc_lo
	s_delay_alu instid0(VALU_DEP_2) | instskip(NEXT) | instid1(VALU_DEP_2)
	v_add_co_u32 v81, vcc_lo, v81, v67
	v_add_co_ci_u32_e32 v82, vcc_lo, 0, v82, vcc_lo
	v_cmp_gt_i32_e32 vcc_lo, s5, v54
	s_delay_alu instid0(VALU_DEP_3) | instskip(NEXT) | instid1(VALU_DEP_3)
	v_cndmask_b32_e32 v113, 0, v81, vcc_lo
	v_cndmask_b32_e32 v114, s3, v82, vcc_lo
	v_add_co_u32 v117, vcc_lo, s2, v46
	v_add_co_ci_u32_e32 v118, vcc_lo, s4, v47, vcc_lo
	s_delay_alu instid0(VALU_DEP_2) | instskip(NEXT) | instid1(VALU_DEP_2)
	v_add_co_u32 v117, vcc_lo, v117, v67
	v_add_co_ci_u32_e32 v118, vcc_lo, 0, v118, vcc_lo
	v_cmp_gt_i32_e32 vcc_lo, s5, v75
	s_delay_alu instid0(VALU_DEP_3) | instskip(NEXT) | instid1(VALU_DEP_3)
	v_cndmask_b32_e32 v117, 0, v117, vcc_lo
	v_cndmask_b32_e32 v118, s3, v118, vcc_lo
	s_waitcnt vmcnt(0) lgkmcnt(0)
	ds_store_b128 v70, v[77:80]
	s_waitcnt lgkmcnt(0)
	s_waitcnt_vscnt null, 0x0
	s_barrier
	buffer_gl0_inv
	ds_load_2addr_b64 v[77:80], v52 offset1:32
	ds_load_b128 v[81:84], v66 offset:5648
	ds_load_2addr_b64 v[85:88], v52 offset0:64 offset1:96
	ds_load_2addr_b64 v[89:92], v52 offset0:128 offset1:160
	;; [unrolled: 1-line block ×3, first 2 shown]
	ds_load_2addr_b64 v[97:100], v69 offset1:32
	ds_load_2addr_b64 v[101:104], v69 offset0:64 offset1:96
	ds_load_2addr_b64 v[105:108], v69 offset0:128 offset1:160
	;; [unrolled: 1-line block ×3, first 2 shown]
	s_waitcnt lgkmcnt(0)
	s_barrier
	buffer_gl0_inv
	s_clause 0x1
	scratch_store_b32 off, v68, off
	scratch_store_b96 off, v[36:38], off offset:4
	flat_load_b128 v[113:116], v[113:114]
	s_clause 0x1
	scratch_store_b32 off, v68, off
	scratch_store_b96 off, v[36:38], off offset:4
	s_waitcnt vmcnt(0) lgkmcnt(0)
	ds_store_b128 v76, v[113:116]
	flat_load_b128 v[113:116], v[117:118]
	v_add_co_u32 v117, vcc_lo, s2, v48
	v_add_co_ci_u32_e32 v118, vcc_lo, s4, v49, vcc_lo
	s_clause 0x1
	scratch_store_b32 off, v68, off
	scratch_store_b96 off, v[36:38], off offset:4
	v_add_co_u32 v117, vcc_lo, v117, v67
	v_add_co_ci_u32_e32 v118, vcc_lo, 0, v118, vcc_lo
	v_cmp_gt_i32_e32 vcc_lo, s5, v74
	s_delay_alu instid0(VALU_DEP_3) | instskip(NEXT) | instid1(VALU_DEP_3)
	v_cndmask_b32_e32 v117, 0, v117, vcc_lo
	v_cndmask_b32_e32 v118, s3, v118, vcc_lo
	s_waitcnt vmcnt(0) lgkmcnt(0)
	ds_store_b128 v73, v[113:116]
	flat_load_b128 v[113:116], v[117:118]
	v_add_co_u32 v117, vcc_lo, s2, v44
	v_add_co_ci_u32_e32 v118, vcc_lo, s4, v45, vcc_lo
	s_clause 0x1
	scratch_store_b32 off, v68, off
	scratch_store_b96 off, v[36:38], off offset:4
	v_add_co_u32 v117, vcc_lo, v117, v67
	v_add_co_ci_u32_e32 v118, vcc_lo, 0, v118, vcc_lo
	v_cmp_gt_i32_e32 vcc_lo, s5, v72
	s_or_b32 s2, s15, 24
	s_delay_alu instid0(SALU_CYCLE_1) | instskip(SKIP_4) | instid1(SALU_CYCLE_1)
	s_mul_hi_i32 s5, s2, s8
	s_mul_i32 s4, s2, s8
	v_cndmask_b32_e32 v117, 0, v117, vcc_lo
	v_cndmask_b32_e32 v118, s3, v118, vcc_lo
	s_lshl_b64 s[4:5], s[4:5], 2
	s_add_u32 s2, s9, s4
	s_addc_u32 s4, s13, s5
	v_add_co_u32 v42, vcc_lo, s2, v42
	v_add_co_ci_u32_e32 v43, vcc_lo, s4, v43, vcc_lo
	s_sub_i32 s5, s18, 24
	s_delay_alu instid0(VALU_DEP_2) | instskip(NEXT) | instid1(VALU_DEP_2)
	v_add_co_u32 v42, vcc_lo, v42, v67
	v_add_co_ci_u32_e32 v43, vcc_lo, 0, v43, vcc_lo
	v_cmp_gt_i32_e32 vcc_lo, s5, v54
	s_delay_alu instid0(VALU_DEP_3) | instskip(NEXT) | instid1(VALU_DEP_3)
	v_cndmask_b32_e32 v42, 0, v42, vcc_lo
	v_cndmask_b32_e32 v43, s3, v43, vcc_lo
	s_waitcnt vmcnt(0) lgkmcnt(0)
	ds_store_b128 v71, v[113:116]
	flat_load_b128 v[113:116], v[117:118]
	s_waitcnt vmcnt(0) lgkmcnt(0)
	ds_store_b128 v70, v[113:116]
	s_waitcnt lgkmcnt(0)
	s_waitcnt_vscnt null, 0x0
	s_barrier
	buffer_gl0_inv
	ds_load_2addr_b64 v[113:116], v52 offset1:32
	ds_load_b128 v[117:120], v66 offset:5664
	ds_load_2addr_b64 v[121:124], v52 offset0:64 offset1:96
	ds_load_2addr_b64 v[125:128], v52 offset0:128 offset1:160
	;; [unrolled: 1-line block ×3, first 2 shown]
	ds_load_2addr_b64 v[133:136], v69 offset1:32
	ds_load_2addr_b64 v[137:140], v69 offset0:64 offset1:96
	ds_load_2addr_b64 v[141:144], v69 offset0:128 offset1:160
	;; [unrolled: 1-line block ×3, first 2 shown]
	s_waitcnt lgkmcnt(0)
	s_barrier
	buffer_gl0_inv
	s_clause 0x1
	scratch_store_b32 off, v68, off
	scratch_store_b96 off, v[36:38], off offset:4
	flat_load_b128 v[149:152], v[42:43]
	v_add_co_u32 v42, vcc_lo, s2, v46
	v_add_co_ci_u32_e32 v43, vcc_lo, s4, v47, vcc_lo
	s_clause 0x1
	scratch_store_b32 off, v68, off
	scratch_store_b96 off, v[36:38], off offset:4
	v_add_co_u32 v42, vcc_lo, v42, v67
	v_add_co_ci_u32_e32 v43, vcc_lo, 0, v43, vcc_lo
	v_cmp_gt_i32_e32 vcc_lo, s5, v75
	s_delay_alu instid0(VALU_DEP_3) | instskip(NEXT) | instid1(VALU_DEP_3)
	v_cndmask_b32_e32 v42, 0, v42, vcc_lo
	v_cndmask_b32_e32 v43, s3, v43, vcc_lo
	s_waitcnt vmcnt(0) lgkmcnt(0)
	ds_store_b128 v76, v[149:152]
	flat_load_b128 v[149:152], v[42:43]
	v_add_co_u32 v42, vcc_lo, s2, v48
	v_add_co_ci_u32_e32 v43, vcc_lo, s4, v49, vcc_lo
	s_clause 0x1
	scratch_store_b32 off, v68, off
	scratch_store_b96 off, v[36:38], off offset:4
	v_add_co_u32 v42, vcc_lo, v42, v67
	v_add_co_ci_u32_e32 v43, vcc_lo, 0, v43, vcc_lo
	v_cmp_gt_i32_e32 vcc_lo, s5, v74
	s_delay_alu instid0(VALU_DEP_3) | instskip(NEXT) | instid1(VALU_DEP_3)
	v_cndmask_b32_e32 v42, 0, v42, vcc_lo
	v_cndmask_b32_e32 v43, s3, v43, vcc_lo
	s_waitcnt vmcnt(0) lgkmcnt(0)
	ds_store_b128 v73, v[149:152]
	flat_load_b128 v[46:49], v[42:43]
	v_add_co_u32 v42, vcc_lo, s2, v44
	v_add_co_ci_u32_e32 v43, vcc_lo, s4, v45, vcc_lo
	s_clause 0x1
	scratch_store_b96 off, v[36:38], off offset:4
	scratch_store_b32 off, v68, off
	v_add_co_u32 v42, vcc_lo, v42, v67
	v_add_co_ci_u32_e32 v43, vcc_lo, 0, v43, vcc_lo
	v_cmp_gt_i32_e32 vcc_lo, s5, v72
	v_sub_f32_e32 v36, v41, v64
	s_delay_alu instid0(VALU_DEP_4) | instskip(NEXT) | instid1(VALU_DEP_4)
	v_cndmask_b32_e32 v42, 0, v42, vcc_lo
	v_cndmask_b32_e32 v43, s3, v43, vcc_lo
	s_delay_alu instid0(VALU_DEP_3) | instskip(SKIP_1) | instid1(VALU_DEP_2)
	v_mul_f32_e32 v37, 0x3fb8aa3b, v36
	v_cmp_ngt_f32_e32 vcc_lo, 0xc2ce8ed0, v36
	v_fma_f32 v38, 0x3fb8aa3b, v36, -v37
	v_rndne_f32_e32 v41, v37
	s_delay_alu instid0(VALU_DEP_1) | instskip(NEXT) | instid1(VALU_DEP_1)
	v_dual_fmac_f32 v38, 0x32a5705f, v36 :: v_dual_sub_f32 v37, v37, v41
	v_add_f32_e32 v37, v37, v38
	v_cvt_i32_f32_e32 v38, v41
	s_delay_alu instid0(VALU_DEP_2) | instskip(SKIP_2) | instid1(VALU_DEP_1)
	v_exp_f32_e32 v37, v37
	s_waitcnt_depctr 0xfff
	v_ldexp_f32 v37, v37, v38
	v_cndmask_b32_e32 v37, 0, v37, vcc_lo
	v_cmp_nlt_f32_e32 vcc_lo, 0x42b17218, v36
	s_delay_alu instid0(VALU_DEP_2) | instskip(NEXT) | instid1(VALU_DEP_1)
	v_cndmask_b32_e32 v36, 0x7f800000, v37, vcc_lo
	v_cvt_f16_f32_e32 v37, v36
	v_fma_f32 v53, v53, v36, v65
	s_delay_alu instid0(VALU_DEP_2) | instskip(SKIP_3) | instid1(VALU_DEP_4)
	v_pk_mul_f16 v38, v37, v57 op_sel_hi:[0,1]
	v_pk_mul_f16 v41, v37, v55 op_sel_hi:[0,1]
	v_pk_fma_f16 v32, v56, v37, v32 op_sel_hi:[1,0,1]
	v_pk_fma_f16 v33, v58, v37, v33 op_sel_hi:[1,0,1]
	;; [unrolled: 1-line block ×3, first 2 shown]
	s_delay_alu instid0(VALU_DEP_4) | instskip(NEXT) | instid1(VALU_DEP_4)
	v_pk_fma_f16 v35, v35, v0, v41 op_sel_hi:[1,0,1]
	v_pk_fma_f16 v28, v28, v0, v32 op_sel:[0,1,0]
	s_delay_alu instid0(VALU_DEP_4)
	v_pk_fma_f16 v29, v29, v0, v33 op_sel:[0,1,0]
	v_mov_b32_e32 v41, v64
	v_pk_fma_f16 v30, v30, v0, v34 op_sel:[0,1,0]
	v_pk_fma_f16 v0, v31, v0, v35 op_sel:[0,1,0]
	v_pk_fma_f16 v24, v24, v1, v28 op_sel_hi:[1,0,1]
	v_pk_fma_f16 v25, v25, v1, v29 op_sel_hi:[1,0,1]
	s_delay_alu instid0(VALU_DEP_4) | instskip(NEXT) | instid1(VALU_DEP_4)
	v_pk_fma_f16 v26, v26, v1, v30 op_sel_hi:[1,0,1]
	v_pk_fma_f16 v0, v27, v1, v0 op_sel_hi:[1,0,1]
	s_delay_alu instid0(VALU_DEP_4) | instskip(NEXT) | instid1(VALU_DEP_4)
	v_pk_fma_f16 v20, v20, v1, v24 op_sel:[0,1,0]
	v_pk_fma_f16 v21, v21, v1, v25 op_sel:[0,1,0]
	s_delay_alu instid0(VALU_DEP_4) | instskip(NEXT) | instid1(VALU_DEP_4)
	v_pk_fma_f16 v22, v22, v1, v26 op_sel:[0,1,0]
	v_pk_fma_f16 v0, v23, v1, v0 op_sel:[0,1,0]
	s_delay_alu instid0(VALU_DEP_4) | instskip(NEXT) | instid1(VALU_DEP_4)
	v_pk_fma_f16 v1, v16, v2, v20 op_sel_hi:[1,0,1]
	v_pk_fma_f16 v16, v17, v2, v21 op_sel_hi:[1,0,1]
	s_delay_alu instid0(VALU_DEP_4) | instskip(NEXT) | instid1(VALU_DEP_4)
	v_pk_fma_f16 v17, v18, v2, v22 op_sel_hi:[1,0,1]
	v_pk_fma_f16 v0, v19, v2, v0 op_sel_hi:[1,0,1]
	s_delay_alu instid0(VALU_DEP_4) | instskip(NEXT) | instid1(VALU_DEP_4)
	v_pk_fma_f16 v1, v12, v2, v1 op_sel:[0,1,0]
	v_pk_fma_f16 v12, v13, v2, v16 op_sel:[0,1,0]
	s_delay_alu instid0(VALU_DEP_4) | instskip(NEXT) | instid1(VALU_DEP_4)
	v_pk_fma_f16 v13, v14, v2, v17 op_sel:[0,1,0]
	v_pk_fma_f16 v0, v15, v2, v0 op_sel:[0,1,0]
	s_delay_alu instid0(VALU_DEP_4) | instskip(NEXT) | instid1(VALU_DEP_4)
	;; [unrolled: 12-line block ×10, first 2 shown]
	v_pk_fma_f16 v19, v141, v120, v15 op_sel_hi:[1,0,1]
	v_pk_fma_f16 v20, v142, v120, v16 op_sel_hi:[1,0,1]
	s_delay_alu instid0(VALU_DEP_4) | instskip(NEXT) | instid1(VALU_DEP_4)
	v_pk_fma_f16 v21, v143, v120, v17 op_sel_hi:[1,0,1]
	v_pk_fma_f16 v22, v144, v120, v18 op_sel_hi:[1,0,1]
	s_delay_alu instid0(VALU_DEP_4) | instskip(NEXT) | instid1(VALU_DEP_4)
	v_pk_fma_f16 v24, v145, v120, v19 op_sel:[0,1,0]
	v_pk_fma_f16 v25, v146, v120, v20 op_sel:[0,1,0]
	s_delay_alu instid0(VALU_DEP_4) | instskip(NEXT) | instid1(VALU_DEP_4)
	v_pk_fma_f16 v26, v147, v120, v21 op_sel:[0,1,0]
	v_pk_fma_f16 v27, v148, v120, v22 op_sel:[0,1,0]
	s_waitcnt vmcnt(0) lgkmcnt(0)
	ds_store_b128 v71, v[46:49]
	flat_load_b128 v[42:45], v[42:43]
	s_waitcnt vmcnt(0) lgkmcnt(0)
	ds_store_b128 v70, v[42:45]
	s_waitcnt lgkmcnt(0)
	s_waitcnt_vscnt null, 0x0
	s_barrier
	buffer_gl0_inv
	ds_load_2addr_b64 v[0:3], v52 offset1:32
	ds_load_b128 v[4:7], v66 offset:5680
	ds_load_2addr_b64 v[8:11], v52 offset0:64 offset1:96
	ds_load_2addr_b64 v[12:15], v52 offset0:128 offset1:160
	;; [unrolled: 1-line block ×3, first 2 shown]
	ds_load_2addr_b64 v[20:23], v69 offset1:32
	s_waitcnt lgkmcnt(4)
	v_pk_fma_f16 v0, v0, v4, v24 op_sel_hi:[1,0,1]
	v_pk_fma_f16 v1, v1, v4, v25 op_sel_hi:[1,0,1]
	;; [unrolled: 1-line block ×4, first 2 shown]
	ds_load_2addr_b64 v[24:27], v69 offset0:64 offset1:96
	s_waitcnt lgkmcnt(4)
	v_pk_fma_f16 v0, v8, v4, v0 op_sel:[0,1,0]
	v_pk_fma_f16 v8, v9, v4, v1 op_sel:[0,1,0]
	;; [unrolled: 1-line block ×4, first 2 shown]
	ds_load_2addr_b64 v[1:4], v69 offset0:128 offset1:160
	s_waitcnt lgkmcnt(4)
	v_pk_fma_f16 v0, v12, v5, v0 op_sel_hi:[1,0,1]
	v_pk_fma_f16 v12, v13, v5, v8 op_sel_hi:[1,0,1]
	;; [unrolled: 1-line block ×4, first 2 shown]
	ds_load_2addr_b64 v[8:11], v69 offset0:192 offset1:224
	s_waitcnt lgkmcnt(4)
	v_pk_fma_f16 v0, v16, v5, v0 op_sel:[0,1,0]
	v_pk_fma_f16 v12, v17, v5, v12 op_sel:[0,1,0]
	;; [unrolled: 1-line block ×4, first 2 shown]
	s_waitcnt lgkmcnt(0)
	v_pk_fma_f16 v14, v20, v6, v0 op_sel_hi:[1,0,1]
	v_mov_b32_e32 v0, 32
	v_pk_fma_f16 v12, v21, v6, v12 op_sel_hi:[1,0,1]
	v_pk_fma_f16 v13, v22, v6, v13 op_sel_hi:[1,0,1]
	;; [unrolled: 1-line block ×3, first 2 shown]
	v_pk_fma_f16 v14, v24, v6, v14 op_sel:[0,1,0]
	s_barrier
	v_pk_fma_f16 v12, v25, v6, v12 op_sel:[0,1,0]
	v_pk_fma_f16 v13, v26, v6, v13 op_sel:[0,1,0]
	;; [unrolled: 1-line block ×3, first 2 shown]
	v_pk_fma_f16 v1, v1, v7, v14 op_sel_hi:[1,0,1]
	buffer_gl0_inv
	v_pk_fma_f16 v2, v2, v7, v12 op_sel_hi:[1,0,1]
	v_pk_fma_f16 v3, v3, v7, v13 op_sel_hi:[1,0,1]
	;; [unrolled: 1-line block ×3, first 2 shown]
	v_pk_fma_f16 v56, v8, v7, v1 op_sel:[0,1,0]
	v_mov_b32_e32 v1, v51
	v_pk_fma_f16 v58, v9, v7, v2 op_sel:[0,1,0]
	v_pk_fma_f16 v57, v10, v7, v3 op_sel:[0,1,0]
	;; [unrolled: 1-line block ×3, first 2 shown]
.LBB74_31:
	v_cmp_lt_i32_e32 vcc_lo, v59, v0
	s_cmp_eq_u64 s[24:25], 0
	s_cselect_b32 s2, -1, 0
	s_cmp_lg_u32 s14, 0
	v_cndmask_b32_e32 v2, v1, v59, vcc_lo
	v_cmp_lt_i32_e32 vcc_lo, v60, v0
	s_cselect_b32 s3, -1, 0
	s_delay_alu instid0(SALU_CYCLE_1) | instskip(NEXT) | instid1(VALU_DEP_2)
	s_or_b32 s2, s3, s2
	v_dual_cndmask_b32 v3, v1, v60 :: v_dual_lshlrev_b32 v2, 2, v2
	v_cmp_lt_i32_e32 vcc_lo, v61, v0
	ds_bpermute_b32 v2, v2, v53
	v_dual_cndmask_b32 v4, v1, v61 :: v_dual_lshlrev_b32 v3, 2, v3
	v_cmp_lt_i32_e32 vcc_lo, v62, v0
	s_delay_alu instid0(VALU_DEP_2)
	v_lshlrev_b32_e32 v4, 2, v4
	s_waitcnt lgkmcnt(0)
	v_add_f32_e32 v2, v53, v2
	ds_bpermute_b32 v3, v3, v2
	s_waitcnt lgkmcnt(0)
	v_add_f32_e32 v2, v2, v3
	ds_bpermute_b32 v3, v4, v2
	v_cndmask_b32_e32 v4, v1, v62, vcc_lo
	v_cmp_lt_i32_e32 vcc_lo, v63, v0
	s_delay_alu instid0(VALU_DEP_2) | instskip(SKIP_2) | instid1(VALU_DEP_1)
	v_lshlrev_b32_e32 v4, 2, v4
	v_cndmask_b32_e32 v0, v1, v63, vcc_lo
	s_and_b32 vcc_lo, exec_lo, s2
	v_lshlrev_b32_e32 v0, 2, v0
	s_waitcnt lgkmcnt(0)
	v_add_f32_e32 v2, v2, v3
	ds_bpermute_b32 v3, v4, v2
	s_waitcnt lgkmcnt(0)
	v_add_f32_e32 v1, v2, v3
	ds_bpermute_b32 v0, v0, v1
	s_waitcnt lgkmcnt(0)
	v_add_f32_e32 v42, v1, v0
	s_cbranch_vccnz .LBB74_33
; %bb.32:
	s_lshl_b64 s[2:3], s[34:35], 2
	v_dual_mov_b32 v0, 0 :: v_dual_max_f32 v1, v41, v41
	s_add_u32 s2, s24, s2
	s_addc_u32 s3, s25, s3
	global_load_b32 v0, v0, s[2:3]
	s_waitcnt vmcnt(0)
	v_max_f32_e32 v2, v0, v0
	s_delay_alu instid0(VALU_DEP_1) | instskip(NEXT) | instid1(VALU_DEP_1)
	v_max_f32_e32 v1, v1, v2
	v_sub_f32_e32 v0, v0, v1
	s_delay_alu instid0(VALU_DEP_1) | instskip(NEXT) | instid1(VALU_DEP_1)
	v_mul_f32_e32 v4, 0x3fb8aa3b, v0
	v_fma_f32 v7, 0x3fb8aa3b, v0, -v4
	v_sub_f32_e32 v2, v41, v1
	v_rndne_f32_e32 v8, v4
	v_mov_b32_e32 v41, v1
	s_delay_alu instid0(VALU_DEP_4) | instskip(NEXT) | instid1(VALU_DEP_3)
	v_fmac_f32_e32 v7, 0x32a5705f, v0
	v_dual_mul_f32 v3, 0x3fb8aa3b, v2 :: v_dual_sub_f32 v4, v4, v8
	v_cmp_ngt_f32_e32 vcc_lo, 0xc2ce8ed0, v2
	s_delay_alu instid0(VALU_DEP_2) | instskip(SKIP_1) | instid1(VALU_DEP_2)
	v_fma_f32 v5, 0x3fb8aa3b, v2, -v3
	v_rndne_f32_e32 v6, v3
	v_dual_add_f32 v4, v4, v7 :: v_dual_fmac_f32 v5, 0x32a5705f, v2
	s_delay_alu instid0(VALU_DEP_2) | instskip(NEXT) | instid1(VALU_DEP_2)
	v_sub_f32_e32 v3, v3, v6
	v_exp_f32_e32 v4, v4
	s_delay_alu instid0(VALU_DEP_1) | instskip(SKIP_2) | instid1(VALU_DEP_3)
	v_add_f32_e32 v3, v3, v5
	v_cvt_i32_f32_e32 v5, v6
	v_cvt_i32_f32_e32 v6, v8
	v_exp_f32_e32 v3, v3
	s_waitcnt_depctr 0xfff
	v_ldexp_f32 v4, v4, v6
	v_ldexp_f32 v3, v3, v5
	s_delay_alu instid0(VALU_DEP_1) | instskip(SKIP_1) | instid1(VALU_DEP_4)
	v_cndmask_b32_e32 v3, 0, v3, vcc_lo
	v_cmp_ngt_f32_e32 vcc_lo, 0xc2ce8ed0, v0
	v_cndmask_b32_e32 v4, 0, v4, vcc_lo
	v_cmp_nlt_f32_e32 vcc_lo, 0x42b17218, v2
	s_delay_alu instid0(VALU_DEP_4) | instskip(SKIP_1) | instid1(VALU_DEP_2)
	v_cndmask_b32_e32 v2, 0x7f800000, v3, vcc_lo
	v_cmp_nlt_f32_e32 vcc_lo, 0x42b17218, v0
	v_cvt_f16_f32_e32 v3, v2
	v_cndmask_b32_e32 v0, 0x7f800000, v4, vcc_lo
	s_delay_alu instid0(VALU_DEP_2) | instskip(NEXT) | instid1(VALU_DEP_2)
	v_pk_mul_f16 v56, v3, v56 op_sel_hi:[0,1]
	v_fmac_f32_e32 v0, v42, v2
	v_pk_mul_f16 v58, v3, v58 op_sel_hi:[0,1]
	v_pk_mul_f16 v57, v3, v57 op_sel_hi:[0,1]
	;; [unrolled: 1-line block ×3, first 2 shown]
	s_delay_alu instid0(VALU_DEP_4)
	v_mov_b32_e32 v42, v0
.LBB74_33:
	s_mov_b32 s2, exec_lo
	v_cmpx_gt_i32_e64 s10, v40
	s_cbranch_execz .LBB74_36
; %bb.34:
	s_delay_alu instid0(VALU_DEP_2) | instskip(SKIP_2) | instid1(VALU_DEP_2)
	v_div_scale_f32 v4, null, v42, v42, 1.0
	s_load_b32 s1, s[0:1], 0xd4
	v_mad_u64_u32 v[0:1], null, s12, s10, v[40:41]
	v_rcp_f32_e32 v5, v4
	v_div_scale_f32 v6, vcc_lo, 1.0, v42, 1.0
	v_lshrrev_b32_e32 v8, 16, v56
	v_lshrrev_b32_e32 v10, 16, v55
	;; [unrolled: 1-line block ×3, first 2 shown]
	v_mad_u64_u32 v[2:3], null, v0, s11, s[34:35]
	v_lshrrev_b32_e32 v3, 16, v58
	v_cvt_f32_f16_e32 v8, v8
	s_delay_alu instid0(TRANS32_DEP_1)
	v_fma_f32 v1, -v4, v5, 1.0
	v_cvt_f32_f16_e32 v7, v58
	v_cvt_f32_f16_e32 v13, v56
	v_cvt_f32_f16_e32 v16, v3
	v_cvt_f32_f16_e32 v14, v55
	v_fmac_f32_e32 v5, v1, v5
	v_cvt_f32_f16_e32 v15, v57
	s_waitcnt lgkmcnt(0)
	v_mad_u64_u32 v[0:1], null, s1, v2, s[14:15]
	s_delay_alu instid0(VALU_DEP_3)
	v_dual_mov_b32 v2, 0 :: v_dual_mul_f32 v9, v6, v5
	s_cmp_lg_u32 s1, 1
	v_cvt_f32_f16_e32 v17, v11
	s_cselect_b32 s1, -1, 0
	v_cmp_eq_u32_e64 s0, 0, v39
	v_fma_f32 v1, -v4, v9, v6
	s_delay_alu instid0(VALU_DEP_2) | instskip(NEXT) | instid1(VALU_DEP_1)
	s_and_b32 s0, s0, s1
	v_fmac_f32_e32 v9, v1, v5
	v_lshl_add_u32 v1, v0, 8, v50
	s_delay_alu instid0(VALU_DEP_2) | instskip(NEXT) | instid1(VALU_DEP_2)
	v_fma_f32 v6, -v4, v9, v6
	v_lshlrev_b64 v[3:4], 2, v[1:2]
	s_delay_alu instid0(VALU_DEP_2) | instskip(SKIP_1) | instid1(VALU_DEP_3)
	v_div_fmas_f32 v5, v6, v5, v9
	v_cvt_f32_f16_e32 v6, v10
	v_add_co_u32 v9, vcc_lo, s28, v3
	s_delay_alu instid0(VALU_DEP_4) | instskip(NEXT) | instid1(VALU_DEP_4)
	v_add_co_ci_u32_e32 v10, vcc_lo, s29, v4, vcc_lo
	v_div_fixup_f32 v5, v5, v42, 1.0
	s_delay_alu instid0(VALU_DEP_1) | instskip(NEXT) | instid1(VALU_DEP_1)
	v_cndmask_b32_e64 v5, v5, 1.0, s1
	v_dual_mul_f32 v4, v5, v16 :: v_dual_add_nc_u32 v1, 0x80, v1
	s_delay_alu instid0(VALU_DEP_1) | instskip(SKIP_2) | instid1(VALU_DEP_3)
	v_lshlrev_b64 v[1:2], 2, v[1:2]
	v_mul_f32_e32 v3, v5, v7
	v_mul_f32_e32 v7, v5, v14
	v_add_co_u32 v11, vcc_lo, s28, v1
	s_delay_alu instid0(VALU_DEP_4)
	v_add_co_ci_u32_e32 v12, vcc_lo, s29, v2, vcc_lo
	v_mul_f32_e32 v2, v5, v8
	v_mul_f32_e32 v1, v5, v13
	v_mul_f32_e32 v8, v5, v6
	v_mul_f32_e32 v6, v5, v17
	v_mul_f32_e32 v5, v5, v15
	s_clause 0x1
	global_store_b128 v[9:10], v[1:4], off
	global_store_b128 v[11:12], v[5:8], off
	s_and_b32 exec_lo, exec_lo, s0
	s_cbranch_execz .LBB74_36
; %bb.35:
	v_ashrrev_i32_e32 v1, 31, v0
	s_delay_alu instid0(VALU_DEP_1) | instskip(NEXT) | instid1(VALU_DEP_1)
	v_lshlrev_b64 v[0:1], 3, v[0:1]
	v_add_co_u32 v0, vcc_lo, s30, v0
	s_delay_alu instid0(VALU_DEP_2)
	v_add_co_ci_u32_e32 v1, vcc_lo, s31, v1, vcc_lo
	global_store_b64 v[0:1], v[41:42], off
.LBB74_36:
	s_nop 0
	s_sendmsg sendmsg(MSG_DEALLOC_VGPRS)
	s_endpgm
	.section	.rodata,"a",@progbits
	.p2align	6, 0x0
	.amdhsa_kernel _ZL15flash_attn_tileILi256ELi256ELi2ELi1ELb1EEvPKcS1_S1_S1_S1_PKiPfP15HIP_vector_typeIfLj2EEffffjfiS5_IjLj3EEiiiiiiiiiiiliiliiiiil
		.amdhsa_group_segment_fixed_size 5760
		.amdhsa_private_segment_fixed_size 32
		.amdhsa_kernarg_size 464
		.amdhsa_user_sgpr_count 13
		.amdhsa_user_sgpr_dispatch_ptr 0
		.amdhsa_user_sgpr_queue_ptr 0
		.amdhsa_user_sgpr_kernarg_segment_ptr 1
		.amdhsa_user_sgpr_dispatch_id 0
		.amdhsa_user_sgpr_private_segment_size 0
		.amdhsa_wavefront_size32 1
		.amdhsa_uses_dynamic_stack 0
		.amdhsa_enable_private_segment 1
		.amdhsa_system_sgpr_workgroup_id_x 1
		.amdhsa_system_sgpr_workgroup_id_y 1
		.amdhsa_system_sgpr_workgroup_id_z 1
		.amdhsa_system_sgpr_workgroup_info 0
		.amdhsa_system_vgpr_workitem_id 1
		.amdhsa_next_free_vgpr 180
		.amdhsa_next_free_sgpr 52
		.amdhsa_reserve_vcc 1
		.amdhsa_float_round_mode_32 0
		.amdhsa_float_round_mode_16_64 0
		.amdhsa_float_denorm_mode_32 3
		.amdhsa_float_denorm_mode_16_64 3
		.amdhsa_dx10_clamp 1
		.amdhsa_ieee_mode 1
		.amdhsa_fp16_overflow 0
		.amdhsa_workgroup_processor_mode 1
		.amdhsa_memory_ordered 1
		.amdhsa_forward_progress 0
		.amdhsa_shared_vgpr_count 0
		.amdhsa_exception_fp_ieee_invalid_op 0
		.amdhsa_exception_fp_denorm_src 0
		.amdhsa_exception_fp_ieee_div_zero 0
		.amdhsa_exception_fp_ieee_overflow 0
		.amdhsa_exception_fp_ieee_underflow 0
		.amdhsa_exception_fp_ieee_inexact 0
		.amdhsa_exception_int_div_zero 0
	.end_amdhsa_kernel
	.section	.text._ZL15flash_attn_tileILi256ELi256ELi2ELi1ELb1EEvPKcS1_S1_S1_S1_PKiPfP15HIP_vector_typeIfLj2EEffffjfiS5_IjLj3EEiiiiiiiiiiiliiliiiiil,"axG",@progbits,_ZL15flash_attn_tileILi256ELi256ELi2ELi1ELb1EEvPKcS1_S1_S1_S1_PKiPfP15HIP_vector_typeIfLj2EEffffjfiS5_IjLj3EEiiiiiiiiiiiliiliiiiil,comdat
.Lfunc_end74:
	.size	_ZL15flash_attn_tileILi256ELi256ELi2ELi1ELb1EEvPKcS1_S1_S1_S1_PKiPfP15HIP_vector_typeIfLj2EEffffjfiS5_IjLj3EEiiiiiiiiiiiliiliiiiil, .Lfunc_end74-_ZL15flash_attn_tileILi256ELi256ELi2ELi1ELb1EEvPKcS1_S1_S1_S1_PKiPfP15HIP_vector_typeIfLj2EEffffjfiS5_IjLj3EEiiiiiiiiiiiliiliiiiil
                                        ; -- End function
	.section	.AMDGPU.csdata,"",@progbits
; Kernel info:
; codeLenInByte = 19860
; NumSgprs: 54
; NumVgprs: 180
; ScratchSize: 32
; MemoryBound: 0
; FloatMode: 240
; IeeeMode: 1
; LDSByteSize: 5760 bytes/workgroup (compile time only)
; SGPRBlocks: 6
; VGPRBlocks: 22
; NumSGPRsForWavesPerEU: 54
; NumVGPRsForWavesPerEU: 180
; Occupancy: 8
; WaveLimiterHint : 1
; COMPUTE_PGM_RSRC2:SCRATCH_EN: 1
; COMPUTE_PGM_RSRC2:USER_SGPR: 13
; COMPUTE_PGM_RSRC2:TRAP_HANDLER: 0
; COMPUTE_PGM_RSRC2:TGID_X_EN: 1
; COMPUTE_PGM_RSRC2:TGID_Y_EN: 1
; COMPUTE_PGM_RSRC2:TGID_Z_EN: 1
; COMPUTE_PGM_RSRC2:TIDIG_COMP_CNT: 1
	.text
	.p2alignl 7, 3214868480
	.fill 96, 4, 3214868480
	.type	__hip_cuid_7732fd87be3c7a2e,@object ; @__hip_cuid_7732fd87be3c7a2e
	.section	.bss,"aw",@nobits
	.globl	__hip_cuid_7732fd87be3c7a2e
__hip_cuid_7732fd87be3c7a2e:
	.byte	0                               ; 0x0
	.size	__hip_cuid_7732fd87be3c7a2e, 1

	.ident	"AMD clang version 19.0.0git (https://github.com/RadeonOpenCompute/llvm-project roc-6.4.0 25133 c7fe45cf4b819c5991fe208aaa96edf142730f1d)"
	.section	".note.GNU-stack","",@progbits
	.addrsig
	.addrsig_sym __hip_cuid_7732fd87be3c7a2e
	.amdgpu_metadata
---
amdhsa.kernels:
  - .args:
      - .address_space:  global
        .offset:         0
        .size:           8
        .value_kind:     global_buffer
      - .address_space:  global
        .offset:         8
        .size:           8
        .value_kind:     global_buffer
      - .address_space:  global
        .offset:         16
        .size:           8
        .value_kind:     global_buffer
      - .address_space:  global
        .offset:         24
        .size:           8
        .value_kind:     global_buffer
      - .address_space:  global
        .offset:         32
        .size:           8
        .value_kind:     global_buffer
      - .address_space:  global
        .offset:         40
        .size:           8
        .value_kind:     global_buffer
      - .address_space:  global
        .offset:         48
        .size:           8
        .value_kind:     global_buffer
      - .address_space:  global
        .offset:         56
        .size:           8
        .value_kind:     global_buffer
      - .offset:         64
        .size:           4
        .value_kind:     by_value
      - .offset:         68
        .size:           4
        .value_kind:     by_value
      - .offset:         72
        .size:           4
        .value_kind:     by_value
      - .offset:         76
        .size:           4
        .value_kind:     by_value
      - .offset:         80
        .size:           4
        .value_kind:     by_value
      - .offset:         84
        .size:           4
        .value_kind:     by_value
      - .offset:         88
        .size:           4
        .value_kind:     by_value
      - .offset:         92
        .size:           12
        .value_kind:     by_value
      - .offset:         104
        .size:           4
        .value_kind:     by_value
      - .offset:         108
        .size:           4
        .value_kind:     by_value
      - .offset:         112
        .size:           4
        .value_kind:     by_value
      - .offset:         116
        .size:           4
        .value_kind:     by_value
      - .offset:         120
        .size:           4
        .value_kind:     by_value
      - .offset:         124
        .size:           4
        .value_kind:     by_value
      - .offset:         128
        .size:           4
        .value_kind:     by_value
      - .offset:         132
        .size:           4
        .value_kind:     by_value
      - .offset:         136
        .size:           4
        .value_kind:     by_value
      - .offset:         140
        .size:           4
        .value_kind:     by_value
      - .offset:         144
        .size:           4
        .value_kind:     by_value
      - .offset:         152
        .size:           8
        .value_kind:     by_value
      - .offset:         160
        .size:           4
        .value_kind:     by_value
      - .offset:         164
        .size:           4
        .value_kind:     by_value
      - .offset:         168
        .size:           8
        .value_kind:     by_value
      - .offset:         176
        .size:           4
        .value_kind:     by_value
      - .offset:         180
        .size:           4
        .value_kind:     by_value
      - .offset:         184
        .size:           4
        .value_kind:     by_value
      - .offset:         188
        .size:           4
        .value_kind:     by_value
      - .offset:         192
        .size:           4
        .value_kind:     by_value
      - .offset:         200
        .size:           8
        .value_kind:     by_value
      - .offset:         208
        .size:           4
        .value_kind:     hidden_block_count_x
      - .offset:         212
        .size:           4
        .value_kind:     hidden_block_count_y
      - .offset:         216
        .size:           4
        .value_kind:     hidden_block_count_z
      - .offset:         220
        .size:           2
        .value_kind:     hidden_group_size_x
      - .offset:         222
        .size:           2
        .value_kind:     hidden_group_size_y
      - .offset:         224
        .size:           2
        .value_kind:     hidden_group_size_z
      - .offset:         226
        .size:           2
        .value_kind:     hidden_remainder_x
      - .offset:         228
        .size:           2
        .value_kind:     hidden_remainder_y
      - .offset:         230
        .size:           2
        .value_kind:     hidden_remainder_z
      - .offset:         248
        .size:           8
        .value_kind:     hidden_global_offset_x
      - .offset:         256
        .size:           8
        .value_kind:     hidden_global_offset_y
      - .offset:         264
        .size:           8
        .value_kind:     hidden_global_offset_z
      - .offset:         272
        .size:           2
        .value_kind:     hidden_grid_dims
    .group_segment_fixed_size: 37888
    .kernarg_segment_align: 8
    .kernarg_segment_size: 464
    .language:       OpenCL C
    .language_version:
      - 2
      - 0
    .max_flat_workgroup_size: 256
    .name:           _ZL15flash_attn_tileILi256ELi256ELi4ELi8ELb0EEvPKcS1_S1_S1_S1_PKiPfP15HIP_vector_typeIfLj2EEffffjfiS5_IjLj3EEiiiiiiiiiiiliiliiiiil
    .private_segment_fixed_size: 0
    .sgpr_count:     55
    .sgpr_spill_count: 0
    .symbol:         _ZL15flash_attn_tileILi256ELi256ELi4ELi8ELb0EEvPKcS1_S1_S1_S1_PKiPfP15HIP_vector_typeIfLj2EEffffjfiS5_IjLj3EEiiiiiiiiiiiliiliiiiil.kd
    .uniform_work_group_size: 1
    .uses_dynamic_stack: false
    .vgpr_count:     233
    .vgpr_spill_count: 0
    .wavefront_size: 32
    .workgroup_processor_mode: 1
  - .args:
      - .actual_access:  read_only
        .address_space:  global
        .offset:         0
        .size:           8
        .value_kind:     global_buffer
      - .actual_access:  write_only
        .address_space:  global
        .offset:         8
        .size:           8
        .value_kind:     global_buffer
      - .offset:         16
        .size:           4
        .value_kind:     by_value
      - .offset:         20
        .size:           4
        .value_kind:     by_value
      - .offset:         24
        .size:           4
        .value_kind:     by_value
      - .offset:         32
        .size:           4
        .value_kind:     hidden_block_count_x
      - .offset:         36
        .size:           4
        .value_kind:     hidden_block_count_y
      - .offset:         40
        .size:           4
        .value_kind:     hidden_block_count_z
      - .offset:         44
        .size:           2
        .value_kind:     hidden_group_size_x
      - .offset:         46
        .size:           2
        .value_kind:     hidden_group_size_y
      - .offset:         48
        .size:           2
        .value_kind:     hidden_group_size_z
      - .offset:         50
        .size:           2
        .value_kind:     hidden_remainder_x
      - .offset:         52
        .size:           2
        .value_kind:     hidden_remainder_y
      - .offset:         54
        .size:           2
        .value_kind:     hidden_remainder_z
      - .offset:         72
        .size:           8
        .value_kind:     hidden_global_offset_x
      - .offset:         80
        .size:           8
        .value_kind:     hidden_global_offset_y
      - .offset:         88
        .size:           8
        .value_kind:     hidden_global_offset_z
      - .offset:         96
        .size:           2
        .value_kind:     hidden_grid_dims
    .group_segment_fixed_size: 128
    .kernarg_segment_align: 8
    .kernarg_segment_size: 288
    .language:       OpenCL C
    .language_version:
      - 2
      - 0
    .max_flat_workgroup_size: 128
    .name:           _ZL25flash_attn_mask_to_KV_maxILi4EEvPK7__half2Piiii
    .private_segment_fixed_size: 0
    .sgpr_count:     21
    .sgpr_spill_count: 0
    .symbol:         _ZL25flash_attn_mask_to_KV_maxILi4EEvPK7__half2Piiii.kd
    .uniform_work_group_size: 1
    .uses_dynamic_stack: false
    .vgpr_count:     9
    .vgpr_spill_count: 0
    .wavefront_size: 32
    .workgroup_processor_mode: 1
  - .args:
      - .address_space:  global
        .offset:         0
        .size:           8
        .value_kind:     global_buffer
      - .address_space:  global
        .offset:         8
        .size:           8
        .value_kind:     global_buffer
      - .offset:         16
        .size:           4
        .value_kind:     by_value
      - .offset:         20
        .size:           4
        .value_kind:     by_value
      - .offset:         24
        .size:           4
        .value_kind:     by_value
      - .offset:         28
        .size:           4
        .value_kind:     by_value
      - .offset:         32
        .size:           4
        .value_kind:     by_value
      - .offset:         36
        .size:           4
        .value_kind:     by_value
      - .offset:         40
        .size:           12
        .value_kind:     by_value
      - .offset:         52
        .size:           12
        .value_kind:     by_value
      - .offset:         64
        .size:           12
        .value_kind:     by_value
    .group_segment_fixed_size: 0
    .kernarg_segment_align: 8
    .kernarg_segment_size: 76
    .language:       OpenCL C
    .language_version:
      - 2
      - 0
    .max_flat_workgroup_size: 256
    .name:           _ZL33flash_attn_stream_k_fixup_uniformILi256ELi4ELi8EEvPfPK15HIP_vector_typeIfLj2EEiiiiiiS1_IjLj3EES5_S5_
    .private_segment_fixed_size: 0
    .sgpr_count:     22
    .sgpr_spill_count: 0
    .symbol:         _ZL33flash_attn_stream_k_fixup_uniformILi256ELi4ELi8EEvPfPK15HIP_vector_typeIfLj2EEiiiiiiS1_IjLj3EES5_S5_.kd
    .uniform_work_group_size: 1
    .uses_dynamic_stack: false
    .vgpr_count:     15
    .vgpr_spill_count: 0
    .wavefront_size: 32
    .workgroup_processor_mode: 1
  - .args:
      - .address_space:  global
        .offset:         0
        .size:           8
        .value_kind:     global_buffer
      - .address_space:  global
        .offset:         8
        .size:           8
        .value_kind:     global_buffer
      - .offset:         16
        .size:           4
        .value_kind:     by_value
      - .offset:         20
        .size:           4
        .value_kind:     by_value
      - .offset:         24
        .size:           4
        .value_kind:     by_value
      - .offset:         28
        .size:           4
        .value_kind:     by_value
      - .offset:         32
        .size:           12
        .value_kind:     by_value
      - .offset:         44
        .size:           12
        .value_kind:     by_value
      - .offset:         56
        .size:           12
        .value_kind:     by_value
      - .offset:         68
        .size:           12
        .value_kind:     by_value
      - .offset:         80
        .size:           4
        .value_kind:     hidden_block_count_x
      - .offset:         84
        .size:           4
        .value_kind:     hidden_block_count_y
      - .offset:         88
        .size:           4
        .value_kind:     hidden_block_count_z
      - .offset:         92
        .size:           2
        .value_kind:     hidden_group_size_x
      - .offset:         94
        .size:           2
        .value_kind:     hidden_group_size_y
      - .offset:         96
        .size:           2
        .value_kind:     hidden_group_size_z
      - .offset:         98
        .size:           2
        .value_kind:     hidden_remainder_x
      - .offset:         100
        .size:           2
        .value_kind:     hidden_remainder_y
      - .offset:         102
        .size:           2
        .value_kind:     hidden_remainder_z
      - .offset:         120
        .size:           8
        .value_kind:     hidden_global_offset_x
      - .offset:         128
        .size:           8
        .value_kind:     hidden_global_offset_y
      - .offset:         136
        .size:           8
        .value_kind:     hidden_global_offset_z
      - .offset:         144
        .size:           2
        .value_kind:     hidden_grid_dims
    .group_segment_fixed_size: 0
    .kernarg_segment_align: 8
    .kernarg_segment_size: 336
    .language:       OpenCL C
    .language_version:
      - 2
      - 0
    .max_flat_workgroup_size: 256
    .name:           _ZL33flash_attn_stream_k_fixup_generalILi256ELi4ELi8EEvPfPK15HIP_vector_typeIfLj2EEiiiiS1_IjLj3EES5_S5_S5_
    .private_segment_fixed_size: 0
    .sgpr_count:     34
    .sgpr_spill_count: 0
    .symbol:         _ZL33flash_attn_stream_k_fixup_generalILi256ELi4ELi8EEvPfPK15HIP_vector_typeIfLj2EEiiiiS1_IjLj3EES5_S5_S5_.kd
    .uniform_work_group_size: 1
    .uses_dynamic_stack: false
    .vgpr_count:     19
    .vgpr_spill_count: 0
    .wavefront_size: 32
    .workgroup_processor_mode: 1
  - .args:
      - .address_space:  global
        .offset:         0
        .size:           8
        .value_kind:     global_buffer
      - .address_space:  global
        .offset:         8
        .size:           8
        .value_kind:     global_buffer
      - .address_space:  global
        .offset:         16
        .size:           8
        .value_kind:     global_buffer
      - .offset:         24
        .size:           4
        .value_kind:     by_value
      - .offset:         32
        .size:           4
        .value_kind:     hidden_block_count_x
      - .offset:         36
        .size:           4
        .value_kind:     hidden_block_count_y
      - .offset:         40
        .size:           4
        .value_kind:     hidden_block_count_z
      - .offset:         44
        .size:           2
        .value_kind:     hidden_group_size_x
      - .offset:         46
        .size:           2
        .value_kind:     hidden_group_size_y
      - .offset:         48
        .size:           2
        .value_kind:     hidden_group_size_z
      - .offset:         50
        .size:           2
        .value_kind:     hidden_remainder_x
      - .offset:         52
        .size:           2
        .value_kind:     hidden_remainder_y
      - .offset:         54
        .size:           2
        .value_kind:     hidden_remainder_z
      - .offset:         72
        .size:           8
        .value_kind:     hidden_global_offset_x
      - .offset:         80
        .size:           8
        .value_kind:     hidden_global_offset_y
      - .offset:         88
        .size:           8
        .value_kind:     hidden_global_offset_z
      - .offset:         96
        .size:           2
        .value_kind:     hidden_grid_dims
      - .offset:         152
        .size:           4
        .value_kind:     hidden_dynamic_lds_size
    .group_segment_fixed_size: 0
    .kernarg_segment_align: 8
    .kernarg_segment_size: 288
    .language:       OpenCL C
    .language_version:
      - 2
      - 0
    .max_flat_workgroup_size: 256
    .name:           _ZL26flash_attn_combine_resultsILi256EEvPKfPK15HIP_vector_typeIfLj2EEPfi
    .private_segment_fixed_size: 0
    .sgpr_count:     18
    .sgpr_spill_count: 0
    .symbol:         _ZL26flash_attn_combine_resultsILi256EEvPKfPK15HIP_vector_typeIfLj2EEPfi.kd
    .uniform_work_group_size: 1
    .uses_dynamic_stack: false
    .vgpr_count:     55
    .vgpr_spill_count: 0
    .wavefront_size: 32
    .workgroup_processor_mode: 1
  - .args:
      - .address_space:  global
        .offset:         0
        .size:           8
        .value_kind:     global_buffer
      - .address_space:  global
        .offset:         8
        .size:           8
        .value_kind:     global_buffer
      - .address_space:  global
        .offset:         16
        .size:           8
        .value_kind:     global_buffer
      - .address_space:  global
        .offset:         24
        .size:           8
        .value_kind:     global_buffer
      - .address_space:  global
        .offset:         32
        .size:           8
        .value_kind:     global_buffer
      - .address_space:  global
        .offset:         40
        .size:           8
        .value_kind:     global_buffer
      - .address_space:  global
        .offset:         48
        .size:           8
        .value_kind:     global_buffer
      - .address_space:  global
        .offset:         56
        .size:           8
        .value_kind:     global_buffer
      - .offset:         64
        .size:           4
        .value_kind:     by_value
      - .offset:         68
        .size:           4
        .value_kind:     by_value
      - .offset:         72
        .size:           4
        .value_kind:     by_value
      - .offset:         76
        .size:           4
        .value_kind:     by_value
      - .offset:         80
        .size:           4
        .value_kind:     by_value
      - .offset:         84
        .size:           4
        .value_kind:     by_value
      - .offset:         88
        .size:           4
        .value_kind:     by_value
      - .offset:         92
        .size:           12
        .value_kind:     by_value
      - .offset:         104
        .size:           4
        .value_kind:     by_value
      - .offset:         108
        .size:           4
        .value_kind:     by_value
      - .offset:         112
        .size:           4
        .value_kind:     by_value
      - .offset:         116
        .size:           4
        .value_kind:     by_value
      - .offset:         120
        .size:           4
        .value_kind:     by_value
      - .offset:         124
        .size:           4
        .value_kind:     by_value
      - .offset:         128
        .size:           4
        .value_kind:     by_value
      - .offset:         132
        .size:           4
        .value_kind:     by_value
      - .offset:         136
        .size:           4
        .value_kind:     by_value
      - .offset:         140
        .size:           4
        .value_kind:     by_value
      - .offset:         144
        .size:           4
        .value_kind:     by_value
      - .offset:         152
        .size:           8
        .value_kind:     by_value
      - .offset:         160
        .size:           4
        .value_kind:     by_value
      - .offset:         164
        .size:           4
        .value_kind:     by_value
      - .offset:         168
        .size:           8
        .value_kind:     by_value
      - .offset:         176
        .size:           4
        .value_kind:     by_value
      - .offset:         180
        .size:           4
        .value_kind:     by_value
      - .offset:         184
        .size:           4
        .value_kind:     by_value
      - .offset:         188
        .size:           4
        .value_kind:     by_value
      - .offset:         192
        .size:           4
        .value_kind:     by_value
      - .offset:         200
        .size:           8
        .value_kind:     by_value
      - .offset:         208
        .size:           4
        .value_kind:     hidden_block_count_x
      - .offset:         212
        .size:           4
        .value_kind:     hidden_block_count_y
      - .offset:         216
        .size:           4
        .value_kind:     hidden_block_count_z
      - .offset:         220
        .size:           2
        .value_kind:     hidden_group_size_x
      - .offset:         222
        .size:           2
        .value_kind:     hidden_group_size_y
      - .offset:         224
        .size:           2
        .value_kind:     hidden_group_size_z
      - .offset:         226
        .size:           2
        .value_kind:     hidden_remainder_x
      - .offset:         228
        .size:           2
        .value_kind:     hidden_remainder_y
      - .offset:         230
        .size:           2
        .value_kind:     hidden_remainder_z
      - .offset:         248
        .size:           8
        .value_kind:     hidden_global_offset_x
      - .offset:         256
        .size:           8
        .value_kind:     hidden_global_offset_y
      - .offset:         264
        .size:           8
        .value_kind:     hidden_global_offset_z
      - .offset:         272
        .size:           2
        .value_kind:     hidden_grid_dims
    .group_segment_fixed_size: 26112
    .kernarg_segment_align: 8
    .kernarg_segment_size: 464
    .language:       OpenCL C
    .language_version:
      - 2
      - 0
    .max_flat_workgroup_size: 256
    .name:           _ZL15flash_attn_tileILi256ELi256ELi2ELi8ELb0EEvPKcS1_S1_S1_S1_PKiPfP15HIP_vector_typeIfLj2EEffffjfiS5_IjLj3EEiiiiiiiiiiiliiliiiiil
    .private_segment_fixed_size: 0
    .sgpr_count:     42
    .sgpr_spill_count: 0
    .symbol:         _ZL15flash_attn_tileILi256ELi256ELi2ELi8ELb0EEvPKcS1_S1_S1_S1_PKiPfP15HIP_vector_typeIfLj2EEffffjfiS5_IjLj3EEiiiiiiiiiiiliiliiiiil.kd
    .uniform_work_group_size: 1
    .uses_dynamic_stack: false
    .vgpr_count:     138
    .vgpr_spill_count: 0
    .wavefront_size: 32
    .workgroup_processor_mode: 1
  - .args:
      - .actual_access:  read_only
        .address_space:  global
        .offset:         0
        .size:           8
        .value_kind:     global_buffer
      - .actual_access:  write_only
        .address_space:  global
        .offset:         8
        .size:           8
        .value_kind:     global_buffer
      - .offset:         16
        .size:           4
        .value_kind:     by_value
      - .offset:         20
        .size:           4
        .value_kind:     by_value
      - .offset:         24
        .size:           4
        .value_kind:     by_value
      - .offset:         32
        .size:           4
        .value_kind:     hidden_block_count_x
      - .offset:         36
        .size:           4
        .value_kind:     hidden_block_count_y
      - .offset:         40
        .size:           4
        .value_kind:     hidden_block_count_z
      - .offset:         44
        .size:           2
        .value_kind:     hidden_group_size_x
      - .offset:         46
        .size:           2
        .value_kind:     hidden_group_size_y
      - .offset:         48
        .size:           2
        .value_kind:     hidden_group_size_z
      - .offset:         50
        .size:           2
        .value_kind:     hidden_remainder_x
      - .offset:         52
        .size:           2
        .value_kind:     hidden_remainder_y
      - .offset:         54
        .size:           2
        .value_kind:     hidden_remainder_z
      - .offset:         72
        .size:           8
        .value_kind:     hidden_global_offset_x
      - .offset:         80
        .size:           8
        .value_kind:     hidden_global_offset_y
      - .offset:         88
        .size:           8
        .value_kind:     hidden_global_offset_z
      - .offset:         96
        .size:           2
        .value_kind:     hidden_grid_dims
    .group_segment_fixed_size: 128
    .kernarg_segment_align: 8
    .kernarg_segment_size: 288
    .language:       OpenCL C
    .language_version:
      - 2
      - 0
    .max_flat_workgroup_size: 128
    .name:           _ZL25flash_attn_mask_to_KV_maxILi2EEvPK7__half2Piiii
    .private_segment_fixed_size: 0
    .sgpr_count:     18
    .sgpr_spill_count: 0
    .symbol:         _ZL25flash_attn_mask_to_KV_maxILi2EEvPK7__half2Piiii.kd
    .uniform_work_group_size: 1
    .uses_dynamic_stack: false
    .vgpr_count:     7
    .vgpr_spill_count: 0
    .wavefront_size: 32
    .workgroup_processor_mode: 1
  - .args:
      - .address_space:  global
        .offset:         0
        .size:           8
        .value_kind:     global_buffer
      - .address_space:  global
        .offset:         8
        .size:           8
        .value_kind:     global_buffer
      - .offset:         16
        .size:           4
        .value_kind:     by_value
      - .offset:         20
        .size:           4
        .value_kind:     by_value
      - .offset:         24
        .size:           4
        .value_kind:     by_value
      - .offset:         28
        .size:           4
        .value_kind:     by_value
      - .offset:         32
        .size:           4
        .value_kind:     by_value
      - .offset:         36
        .size:           4
        .value_kind:     by_value
      - .offset:         40
        .size:           12
        .value_kind:     by_value
      - .offset:         52
        .size:           12
        .value_kind:     by_value
      - .offset:         64
        .size:           12
        .value_kind:     by_value
    .group_segment_fixed_size: 0
    .kernarg_segment_align: 8
    .kernarg_segment_size: 76
    .language:       OpenCL C
    .language_version:
      - 2
      - 0
    .max_flat_workgroup_size: 256
    .name:           _ZL33flash_attn_stream_k_fixup_uniformILi256ELi2ELi8EEvPfPK15HIP_vector_typeIfLj2EEiiiiiiS1_IjLj3EES5_S5_
    .private_segment_fixed_size: 0
    .sgpr_count:     22
    .sgpr_spill_count: 0
    .symbol:         _ZL33flash_attn_stream_k_fixup_uniformILi256ELi2ELi8EEvPfPK15HIP_vector_typeIfLj2EEiiiiiiS1_IjLj3EES5_S5_.kd
    .uniform_work_group_size: 1
    .uses_dynamic_stack: false
    .vgpr_count:     15
    .vgpr_spill_count: 0
    .wavefront_size: 32
    .workgroup_processor_mode: 1
  - .args:
      - .address_space:  global
        .offset:         0
        .size:           8
        .value_kind:     global_buffer
      - .address_space:  global
        .offset:         8
        .size:           8
        .value_kind:     global_buffer
      - .offset:         16
        .size:           4
        .value_kind:     by_value
      - .offset:         20
        .size:           4
        .value_kind:     by_value
      - .offset:         24
        .size:           4
        .value_kind:     by_value
      - .offset:         28
        .size:           4
        .value_kind:     by_value
      - .offset:         32
        .size:           12
        .value_kind:     by_value
      - .offset:         44
        .size:           12
        .value_kind:     by_value
      - .offset:         56
        .size:           12
        .value_kind:     by_value
      - .offset:         68
        .size:           12
        .value_kind:     by_value
      - .offset:         80
        .size:           4
        .value_kind:     hidden_block_count_x
      - .offset:         84
        .size:           4
        .value_kind:     hidden_block_count_y
      - .offset:         88
        .size:           4
        .value_kind:     hidden_block_count_z
      - .offset:         92
        .size:           2
        .value_kind:     hidden_group_size_x
      - .offset:         94
        .size:           2
        .value_kind:     hidden_group_size_y
      - .offset:         96
        .size:           2
        .value_kind:     hidden_group_size_z
      - .offset:         98
        .size:           2
        .value_kind:     hidden_remainder_x
      - .offset:         100
        .size:           2
        .value_kind:     hidden_remainder_y
      - .offset:         102
        .size:           2
        .value_kind:     hidden_remainder_z
      - .offset:         120
        .size:           8
        .value_kind:     hidden_global_offset_x
      - .offset:         128
        .size:           8
        .value_kind:     hidden_global_offset_y
      - .offset:         136
        .size:           8
        .value_kind:     hidden_global_offset_z
      - .offset:         144
        .size:           2
        .value_kind:     hidden_grid_dims
    .group_segment_fixed_size: 0
    .kernarg_segment_align: 8
    .kernarg_segment_size: 336
    .language:       OpenCL C
    .language_version:
      - 2
      - 0
    .max_flat_workgroup_size: 256
    .name:           _ZL33flash_attn_stream_k_fixup_generalILi256ELi2ELi8EEvPfPK15HIP_vector_typeIfLj2EEiiiiS1_IjLj3EES5_S5_S5_
    .private_segment_fixed_size: 0
    .sgpr_count:     34
    .sgpr_spill_count: 0
    .symbol:         _ZL33flash_attn_stream_k_fixup_generalILi256ELi2ELi8EEvPfPK15HIP_vector_typeIfLj2EEiiiiS1_IjLj3EES5_S5_S5_.kd
    .uniform_work_group_size: 1
    .uses_dynamic_stack: false
    .vgpr_count:     19
    .vgpr_spill_count: 0
    .wavefront_size: 32
    .workgroup_processor_mode: 1
  - .args:
      - .address_space:  global
        .offset:         0
        .size:           8
        .value_kind:     global_buffer
      - .address_space:  global
        .offset:         8
        .size:           8
        .value_kind:     global_buffer
      - .address_space:  global
        .offset:         16
        .size:           8
        .value_kind:     global_buffer
      - .address_space:  global
        .offset:         24
        .size:           8
        .value_kind:     global_buffer
      - .address_space:  global
        .offset:         32
        .size:           8
        .value_kind:     global_buffer
      - .address_space:  global
        .offset:         40
        .size:           8
        .value_kind:     global_buffer
      - .address_space:  global
        .offset:         48
        .size:           8
        .value_kind:     global_buffer
      - .address_space:  global
        .offset:         56
        .size:           8
        .value_kind:     global_buffer
      - .offset:         64
        .size:           4
        .value_kind:     by_value
      - .offset:         68
        .size:           4
        .value_kind:     by_value
      - .offset:         72
        .size:           4
        .value_kind:     by_value
      - .offset:         76
        .size:           4
        .value_kind:     by_value
      - .offset:         80
        .size:           4
        .value_kind:     by_value
      - .offset:         84
        .size:           4
        .value_kind:     by_value
      - .offset:         88
        .size:           4
        .value_kind:     by_value
      - .offset:         92
        .size:           12
        .value_kind:     by_value
      - .offset:         104
        .size:           4
        .value_kind:     by_value
      - .offset:         108
        .size:           4
        .value_kind:     by_value
      - .offset:         112
        .size:           4
        .value_kind:     by_value
      - .offset:         116
        .size:           4
        .value_kind:     by_value
      - .offset:         120
        .size:           4
        .value_kind:     by_value
      - .offset:         124
        .size:           4
        .value_kind:     by_value
      - .offset:         128
        .size:           4
        .value_kind:     by_value
      - .offset:         132
        .size:           4
        .value_kind:     by_value
      - .offset:         136
        .size:           4
        .value_kind:     by_value
      - .offset:         140
        .size:           4
        .value_kind:     by_value
      - .offset:         144
        .size:           4
        .value_kind:     by_value
      - .offset:         152
        .size:           8
        .value_kind:     by_value
      - .offset:         160
        .size:           4
        .value_kind:     by_value
      - .offset:         164
        .size:           4
        .value_kind:     by_value
      - .offset:         168
        .size:           8
        .value_kind:     by_value
      - .offset:         176
        .size:           4
        .value_kind:     by_value
      - .offset:         180
        .size:           4
        .value_kind:     by_value
      - .offset:         184
        .size:           4
        .value_kind:     by_value
      - .offset:         188
        .size:           4
        .value_kind:     by_value
      - .offset:         192
        .size:           4
        .value_kind:     by_value
      - .offset:         200
        .size:           8
        .value_kind:     by_value
      - .offset:         208
        .size:           4
        .value_kind:     hidden_block_count_x
      - .offset:         212
        .size:           4
        .value_kind:     hidden_block_count_y
      - .offset:         216
        .size:           4
        .value_kind:     hidden_block_count_z
      - .offset:         220
        .size:           2
        .value_kind:     hidden_group_size_x
      - .offset:         222
        .size:           2
        .value_kind:     hidden_group_size_y
      - .offset:         224
        .size:           2
        .value_kind:     hidden_group_size_z
      - .offset:         226
        .size:           2
        .value_kind:     hidden_remainder_x
      - .offset:         228
        .size:           2
        .value_kind:     hidden_remainder_y
      - .offset:         230
        .size:           2
        .value_kind:     hidden_remainder_z
      - .offset:         248
        .size:           8
        .value_kind:     hidden_global_offset_x
      - .offset:         256
        .size:           8
        .value_kind:     hidden_global_offset_y
      - .offset:         264
        .size:           8
        .value_kind:     hidden_global_offset_z
      - .offset:         272
        .size:           2
        .value_kind:     hidden_grid_dims
    .group_segment_fixed_size: 21504
    .kernarg_segment_align: 8
    .kernarg_segment_size: 464
    .language:       OpenCL C
    .language_version:
      - 2
      - 0
    .max_flat_workgroup_size: 128
    .name:           _ZL15flash_attn_tileILi256ELi256ELi1ELi8ELb0EEvPKcS1_S1_S1_S1_PKiPfP15HIP_vector_typeIfLj2EEffffjfiS5_IjLj3EEiiiiiiiiiiiliiliiiiil
    .private_segment_fixed_size: 0
    .sgpr_count:     44
    .sgpr_spill_count: 0
    .symbol:         _ZL15flash_attn_tileILi256ELi256ELi1ELi8ELb0EEvPKcS1_S1_S1_S1_PKiPfP15HIP_vector_typeIfLj2EEffffjfiS5_IjLj3EEiiiiiiiiiiiliiliiiiil.kd
    .uniform_work_group_size: 1
    .uses_dynamic_stack: false
    .vgpr_count:     235
    .vgpr_spill_count: 0
    .wavefront_size: 32
    .workgroup_processor_mode: 1
  - .args:
      - .actual_access:  read_only
        .address_space:  global
        .offset:         0
        .size:           8
        .value_kind:     global_buffer
      - .actual_access:  write_only
        .address_space:  global
        .offset:         8
        .size:           8
        .value_kind:     global_buffer
      - .offset:         16
        .size:           4
        .value_kind:     by_value
      - .offset:         20
        .size:           4
        .value_kind:     by_value
      - .offset:         24
        .size:           4
        .value_kind:     by_value
      - .offset:         32
        .size:           4
        .value_kind:     hidden_block_count_x
      - .offset:         36
        .size:           4
        .value_kind:     hidden_block_count_y
      - .offset:         40
        .size:           4
        .value_kind:     hidden_block_count_z
      - .offset:         44
        .size:           2
        .value_kind:     hidden_group_size_x
      - .offset:         46
        .size:           2
        .value_kind:     hidden_group_size_y
      - .offset:         48
        .size:           2
        .value_kind:     hidden_group_size_z
      - .offset:         50
        .size:           2
        .value_kind:     hidden_remainder_x
      - .offset:         52
        .size:           2
        .value_kind:     hidden_remainder_y
      - .offset:         54
        .size:           2
        .value_kind:     hidden_remainder_z
      - .offset:         72
        .size:           8
        .value_kind:     hidden_global_offset_x
      - .offset:         80
        .size:           8
        .value_kind:     hidden_global_offset_y
      - .offset:         88
        .size:           8
        .value_kind:     hidden_global_offset_z
      - .offset:         96
        .size:           2
        .value_kind:     hidden_grid_dims
    .group_segment_fixed_size: 128
    .kernarg_segment_align: 8
    .kernarg_segment_size: 288
    .language:       OpenCL C
    .language_version:
      - 2
      - 0
    .max_flat_workgroup_size: 128
    .name:           _ZL25flash_attn_mask_to_KV_maxILi1EEvPK7__half2Piiii
    .private_segment_fixed_size: 0
    .sgpr_count:     18
    .sgpr_spill_count: 0
    .symbol:         _ZL25flash_attn_mask_to_KV_maxILi1EEvPK7__half2Piiii.kd
    .uniform_work_group_size: 1
    .uses_dynamic_stack: false
    .vgpr_count:     7
    .vgpr_spill_count: 0
    .wavefront_size: 32
    .workgroup_processor_mode: 1
  - .args:
      - .address_space:  global
        .offset:         0
        .size:           8
        .value_kind:     global_buffer
      - .address_space:  global
        .offset:         8
        .size:           8
        .value_kind:     global_buffer
      - .offset:         16
        .size:           4
        .value_kind:     by_value
      - .offset:         20
        .size:           4
        .value_kind:     by_value
      - .offset:         24
        .size:           4
        .value_kind:     by_value
      - .offset:         28
        .size:           4
        .value_kind:     by_value
      - .offset:         32
        .size:           4
        .value_kind:     by_value
      - .offset:         36
        .size:           4
        .value_kind:     by_value
      - .offset:         40
        .size:           12
        .value_kind:     by_value
      - .offset:         52
        .size:           12
        .value_kind:     by_value
      - .offset:         64
        .size:           12
        .value_kind:     by_value
    .group_segment_fixed_size: 0
    .kernarg_segment_align: 8
    .kernarg_segment_size: 76
    .language:       OpenCL C
    .language_version:
      - 2
      - 0
    .max_flat_workgroup_size: 256
    .name:           _ZL33flash_attn_stream_k_fixup_uniformILi256ELi1ELi8EEvPfPK15HIP_vector_typeIfLj2EEiiiiiiS1_IjLj3EES5_S5_
    .private_segment_fixed_size: 0
    .sgpr_count:     22
    .sgpr_spill_count: 0
    .symbol:         _ZL33flash_attn_stream_k_fixup_uniformILi256ELi1ELi8EEvPfPK15HIP_vector_typeIfLj2EEiiiiiiS1_IjLj3EES5_S5_.kd
    .uniform_work_group_size: 1
    .uses_dynamic_stack: false
    .vgpr_count:     15
    .vgpr_spill_count: 0
    .wavefront_size: 32
    .workgroup_processor_mode: 1
  - .args:
      - .address_space:  global
        .offset:         0
        .size:           8
        .value_kind:     global_buffer
      - .address_space:  global
        .offset:         8
        .size:           8
        .value_kind:     global_buffer
      - .offset:         16
        .size:           4
        .value_kind:     by_value
      - .offset:         20
        .size:           4
        .value_kind:     by_value
      - .offset:         24
        .size:           4
        .value_kind:     by_value
      - .offset:         28
        .size:           4
        .value_kind:     by_value
      - .offset:         32
        .size:           12
        .value_kind:     by_value
      - .offset:         44
        .size:           12
        .value_kind:     by_value
      - .offset:         56
        .size:           12
        .value_kind:     by_value
      - .offset:         68
        .size:           12
        .value_kind:     by_value
      - .offset:         80
        .size:           4
        .value_kind:     hidden_block_count_x
      - .offset:         84
        .size:           4
        .value_kind:     hidden_block_count_y
      - .offset:         88
        .size:           4
        .value_kind:     hidden_block_count_z
      - .offset:         92
        .size:           2
        .value_kind:     hidden_group_size_x
      - .offset:         94
        .size:           2
        .value_kind:     hidden_group_size_y
      - .offset:         96
        .size:           2
        .value_kind:     hidden_group_size_z
      - .offset:         98
        .size:           2
        .value_kind:     hidden_remainder_x
      - .offset:         100
        .size:           2
        .value_kind:     hidden_remainder_y
      - .offset:         102
        .size:           2
        .value_kind:     hidden_remainder_z
      - .offset:         120
        .size:           8
        .value_kind:     hidden_global_offset_x
      - .offset:         128
        .size:           8
        .value_kind:     hidden_global_offset_y
      - .offset:         136
        .size:           8
        .value_kind:     hidden_global_offset_z
      - .offset:         144
        .size:           2
        .value_kind:     hidden_grid_dims
    .group_segment_fixed_size: 0
    .kernarg_segment_align: 8
    .kernarg_segment_size: 336
    .language:       OpenCL C
    .language_version:
      - 2
      - 0
    .max_flat_workgroup_size: 256
    .name:           _ZL33flash_attn_stream_k_fixup_generalILi256ELi1ELi8EEvPfPK15HIP_vector_typeIfLj2EEiiiiS1_IjLj3EES5_S5_S5_
    .private_segment_fixed_size: 0
    .sgpr_count:     34
    .sgpr_spill_count: 0
    .symbol:         _ZL33flash_attn_stream_k_fixup_generalILi256ELi1ELi8EEvPfPK15HIP_vector_typeIfLj2EEiiiiS1_IjLj3EES5_S5_S5_.kd
    .uniform_work_group_size: 1
    .uses_dynamic_stack: false
    .vgpr_count:     19
    .vgpr_spill_count: 0
    .wavefront_size: 32
    .workgroup_processor_mode: 1
  - .args:
      - .address_space:  global
        .offset:         0
        .size:           8
        .value_kind:     global_buffer
      - .address_space:  global
        .offset:         8
        .size:           8
        .value_kind:     global_buffer
      - .address_space:  global
        .offset:         16
        .size:           8
        .value_kind:     global_buffer
      - .address_space:  global
        .offset:         24
        .size:           8
        .value_kind:     global_buffer
      - .address_space:  global
        .offset:         32
        .size:           8
        .value_kind:     global_buffer
      - .address_space:  global
        .offset:         40
        .size:           8
        .value_kind:     global_buffer
      - .address_space:  global
        .offset:         48
        .size:           8
        .value_kind:     global_buffer
      - .address_space:  global
        .offset:         56
        .size:           8
        .value_kind:     global_buffer
      - .offset:         64
        .size:           4
        .value_kind:     by_value
      - .offset:         68
        .size:           4
        .value_kind:     by_value
      - .offset:         72
        .size:           4
        .value_kind:     by_value
      - .offset:         76
        .size:           4
        .value_kind:     by_value
      - .offset:         80
        .size:           4
        .value_kind:     by_value
      - .offset:         84
        .size:           4
        .value_kind:     by_value
      - .offset:         88
        .size:           4
        .value_kind:     by_value
      - .offset:         92
        .size:           12
        .value_kind:     by_value
      - .offset:         104
        .size:           4
        .value_kind:     by_value
      - .offset:         108
        .size:           4
        .value_kind:     by_value
      - .offset:         112
        .size:           4
        .value_kind:     by_value
      - .offset:         116
        .size:           4
        .value_kind:     by_value
      - .offset:         120
        .size:           4
        .value_kind:     by_value
      - .offset:         124
        .size:           4
        .value_kind:     by_value
      - .offset:         128
        .size:           4
        .value_kind:     by_value
      - .offset:         132
        .size:           4
        .value_kind:     by_value
      - .offset:         136
        .size:           4
        .value_kind:     by_value
      - .offset:         140
        .size:           4
        .value_kind:     by_value
      - .offset:         144
        .size:           4
        .value_kind:     by_value
      - .offset:         152
        .size:           8
        .value_kind:     by_value
      - .offset:         160
        .size:           4
        .value_kind:     by_value
      - .offset:         164
        .size:           4
        .value_kind:     by_value
      - .offset:         168
        .size:           8
        .value_kind:     by_value
      - .offset:         176
        .size:           4
        .value_kind:     by_value
      - .offset:         180
        .size:           4
        .value_kind:     by_value
      - .offset:         184
        .size:           4
        .value_kind:     by_value
      - .offset:         188
        .size:           4
        .value_kind:     by_value
      - .offset:         192
        .size:           4
        .value_kind:     by_value
      - .offset:         200
        .size:           8
        .value_kind:     by_value
      - .offset:         208
        .size:           4
        .value_kind:     hidden_block_count_x
      - .offset:         212
        .size:           4
        .value_kind:     hidden_block_count_y
      - .offset:         216
        .size:           4
        .value_kind:     hidden_block_count_z
      - .offset:         220
        .size:           2
        .value_kind:     hidden_group_size_x
      - .offset:         222
        .size:           2
        .value_kind:     hidden_group_size_y
      - .offset:         224
        .size:           2
        .value_kind:     hidden_group_size_z
      - .offset:         226
        .size:           2
        .value_kind:     hidden_remainder_x
      - .offset:         228
        .size:           2
        .value_kind:     hidden_remainder_y
      - .offset:         230
        .size:           2
        .value_kind:     hidden_remainder_z
      - .offset:         248
        .size:           8
        .value_kind:     hidden_global_offset_x
      - .offset:         256
        .size:           8
        .value_kind:     hidden_global_offset_y
      - .offset:         264
        .size:           8
        .value_kind:     hidden_global_offset_z
      - .offset:         272
        .size:           2
        .value_kind:     hidden_grid_dims
    .group_segment_fixed_size: 37888
    .kernarg_segment_align: 8
    .kernarg_segment_size: 464
    .language:       OpenCL C
    .language_version:
      - 2
      - 0
    .max_flat_workgroup_size: 256
    .name:           _ZL15flash_attn_tileILi256ELi256ELi8ELi4ELb0EEvPKcS1_S1_S1_S1_PKiPfP15HIP_vector_typeIfLj2EEffffjfiS5_IjLj3EEiiiiiiiiiiiliiliiiiil
    .private_segment_fixed_size: 0
    .sgpr_count:     54
    .sgpr_spill_count: 0
    .symbol:         _ZL15flash_attn_tileILi256ELi256ELi8ELi4ELb0EEvPKcS1_S1_S1_S1_PKiPfP15HIP_vector_typeIfLj2EEffffjfiS5_IjLj3EEiiiiiiiiiiiliiliiiiil.kd
    .uniform_work_group_size: 1
    .uses_dynamic_stack: false
    .vgpr_count:     232
    .vgpr_spill_count: 0
    .wavefront_size: 32
    .workgroup_processor_mode: 1
  - .args:
      - .actual_access:  read_only
        .address_space:  global
        .offset:         0
        .size:           8
        .value_kind:     global_buffer
      - .actual_access:  write_only
        .address_space:  global
        .offset:         8
        .size:           8
        .value_kind:     global_buffer
      - .offset:         16
        .size:           4
        .value_kind:     by_value
      - .offset:         20
        .size:           4
        .value_kind:     by_value
      - .offset:         24
        .size:           4
        .value_kind:     by_value
      - .offset:         32
        .size:           4
        .value_kind:     hidden_block_count_x
      - .offset:         36
        .size:           4
        .value_kind:     hidden_block_count_y
      - .offset:         40
        .size:           4
        .value_kind:     hidden_block_count_z
      - .offset:         44
        .size:           2
        .value_kind:     hidden_group_size_x
      - .offset:         46
        .size:           2
        .value_kind:     hidden_group_size_y
      - .offset:         48
        .size:           2
        .value_kind:     hidden_group_size_z
      - .offset:         50
        .size:           2
        .value_kind:     hidden_remainder_x
      - .offset:         52
        .size:           2
        .value_kind:     hidden_remainder_y
      - .offset:         54
        .size:           2
        .value_kind:     hidden_remainder_z
      - .offset:         72
        .size:           8
        .value_kind:     hidden_global_offset_x
      - .offset:         80
        .size:           8
        .value_kind:     hidden_global_offset_y
      - .offset:         88
        .size:           8
        .value_kind:     hidden_global_offset_z
      - .offset:         96
        .size:           2
        .value_kind:     hidden_grid_dims
    .group_segment_fixed_size: 128
    .kernarg_segment_align: 8
    .kernarg_segment_size: 288
    .language:       OpenCL C
    .language_version:
      - 2
      - 0
    .max_flat_workgroup_size: 128
    .name:           _ZL25flash_attn_mask_to_KV_maxILi8EEvPK7__half2Piiii
    .private_segment_fixed_size: 0
    .sgpr_count:     29
    .sgpr_spill_count: 0
    .symbol:         _ZL25flash_attn_mask_to_KV_maxILi8EEvPK7__half2Piiii.kd
    .uniform_work_group_size: 1
    .uses_dynamic_stack: false
    .vgpr_count:     9
    .vgpr_spill_count: 0
    .wavefront_size: 32
    .workgroup_processor_mode: 1
  - .args:
      - .address_space:  global
        .offset:         0
        .size:           8
        .value_kind:     global_buffer
      - .address_space:  global
        .offset:         8
        .size:           8
        .value_kind:     global_buffer
      - .offset:         16
        .size:           4
        .value_kind:     by_value
      - .offset:         20
        .size:           4
        .value_kind:     by_value
      - .offset:         24
        .size:           4
        .value_kind:     by_value
      - .offset:         28
        .size:           4
        .value_kind:     by_value
      - .offset:         32
        .size:           4
        .value_kind:     by_value
      - .offset:         36
        .size:           4
        .value_kind:     by_value
      - .offset:         40
        .size:           12
        .value_kind:     by_value
      - .offset:         52
        .size:           12
        .value_kind:     by_value
      - .offset:         64
        .size:           12
        .value_kind:     by_value
    .group_segment_fixed_size: 0
    .kernarg_segment_align: 8
    .kernarg_segment_size: 76
    .language:       OpenCL C
    .language_version:
      - 2
      - 0
    .max_flat_workgroup_size: 256
    .name:           _ZL33flash_attn_stream_k_fixup_uniformILi256ELi8ELi4EEvPfPK15HIP_vector_typeIfLj2EEiiiiiiS1_IjLj3EES5_S5_
    .private_segment_fixed_size: 0
    .sgpr_count:     22
    .sgpr_spill_count: 0
    .symbol:         _ZL33flash_attn_stream_k_fixup_uniformILi256ELi8ELi4EEvPfPK15HIP_vector_typeIfLj2EEiiiiiiS1_IjLj3EES5_S5_.kd
    .uniform_work_group_size: 1
    .uses_dynamic_stack: false
    .vgpr_count:     15
    .vgpr_spill_count: 0
    .wavefront_size: 32
    .workgroup_processor_mode: 1
  - .args:
      - .address_space:  global
        .offset:         0
        .size:           8
        .value_kind:     global_buffer
      - .address_space:  global
        .offset:         8
        .size:           8
        .value_kind:     global_buffer
      - .offset:         16
        .size:           4
        .value_kind:     by_value
      - .offset:         20
        .size:           4
        .value_kind:     by_value
      - .offset:         24
        .size:           4
        .value_kind:     by_value
      - .offset:         28
        .size:           4
        .value_kind:     by_value
      - .offset:         32
        .size:           12
        .value_kind:     by_value
      - .offset:         44
        .size:           12
        .value_kind:     by_value
      - .offset:         56
        .size:           12
        .value_kind:     by_value
      - .offset:         68
        .size:           12
        .value_kind:     by_value
      - .offset:         80
        .size:           4
        .value_kind:     hidden_block_count_x
      - .offset:         84
        .size:           4
        .value_kind:     hidden_block_count_y
      - .offset:         88
        .size:           4
        .value_kind:     hidden_block_count_z
      - .offset:         92
        .size:           2
        .value_kind:     hidden_group_size_x
      - .offset:         94
        .size:           2
        .value_kind:     hidden_group_size_y
      - .offset:         96
        .size:           2
        .value_kind:     hidden_group_size_z
      - .offset:         98
        .size:           2
        .value_kind:     hidden_remainder_x
      - .offset:         100
        .size:           2
        .value_kind:     hidden_remainder_y
      - .offset:         102
        .size:           2
        .value_kind:     hidden_remainder_z
      - .offset:         120
        .size:           8
        .value_kind:     hidden_global_offset_x
      - .offset:         128
        .size:           8
        .value_kind:     hidden_global_offset_y
      - .offset:         136
        .size:           8
        .value_kind:     hidden_global_offset_z
      - .offset:         144
        .size:           2
        .value_kind:     hidden_grid_dims
    .group_segment_fixed_size: 0
    .kernarg_segment_align: 8
    .kernarg_segment_size: 336
    .language:       OpenCL C
    .language_version:
      - 2
      - 0
    .max_flat_workgroup_size: 256
    .name:           _ZL33flash_attn_stream_k_fixup_generalILi256ELi8ELi4EEvPfPK15HIP_vector_typeIfLj2EEiiiiS1_IjLj3EES5_S5_S5_
    .private_segment_fixed_size: 0
    .sgpr_count:     34
    .sgpr_spill_count: 0
    .symbol:         _ZL33flash_attn_stream_k_fixup_generalILi256ELi8ELi4EEvPfPK15HIP_vector_typeIfLj2EEiiiiS1_IjLj3EES5_S5_S5_.kd
    .uniform_work_group_size: 1
    .uses_dynamic_stack: false
    .vgpr_count:     19
    .vgpr_spill_count: 0
    .wavefront_size: 32
    .workgroup_processor_mode: 1
  - .args:
      - .address_space:  global
        .offset:         0
        .size:           8
        .value_kind:     global_buffer
      - .address_space:  global
        .offset:         8
        .size:           8
        .value_kind:     global_buffer
      - .address_space:  global
        .offset:         16
        .size:           8
        .value_kind:     global_buffer
      - .address_space:  global
        .offset:         24
        .size:           8
        .value_kind:     global_buffer
      - .address_space:  global
        .offset:         32
        .size:           8
        .value_kind:     global_buffer
      - .address_space:  global
        .offset:         40
        .size:           8
        .value_kind:     global_buffer
      - .address_space:  global
        .offset:         48
        .size:           8
        .value_kind:     global_buffer
      - .address_space:  global
        .offset:         56
        .size:           8
        .value_kind:     global_buffer
      - .offset:         64
        .size:           4
        .value_kind:     by_value
      - .offset:         68
        .size:           4
        .value_kind:     by_value
      - .offset:         72
        .size:           4
        .value_kind:     by_value
      - .offset:         76
        .size:           4
        .value_kind:     by_value
      - .offset:         80
        .size:           4
        .value_kind:     by_value
      - .offset:         84
        .size:           4
        .value_kind:     by_value
      - .offset:         88
        .size:           4
        .value_kind:     by_value
      - .offset:         92
        .size:           12
        .value_kind:     by_value
      - .offset:         104
        .size:           4
        .value_kind:     by_value
      - .offset:         108
        .size:           4
        .value_kind:     by_value
      - .offset:         112
        .size:           4
        .value_kind:     by_value
      - .offset:         116
        .size:           4
        .value_kind:     by_value
      - .offset:         120
        .size:           4
        .value_kind:     by_value
      - .offset:         124
        .size:           4
        .value_kind:     by_value
      - .offset:         128
        .size:           4
        .value_kind:     by_value
      - .offset:         132
        .size:           4
        .value_kind:     by_value
      - .offset:         136
        .size:           4
        .value_kind:     by_value
      - .offset:         140
        .size:           4
        .value_kind:     by_value
      - .offset:         144
        .size:           4
        .value_kind:     by_value
      - .offset:         152
        .size:           8
        .value_kind:     by_value
      - .offset:         160
        .size:           4
        .value_kind:     by_value
      - .offset:         164
        .size:           4
        .value_kind:     by_value
      - .offset:         168
        .size:           8
        .value_kind:     by_value
      - .offset:         176
        .size:           4
        .value_kind:     by_value
      - .offset:         180
        .size:           4
        .value_kind:     by_value
      - .offset:         184
        .size:           4
        .value_kind:     by_value
      - .offset:         188
        .size:           4
        .value_kind:     by_value
      - .offset:         192
        .size:           4
        .value_kind:     by_value
      - .offset:         200
        .size:           8
        .value_kind:     by_value
      - .offset:         208
        .size:           4
        .value_kind:     hidden_block_count_x
      - .offset:         212
        .size:           4
        .value_kind:     hidden_block_count_y
      - .offset:         216
        .size:           4
        .value_kind:     hidden_block_count_z
      - .offset:         220
        .size:           2
        .value_kind:     hidden_group_size_x
      - .offset:         222
        .size:           2
        .value_kind:     hidden_group_size_y
      - .offset:         224
        .size:           2
        .value_kind:     hidden_group_size_z
      - .offset:         226
        .size:           2
        .value_kind:     hidden_remainder_x
      - .offset:         228
        .size:           2
        .value_kind:     hidden_remainder_y
      - .offset:         230
        .size:           2
        .value_kind:     hidden_remainder_z
      - .offset:         248
        .size:           8
        .value_kind:     hidden_global_offset_x
      - .offset:         256
        .size:           8
        .value_kind:     hidden_global_offset_y
      - .offset:         264
        .size:           8
        .value_kind:     hidden_global_offset_z
      - .offset:         272
        .size:           2
        .value_kind:     hidden_grid_dims
    .group_segment_fixed_size: 26112
    .kernarg_segment_align: 8
    .kernarg_segment_size: 464
    .language:       OpenCL C
    .language_version:
      - 2
      - 0
    .max_flat_workgroup_size: 256
    .name:           _ZL15flash_attn_tileILi256ELi256ELi4ELi4ELb0EEvPKcS1_S1_S1_S1_PKiPfP15HIP_vector_typeIfLj2EEffffjfiS5_IjLj3EEiiiiiiiiiiiliiliiiiil
    .private_segment_fixed_size: 0
    .sgpr_count:     42
    .sgpr_spill_count: 0
    .symbol:         _ZL15flash_attn_tileILi256ELi256ELi4ELi4ELb0EEvPKcS1_S1_S1_S1_PKiPfP15HIP_vector_typeIfLj2EEffffjfiS5_IjLj3EEiiiiiiiiiiiliiliiiiil.kd
    .uniform_work_group_size: 1
    .uses_dynamic_stack: false
    .vgpr_count:     138
    .vgpr_spill_count: 0
    .wavefront_size: 32
    .workgroup_processor_mode: 1
  - .args:
      - .address_space:  global
        .offset:         0
        .size:           8
        .value_kind:     global_buffer
      - .address_space:  global
        .offset:         8
        .size:           8
        .value_kind:     global_buffer
      - .offset:         16
        .size:           4
        .value_kind:     by_value
      - .offset:         20
        .size:           4
        .value_kind:     by_value
      - .offset:         24
        .size:           4
        .value_kind:     by_value
      - .offset:         28
        .size:           4
        .value_kind:     by_value
      - .offset:         32
        .size:           4
        .value_kind:     by_value
      - .offset:         36
        .size:           4
        .value_kind:     by_value
      - .offset:         40
        .size:           12
        .value_kind:     by_value
      - .offset:         52
        .size:           12
        .value_kind:     by_value
      - .offset:         64
        .size:           12
        .value_kind:     by_value
    .group_segment_fixed_size: 0
    .kernarg_segment_align: 8
    .kernarg_segment_size: 76
    .language:       OpenCL C
    .language_version:
      - 2
      - 0
    .max_flat_workgroup_size: 256
    .name:           _ZL33flash_attn_stream_k_fixup_uniformILi256ELi4ELi4EEvPfPK15HIP_vector_typeIfLj2EEiiiiiiS1_IjLj3EES5_S5_
    .private_segment_fixed_size: 0
    .sgpr_count:     22
    .sgpr_spill_count: 0
    .symbol:         _ZL33flash_attn_stream_k_fixup_uniformILi256ELi4ELi4EEvPfPK15HIP_vector_typeIfLj2EEiiiiiiS1_IjLj3EES5_S5_.kd
    .uniform_work_group_size: 1
    .uses_dynamic_stack: false
    .vgpr_count:     15
    .vgpr_spill_count: 0
    .wavefront_size: 32
    .workgroup_processor_mode: 1
  - .args:
      - .address_space:  global
        .offset:         0
        .size:           8
        .value_kind:     global_buffer
      - .address_space:  global
        .offset:         8
        .size:           8
        .value_kind:     global_buffer
      - .offset:         16
        .size:           4
        .value_kind:     by_value
      - .offset:         20
        .size:           4
        .value_kind:     by_value
      - .offset:         24
        .size:           4
        .value_kind:     by_value
      - .offset:         28
        .size:           4
        .value_kind:     by_value
      - .offset:         32
        .size:           12
        .value_kind:     by_value
      - .offset:         44
        .size:           12
        .value_kind:     by_value
      - .offset:         56
        .size:           12
        .value_kind:     by_value
      - .offset:         68
        .size:           12
        .value_kind:     by_value
      - .offset:         80
        .size:           4
        .value_kind:     hidden_block_count_x
      - .offset:         84
        .size:           4
        .value_kind:     hidden_block_count_y
      - .offset:         88
        .size:           4
        .value_kind:     hidden_block_count_z
      - .offset:         92
        .size:           2
        .value_kind:     hidden_group_size_x
      - .offset:         94
        .size:           2
        .value_kind:     hidden_group_size_y
      - .offset:         96
        .size:           2
        .value_kind:     hidden_group_size_z
      - .offset:         98
        .size:           2
        .value_kind:     hidden_remainder_x
      - .offset:         100
        .size:           2
        .value_kind:     hidden_remainder_y
      - .offset:         102
        .size:           2
        .value_kind:     hidden_remainder_z
      - .offset:         120
        .size:           8
        .value_kind:     hidden_global_offset_x
      - .offset:         128
        .size:           8
        .value_kind:     hidden_global_offset_y
      - .offset:         136
        .size:           8
        .value_kind:     hidden_global_offset_z
      - .offset:         144
        .size:           2
        .value_kind:     hidden_grid_dims
    .group_segment_fixed_size: 0
    .kernarg_segment_align: 8
    .kernarg_segment_size: 336
    .language:       OpenCL C
    .language_version:
      - 2
      - 0
    .max_flat_workgroup_size: 256
    .name:           _ZL33flash_attn_stream_k_fixup_generalILi256ELi4ELi4EEvPfPK15HIP_vector_typeIfLj2EEiiiiS1_IjLj3EES5_S5_S5_
    .private_segment_fixed_size: 0
    .sgpr_count:     34
    .sgpr_spill_count: 0
    .symbol:         _ZL33flash_attn_stream_k_fixup_generalILi256ELi4ELi4EEvPfPK15HIP_vector_typeIfLj2EEiiiiS1_IjLj3EES5_S5_S5_.kd
    .uniform_work_group_size: 1
    .uses_dynamic_stack: false
    .vgpr_count:     19
    .vgpr_spill_count: 0
    .wavefront_size: 32
    .workgroup_processor_mode: 1
  - .args:
      - .address_space:  global
        .offset:         0
        .size:           8
        .value_kind:     global_buffer
      - .address_space:  global
        .offset:         8
        .size:           8
        .value_kind:     global_buffer
      - .address_space:  global
        .offset:         16
        .size:           8
        .value_kind:     global_buffer
      - .address_space:  global
        .offset:         24
        .size:           8
        .value_kind:     global_buffer
      - .address_space:  global
        .offset:         32
        .size:           8
        .value_kind:     global_buffer
      - .address_space:  global
        .offset:         40
        .size:           8
        .value_kind:     global_buffer
      - .address_space:  global
        .offset:         48
        .size:           8
        .value_kind:     global_buffer
      - .address_space:  global
        .offset:         56
        .size:           8
        .value_kind:     global_buffer
      - .offset:         64
        .size:           4
        .value_kind:     by_value
      - .offset:         68
        .size:           4
        .value_kind:     by_value
      - .offset:         72
        .size:           4
        .value_kind:     by_value
      - .offset:         76
        .size:           4
        .value_kind:     by_value
      - .offset:         80
        .size:           4
        .value_kind:     by_value
      - .offset:         84
        .size:           4
        .value_kind:     by_value
      - .offset:         88
        .size:           4
        .value_kind:     by_value
      - .offset:         92
        .size:           12
        .value_kind:     by_value
      - .offset:         104
        .size:           4
        .value_kind:     by_value
      - .offset:         108
        .size:           4
        .value_kind:     by_value
      - .offset:         112
        .size:           4
        .value_kind:     by_value
      - .offset:         116
        .size:           4
        .value_kind:     by_value
      - .offset:         120
        .size:           4
        .value_kind:     by_value
      - .offset:         124
        .size:           4
        .value_kind:     by_value
      - .offset:         128
        .size:           4
        .value_kind:     by_value
      - .offset:         132
        .size:           4
        .value_kind:     by_value
      - .offset:         136
        .size:           4
        .value_kind:     by_value
      - .offset:         140
        .size:           4
        .value_kind:     by_value
      - .offset:         144
        .size:           4
        .value_kind:     by_value
      - .offset:         152
        .size:           8
        .value_kind:     by_value
      - .offset:         160
        .size:           4
        .value_kind:     by_value
      - .offset:         164
        .size:           4
        .value_kind:     by_value
      - .offset:         168
        .size:           8
        .value_kind:     by_value
      - .offset:         176
        .size:           4
        .value_kind:     by_value
      - .offset:         180
        .size:           4
        .value_kind:     by_value
      - .offset:         184
        .size:           4
        .value_kind:     by_value
      - .offset:         188
        .size:           4
        .value_kind:     by_value
      - .offset:         192
        .size:           4
        .value_kind:     by_value
      - .offset:         200
        .size:           8
        .value_kind:     by_value
      - .offset:         208
        .size:           4
        .value_kind:     hidden_block_count_x
      - .offset:         212
        .size:           4
        .value_kind:     hidden_block_count_y
      - .offset:         216
        .size:           4
        .value_kind:     hidden_block_count_z
      - .offset:         220
        .size:           2
        .value_kind:     hidden_group_size_x
      - .offset:         222
        .size:           2
        .value_kind:     hidden_group_size_y
      - .offset:         224
        .size:           2
        .value_kind:     hidden_group_size_z
      - .offset:         226
        .size:           2
        .value_kind:     hidden_remainder_x
      - .offset:         228
        .size:           2
        .value_kind:     hidden_remainder_y
      - .offset:         230
        .size:           2
        .value_kind:     hidden_remainder_z
      - .offset:         248
        .size:           8
        .value_kind:     hidden_global_offset_x
      - .offset:         256
        .size:           8
        .value_kind:     hidden_global_offset_y
      - .offset:         264
        .size:           8
        .value_kind:     hidden_global_offset_z
      - .offset:         272
        .size:           2
        .value_kind:     hidden_grid_dims
    .group_segment_fixed_size: 21504
    .kernarg_segment_align: 8
    .kernarg_segment_size: 464
    .language:       OpenCL C
    .language_version:
      - 2
      - 0
    .max_flat_workgroup_size: 128
    .name:           _ZL15flash_attn_tileILi256ELi256ELi2ELi4ELb0EEvPKcS1_S1_S1_S1_PKiPfP15HIP_vector_typeIfLj2EEffffjfiS5_IjLj3EEiiiiiiiiiiiliiliiiiil
    .private_segment_fixed_size: 0
    .sgpr_count:     44
    .sgpr_spill_count: 0
    .symbol:         _ZL15flash_attn_tileILi256ELi256ELi2ELi4ELb0EEvPKcS1_S1_S1_S1_PKiPfP15HIP_vector_typeIfLj2EEffffjfiS5_IjLj3EEiiiiiiiiiiiliiliiiiil.kd
    .uniform_work_group_size: 1
    .uses_dynamic_stack: false
    .vgpr_count:     235
    .vgpr_spill_count: 0
    .wavefront_size: 32
    .workgroup_processor_mode: 1
  - .args:
      - .address_space:  global
        .offset:         0
        .size:           8
        .value_kind:     global_buffer
      - .address_space:  global
        .offset:         8
        .size:           8
        .value_kind:     global_buffer
      - .offset:         16
        .size:           4
        .value_kind:     by_value
      - .offset:         20
        .size:           4
        .value_kind:     by_value
      - .offset:         24
        .size:           4
        .value_kind:     by_value
      - .offset:         28
        .size:           4
        .value_kind:     by_value
      - .offset:         32
        .size:           4
        .value_kind:     by_value
      - .offset:         36
        .size:           4
        .value_kind:     by_value
      - .offset:         40
        .size:           12
        .value_kind:     by_value
      - .offset:         52
        .size:           12
        .value_kind:     by_value
      - .offset:         64
        .size:           12
        .value_kind:     by_value
    .group_segment_fixed_size: 0
    .kernarg_segment_align: 8
    .kernarg_segment_size: 76
    .language:       OpenCL C
    .language_version:
      - 2
      - 0
    .max_flat_workgroup_size: 256
    .name:           _ZL33flash_attn_stream_k_fixup_uniformILi256ELi2ELi4EEvPfPK15HIP_vector_typeIfLj2EEiiiiiiS1_IjLj3EES5_S5_
    .private_segment_fixed_size: 0
    .sgpr_count:     22
    .sgpr_spill_count: 0
    .symbol:         _ZL33flash_attn_stream_k_fixup_uniformILi256ELi2ELi4EEvPfPK15HIP_vector_typeIfLj2EEiiiiiiS1_IjLj3EES5_S5_.kd
    .uniform_work_group_size: 1
    .uses_dynamic_stack: false
    .vgpr_count:     15
    .vgpr_spill_count: 0
    .wavefront_size: 32
    .workgroup_processor_mode: 1
  - .args:
      - .address_space:  global
        .offset:         0
        .size:           8
        .value_kind:     global_buffer
      - .address_space:  global
        .offset:         8
        .size:           8
        .value_kind:     global_buffer
      - .offset:         16
        .size:           4
        .value_kind:     by_value
      - .offset:         20
        .size:           4
        .value_kind:     by_value
      - .offset:         24
        .size:           4
        .value_kind:     by_value
      - .offset:         28
        .size:           4
        .value_kind:     by_value
      - .offset:         32
        .size:           12
        .value_kind:     by_value
      - .offset:         44
        .size:           12
        .value_kind:     by_value
      - .offset:         56
        .size:           12
        .value_kind:     by_value
      - .offset:         68
        .size:           12
        .value_kind:     by_value
      - .offset:         80
        .size:           4
        .value_kind:     hidden_block_count_x
      - .offset:         84
        .size:           4
        .value_kind:     hidden_block_count_y
      - .offset:         88
        .size:           4
        .value_kind:     hidden_block_count_z
      - .offset:         92
        .size:           2
        .value_kind:     hidden_group_size_x
      - .offset:         94
        .size:           2
        .value_kind:     hidden_group_size_y
      - .offset:         96
        .size:           2
        .value_kind:     hidden_group_size_z
      - .offset:         98
        .size:           2
        .value_kind:     hidden_remainder_x
      - .offset:         100
        .size:           2
        .value_kind:     hidden_remainder_y
      - .offset:         102
        .size:           2
        .value_kind:     hidden_remainder_z
      - .offset:         120
        .size:           8
        .value_kind:     hidden_global_offset_x
      - .offset:         128
        .size:           8
        .value_kind:     hidden_global_offset_y
      - .offset:         136
        .size:           8
        .value_kind:     hidden_global_offset_z
      - .offset:         144
        .size:           2
        .value_kind:     hidden_grid_dims
    .group_segment_fixed_size: 0
    .kernarg_segment_align: 8
    .kernarg_segment_size: 336
    .language:       OpenCL C
    .language_version:
      - 2
      - 0
    .max_flat_workgroup_size: 256
    .name:           _ZL33flash_attn_stream_k_fixup_generalILi256ELi2ELi4EEvPfPK15HIP_vector_typeIfLj2EEiiiiS1_IjLj3EES5_S5_S5_
    .private_segment_fixed_size: 0
    .sgpr_count:     34
    .sgpr_spill_count: 0
    .symbol:         _ZL33flash_attn_stream_k_fixup_generalILi256ELi2ELi4EEvPfPK15HIP_vector_typeIfLj2EEiiiiS1_IjLj3EES5_S5_S5_.kd
    .uniform_work_group_size: 1
    .uses_dynamic_stack: false
    .vgpr_count:     19
    .vgpr_spill_count: 0
    .wavefront_size: 32
    .workgroup_processor_mode: 1
  - .args:
      - .address_space:  global
        .offset:         0
        .size:           8
        .value_kind:     global_buffer
      - .address_space:  global
        .offset:         8
        .size:           8
        .value_kind:     global_buffer
      - .address_space:  global
        .offset:         16
        .size:           8
        .value_kind:     global_buffer
      - .address_space:  global
        .offset:         24
        .size:           8
        .value_kind:     global_buffer
      - .address_space:  global
        .offset:         32
        .size:           8
        .value_kind:     global_buffer
      - .address_space:  global
        .offset:         40
        .size:           8
        .value_kind:     global_buffer
      - .address_space:  global
        .offset:         48
        .size:           8
        .value_kind:     global_buffer
      - .address_space:  global
        .offset:         56
        .size:           8
        .value_kind:     global_buffer
      - .offset:         64
        .size:           4
        .value_kind:     by_value
      - .offset:         68
        .size:           4
        .value_kind:     by_value
      - .offset:         72
        .size:           4
        .value_kind:     by_value
      - .offset:         76
        .size:           4
        .value_kind:     by_value
      - .offset:         80
        .size:           4
        .value_kind:     by_value
      - .offset:         84
        .size:           4
        .value_kind:     by_value
      - .offset:         88
        .size:           4
        .value_kind:     by_value
      - .offset:         92
        .size:           12
        .value_kind:     by_value
      - .offset:         104
        .size:           4
        .value_kind:     by_value
      - .offset:         108
        .size:           4
        .value_kind:     by_value
      - .offset:         112
        .size:           4
        .value_kind:     by_value
      - .offset:         116
        .size:           4
        .value_kind:     by_value
      - .offset:         120
        .size:           4
        .value_kind:     by_value
      - .offset:         124
        .size:           4
        .value_kind:     by_value
      - .offset:         128
        .size:           4
        .value_kind:     by_value
      - .offset:         132
        .size:           4
        .value_kind:     by_value
      - .offset:         136
        .size:           4
        .value_kind:     by_value
      - .offset:         140
        .size:           4
        .value_kind:     by_value
      - .offset:         144
        .size:           4
        .value_kind:     by_value
      - .offset:         152
        .size:           8
        .value_kind:     by_value
      - .offset:         160
        .size:           4
        .value_kind:     by_value
      - .offset:         164
        .size:           4
        .value_kind:     by_value
      - .offset:         168
        .size:           8
        .value_kind:     by_value
      - .offset:         176
        .size:           4
        .value_kind:     by_value
      - .offset:         180
        .size:           4
        .value_kind:     by_value
      - .offset:         184
        .size:           4
        .value_kind:     by_value
      - .offset:         188
        .size:           4
        .value_kind:     by_value
      - .offset:         192
        .size:           4
        .value_kind:     by_value
      - .offset:         200
        .size:           8
        .value_kind:     by_value
      - .offset:         208
        .size:           4
        .value_kind:     hidden_block_count_x
      - .offset:         212
        .size:           4
        .value_kind:     hidden_block_count_y
      - .offset:         216
        .size:           4
        .value_kind:     hidden_block_count_z
      - .offset:         220
        .size:           2
        .value_kind:     hidden_group_size_x
      - .offset:         222
        .size:           2
        .value_kind:     hidden_group_size_y
      - .offset:         224
        .size:           2
        .value_kind:     hidden_group_size_z
      - .offset:         226
        .size:           2
        .value_kind:     hidden_remainder_x
      - .offset:         228
        .size:           2
        .value_kind:     hidden_remainder_y
      - .offset:         230
        .size:           2
        .value_kind:     hidden_remainder_z
      - .offset:         248
        .size:           8
        .value_kind:     hidden_global_offset_x
      - .offset:         256
        .size:           8
        .value_kind:     hidden_global_offset_y
      - .offset:         264
        .size:           8
        .value_kind:     hidden_global_offset_z
      - .offset:         272
        .size:           2
        .value_kind:     hidden_grid_dims
    .group_segment_fixed_size: 19200
    .kernarg_segment_align: 8
    .kernarg_segment_size: 464
    .language:       OpenCL C
    .language_version:
      - 2
      - 0
    .max_flat_workgroup_size: 128
    .name:           _ZL15flash_attn_tileILi256ELi256ELi1ELi4ELb0EEvPKcS1_S1_S1_S1_PKiPfP15HIP_vector_typeIfLj2EEffffjfiS5_IjLj3EEiiiiiiiiiiiliiliiiiil
    .private_segment_fixed_size: 0
    .sgpr_count:     44
    .sgpr_spill_count: 0
    .symbol:         _ZL15flash_attn_tileILi256ELi256ELi1ELi4ELb0EEvPKcS1_S1_S1_S1_PKiPfP15HIP_vector_typeIfLj2EEffffjfiS5_IjLj3EEiiiiiiiiiiiliiliiiiil.kd
    .uniform_work_group_size: 1
    .uses_dynamic_stack: false
    .vgpr_count:     226
    .vgpr_spill_count: 0
    .wavefront_size: 32
    .workgroup_processor_mode: 1
  - .args:
      - .address_space:  global
        .offset:         0
        .size:           8
        .value_kind:     global_buffer
      - .address_space:  global
        .offset:         8
        .size:           8
        .value_kind:     global_buffer
      - .offset:         16
        .size:           4
        .value_kind:     by_value
      - .offset:         20
        .size:           4
        .value_kind:     by_value
      - .offset:         24
        .size:           4
        .value_kind:     by_value
      - .offset:         28
        .size:           4
        .value_kind:     by_value
      - .offset:         32
        .size:           4
        .value_kind:     by_value
      - .offset:         36
        .size:           4
        .value_kind:     by_value
      - .offset:         40
        .size:           12
        .value_kind:     by_value
      - .offset:         52
        .size:           12
        .value_kind:     by_value
      - .offset:         64
        .size:           12
        .value_kind:     by_value
    .group_segment_fixed_size: 0
    .kernarg_segment_align: 8
    .kernarg_segment_size: 76
    .language:       OpenCL C
    .language_version:
      - 2
      - 0
    .max_flat_workgroup_size: 256
    .name:           _ZL33flash_attn_stream_k_fixup_uniformILi256ELi1ELi4EEvPfPK15HIP_vector_typeIfLj2EEiiiiiiS1_IjLj3EES5_S5_
    .private_segment_fixed_size: 0
    .sgpr_count:     22
    .sgpr_spill_count: 0
    .symbol:         _ZL33flash_attn_stream_k_fixup_uniformILi256ELi1ELi4EEvPfPK15HIP_vector_typeIfLj2EEiiiiiiS1_IjLj3EES5_S5_.kd
    .uniform_work_group_size: 1
    .uses_dynamic_stack: false
    .vgpr_count:     15
    .vgpr_spill_count: 0
    .wavefront_size: 32
    .workgroup_processor_mode: 1
  - .args:
      - .address_space:  global
        .offset:         0
        .size:           8
        .value_kind:     global_buffer
      - .address_space:  global
        .offset:         8
        .size:           8
        .value_kind:     global_buffer
      - .offset:         16
        .size:           4
        .value_kind:     by_value
      - .offset:         20
        .size:           4
        .value_kind:     by_value
      - .offset:         24
        .size:           4
        .value_kind:     by_value
      - .offset:         28
        .size:           4
        .value_kind:     by_value
      - .offset:         32
        .size:           12
        .value_kind:     by_value
      - .offset:         44
        .size:           12
        .value_kind:     by_value
      - .offset:         56
        .size:           12
        .value_kind:     by_value
      - .offset:         68
        .size:           12
        .value_kind:     by_value
      - .offset:         80
        .size:           4
        .value_kind:     hidden_block_count_x
      - .offset:         84
        .size:           4
        .value_kind:     hidden_block_count_y
      - .offset:         88
        .size:           4
        .value_kind:     hidden_block_count_z
      - .offset:         92
        .size:           2
        .value_kind:     hidden_group_size_x
      - .offset:         94
        .size:           2
        .value_kind:     hidden_group_size_y
      - .offset:         96
        .size:           2
        .value_kind:     hidden_group_size_z
      - .offset:         98
        .size:           2
        .value_kind:     hidden_remainder_x
      - .offset:         100
        .size:           2
        .value_kind:     hidden_remainder_y
      - .offset:         102
        .size:           2
        .value_kind:     hidden_remainder_z
      - .offset:         120
        .size:           8
        .value_kind:     hidden_global_offset_x
      - .offset:         128
        .size:           8
        .value_kind:     hidden_global_offset_y
      - .offset:         136
        .size:           8
        .value_kind:     hidden_global_offset_z
      - .offset:         144
        .size:           2
        .value_kind:     hidden_grid_dims
    .group_segment_fixed_size: 0
    .kernarg_segment_align: 8
    .kernarg_segment_size: 336
    .language:       OpenCL C
    .language_version:
      - 2
      - 0
    .max_flat_workgroup_size: 256
    .name:           _ZL33flash_attn_stream_k_fixup_generalILi256ELi1ELi4EEvPfPK15HIP_vector_typeIfLj2EEiiiiS1_IjLj3EES5_S5_S5_
    .private_segment_fixed_size: 0
    .sgpr_count:     34
    .sgpr_spill_count: 0
    .symbol:         _ZL33flash_attn_stream_k_fixup_generalILi256ELi1ELi4EEvPfPK15HIP_vector_typeIfLj2EEiiiiS1_IjLj3EES5_S5_S5_.kd
    .uniform_work_group_size: 1
    .uses_dynamic_stack: false
    .vgpr_count:     19
    .vgpr_spill_count: 0
    .wavefront_size: 32
    .workgroup_processor_mode: 1
  - .args:
      - .address_space:  global
        .offset:         0
        .size:           8
        .value_kind:     global_buffer
      - .address_space:  global
        .offset:         8
        .size:           8
        .value_kind:     global_buffer
      - .address_space:  global
        .offset:         16
        .size:           8
        .value_kind:     global_buffer
      - .address_space:  global
        .offset:         24
        .size:           8
        .value_kind:     global_buffer
      - .address_space:  global
        .offset:         32
        .size:           8
        .value_kind:     global_buffer
      - .address_space:  global
        .offset:         40
        .size:           8
        .value_kind:     global_buffer
      - .address_space:  global
        .offset:         48
        .size:           8
        .value_kind:     global_buffer
      - .address_space:  global
        .offset:         56
        .size:           8
        .value_kind:     global_buffer
      - .offset:         64
        .size:           4
        .value_kind:     by_value
      - .offset:         68
        .size:           4
        .value_kind:     by_value
      - .offset:         72
        .size:           4
        .value_kind:     by_value
      - .offset:         76
        .size:           4
        .value_kind:     by_value
      - .offset:         80
        .size:           4
        .value_kind:     by_value
      - .offset:         84
        .size:           4
        .value_kind:     by_value
      - .offset:         88
        .size:           4
        .value_kind:     by_value
      - .offset:         92
        .size:           12
        .value_kind:     by_value
      - .offset:         104
        .size:           4
        .value_kind:     by_value
      - .offset:         108
        .size:           4
        .value_kind:     by_value
      - .offset:         112
        .size:           4
        .value_kind:     by_value
      - .offset:         116
        .size:           4
        .value_kind:     by_value
      - .offset:         120
        .size:           4
        .value_kind:     by_value
      - .offset:         124
        .size:           4
        .value_kind:     by_value
      - .offset:         128
        .size:           4
        .value_kind:     by_value
      - .offset:         132
        .size:           4
        .value_kind:     by_value
      - .offset:         136
        .size:           4
        .value_kind:     by_value
      - .offset:         140
        .size:           4
        .value_kind:     by_value
      - .offset:         144
        .size:           4
        .value_kind:     by_value
      - .offset:         152
        .size:           8
        .value_kind:     by_value
      - .offset:         160
        .size:           4
        .value_kind:     by_value
      - .offset:         164
        .size:           4
        .value_kind:     by_value
      - .offset:         168
        .size:           8
        .value_kind:     by_value
      - .offset:         176
        .size:           4
        .value_kind:     by_value
      - .offset:         180
        .size:           4
        .value_kind:     by_value
      - .offset:         184
        .size:           4
        .value_kind:     by_value
      - .offset:         188
        .size:           4
        .value_kind:     by_value
      - .offset:         192
        .size:           4
        .value_kind:     by_value
      - .offset:         200
        .size:           8
        .value_kind:     by_value
      - .offset:         208
        .size:           4
        .value_kind:     hidden_block_count_x
      - .offset:         212
        .size:           4
        .value_kind:     hidden_block_count_y
      - .offset:         216
        .size:           4
        .value_kind:     hidden_block_count_z
      - .offset:         220
        .size:           2
        .value_kind:     hidden_group_size_x
      - .offset:         222
        .size:           2
        .value_kind:     hidden_group_size_y
      - .offset:         224
        .size:           2
        .value_kind:     hidden_group_size_z
      - .offset:         226
        .size:           2
        .value_kind:     hidden_remainder_x
      - .offset:         228
        .size:           2
        .value_kind:     hidden_remainder_y
      - .offset:         230
        .size:           2
        .value_kind:     hidden_remainder_z
      - .offset:         248
        .size:           8
        .value_kind:     hidden_global_offset_x
      - .offset:         256
        .size:           8
        .value_kind:     hidden_global_offset_y
      - .offset:         264
        .size:           8
        .value_kind:     hidden_global_offset_z
      - .offset:         272
        .size:           2
        .value_kind:     hidden_grid_dims
    .group_segment_fixed_size: 37888
    .kernarg_segment_align: 8
    .kernarg_segment_size: 464
    .language:       OpenCL C
    .language_version:
      - 2
      - 0
    .max_flat_workgroup_size: 256
    .name:           _ZL15flash_attn_tileILi256ELi256ELi16ELi2ELb0EEvPKcS1_S1_S1_S1_PKiPfP15HIP_vector_typeIfLj2EEffffjfiS5_IjLj3EEiiiiiiiiiiiliiliiiiil
    .private_segment_fixed_size: 0
    .sgpr_count:     54
    .sgpr_spill_count: 0
    .symbol:         _ZL15flash_attn_tileILi256ELi256ELi16ELi2ELb0EEvPKcS1_S1_S1_S1_PKiPfP15HIP_vector_typeIfLj2EEffffjfiS5_IjLj3EEiiiiiiiiiiiliiliiiiil.kd
    .uniform_work_group_size: 1
    .uses_dynamic_stack: false
    .vgpr_count:     238
    .vgpr_spill_count: 0
    .wavefront_size: 32
    .workgroup_processor_mode: 1
  - .args:
      - .actual_access:  read_only
        .address_space:  global
        .offset:         0
        .size:           8
        .value_kind:     global_buffer
      - .actual_access:  write_only
        .address_space:  global
        .offset:         8
        .size:           8
        .value_kind:     global_buffer
      - .offset:         16
        .size:           4
        .value_kind:     by_value
      - .offset:         20
        .size:           4
        .value_kind:     by_value
      - .offset:         24
        .size:           4
        .value_kind:     by_value
      - .offset:         32
        .size:           4
        .value_kind:     hidden_block_count_x
      - .offset:         36
        .size:           4
        .value_kind:     hidden_block_count_y
      - .offset:         40
        .size:           4
        .value_kind:     hidden_block_count_z
      - .offset:         44
        .size:           2
        .value_kind:     hidden_group_size_x
      - .offset:         46
        .size:           2
        .value_kind:     hidden_group_size_y
      - .offset:         48
        .size:           2
        .value_kind:     hidden_group_size_z
      - .offset:         50
        .size:           2
        .value_kind:     hidden_remainder_x
      - .offset:         52
        .size:           2
        .value_kind:     hidden_remainder_y
      - .offset:         54
        .size:           2
        .value_kind:     hidden_remainder_z
      - .offset:         72
        .size:           8
        .value_kind:     hidden_global_offset_x
      - .offset:         80
        .size:           8
        .value_kind:     hidden_global_offset_y
      - .offset:         88
        .size:           8
        .value_kind:     hidden_global_offset_z
      - .offset:         96
        .size:           2
        .value_kind:     hidden_grid_dims
    .group_segment_fixed_size: 128
    .kernarg_segment_align: 8
    .kernarg_segment_size: 288
    .language:       OpenCL C
    .language_version:
      - 2
      - 0
    .max_flat_workgroup_size: 128
    .name:           _ZL25flash_attn_mask_to_KV_maxILi16EEvPK7__half2Piiii
    .private_segment_fixed_size: 0
    .sgpr_count:     46
    .sgpr_spill_count: 0
    .symbol:         _ZL25flash_attn_mask_to_KV_maxILi16EEvPK7__half2Piiii.kd
    .uniform_work_group_size: 1
    .uses_dynamic_stack: false
    .vgpr_count:     9
    .vgpr_spill_count: 0
    .wavefront_size: 32
    .workgroup_processor_mode: 1
  - .args:
      - .address_space:  global
        .offset:         0
        .size:           8
        .value_kind:     global_buffer
      - .address_space:  global
        .offset:         8
        .size:           8
        .value_kind:     global_buffer
      - .offset:         16
        .size:           4
        .value_kind:     by_value
      - .offset:         20
        .size:           4
        .value_kind:     by_value
      - .offset:         24
        .size:           4
        .value_kind:     by_value
      - .offset:         28
        .size:           4
        .value_kind:     by_value
      - .offset:         32
        .size:           4
        .value_kind:     by_value
      - .offset:         36
        .size:           4
        .value_kind:     by_value
      - .offset:         40
        .size:           12
        .value_kind:     by_value
      - .offset:         52
        .size:           12
        .value_kind:     by_value
      - .offset:         64
        .size:           12
        .value_kind:     by_value
    .group_segment_fixed_size: 0
    .kernarg_segment_align: 8
    .kernarg_segment_size: 76
    .language:       OpenCL C
    .language_version:
      - 2
      - 0
    .max_flat_workgroup_size: 256
    .name:           _ZL33flash_attn_stream_k_fixup_uniformILi256ELi16ELi2EEvPfPK15HIP_vector_typeIfLj2EEiiiiiiS1_IjLj3EES5_S5_
    .private_segment_fixed_size: 0
    .sgpr_count:     22
    .sgpr_spill_count: 0
    .symbol:         _ZL33flash_attn_stream_k_fixup_uniformILi256ELi16ELi2EEvPfPK15HIP_vector_typeIfLj2EEiiiiiiS1_IjLj3EES5_S5_.kd
    .uniform_work_group_size: 1
    .uses_dynamic_stack: false
    .vgpr_count:     15
    .vgpr_spill_count: 0
    .wavefront_size: 32
    .workgroup_processor_mode: 1
  - .args:
      - .address_space:  global
        .offset:         0
        .size:           8
        .value_kind:     global_buffer
      - .address_space:  global
        .offset:         8
        .size:           8
        .value_kind:     global_buffer
      - .offset:         16
        .size:           4
        .value_kind:     by_value
      - .offset:         20
        .size:           4
        .value_kind:     by_value
      - .offset:         24
        .size:           4
        .value_kind:     by_value
      - .offset:         28
        .size:           4
        .value_kind:     by_value
      - .offset:         32
        .size:           12
        .value_kind:     by_value
      - .offset:         44
        .size:           12
        .value_kind:     by_value
      - .offset:         56
        .size:           12
        .value_kind:     by_value
      - .offset:         68
        .size:           12
        .value_kind:     by_value
      - .offset:         80
        .size:           4
        .value_kind:     hidden_block_count_x
      - .offset:         84
        .size:           4
        .value_kind:     hidden_block_count_y
      - .offset:         88
        .size:           4
        .value_kind:     hidden_block_count_z
      - .offset:         92
        .size:           2
        .value_kind:     hidden_group_size_x
      - .offset:         94
        .size:           2
        .value_kind:     hidden_group_size_y
      - .offset:         96
        .size:           2
        .value_kind:     hidden_group_size_z
      - .offset:         98
        .size:           2
        .value_kind:     hidden_remainder_x
      - .offset:         100
        .size:           2
        .value_kind:     hidden_remainder_y
      - .offset:         102
        .size:           2
        .value_kind:     hidden_remainder_z
      - .offset:         120
        .size:           8
        .value_kind:     hidden_global_offset_x
      - .offset:         128
        .size:           8
        .value_kind:     hidden_global_offset_y
      - .offset:         136
        .size:           8
        .value_kind:     hidden_global_offset_z
      - .offset:         144
        .size:           2
        .value_kind:     hidden_grid_dims
    .group_segment_fixed_size: 0
    .kernarg_segment_align: 8
    .kernarg_segment_size: 336
    .language:       OpenCL C
    .language_version:
      - 2
      - 0
    .max_flat_workgroup_size: 256
    .name:           _ZL33flash_attn_stream_k_fixup_generalILi256ELi16ELi2EEvPfPK15HIP_vector_typeIfLj2EEiiiiS1_IjLj3EES5_S5_S5_
    .private_segment_fixed_size: 0
    .sgpr_count:     34
    .sgpr_spill_count: 0
    .symbol:         _ZL33flash_attn_stream_k_fixup_generalILi256ELi16ELi2EEvPfPK15HIP_vector_typeIfLj2EEiiiiS1_IjLj3EES5_S5_S5_.kd
    .uniform_work_group_size: 1
    .uses_dynamic_stack: false
    .vgpr_count:     19
    .vgpr_spill_count: 0
    .wavefront_size: 32
    .workgroup_processor_mode: 1
  - .args:
      - .address_space:  global
        .offset:         0
        .size:           8
        .value_kind:     global_buffer
      - .address_space:  global
        .offset:         8
        .size:           8
        .value_kind:     global_buffer
      - .address_space:  global
        .offset:         16
        .size:           8
        .value_kind:     global_buffer
      - .address_space:  global
        .offset:         24
        .size:           8
        .value_kind:     global_buffer
      - .address_space:  global
        .offset:         32
        .size:           8
        .value_kind:     global_buffer
      - .address_space:  global
        .offset:         40
        .size:           8
        .value_kind:     global_buffer
      - .address_space:  global
        .offset:         48
        .size:           8
        .value_kind:     global_buffer
      - .address_space:  global
        .offset:         56
        .size:           8
        .value_kind:     global_buffer
      - .offset:         64
        .size:           4
        .value_kind:     by_value
      - .offset:         68
        .size:           4
        .value_kind:     by_value
      - .offset:         72
        .size:           4
        .value_kind:     by_value
      - .offset:         76
        .size:           4
        .value_kind:     by_value
      - .offset:         80
        .size:           4
        .value_kind:     by_value
      - .offset:         84
        .size:           4
        .value_kind:     by_value
      - .offset:         88
        .size:           4
        .value_kind:     by_value
      - .offset:         92
        .size:           12
        .value_kind:     by_value
      - .offset:         104
        .size:           4
        .value_kind:     by_value
      - .offset:         108
        .size:           4
        .value_kind:     by_value
      - .offset:         112
        .size:           4
        .value_kind:     by_value
      - .offset:         116
        .size:           4
        .value_kind:     by_value
      - .offset:         120
        .size:           4
        .value_kind:     by_value
      - .offset:         124
        .size:           4
        .value_kind:     by_value
      - .offset:         128
        .size:           4
        .value_kind:     by_value
      - .offset:         132
        .size:           4
        .value_kind:     by_value
      - .offset:         136
        .size:           4
        .value_kind:     by_value
      - .offset:         140
        .size:           4
        .value_kind:     by_value
      - .offset:         144
        .size:           4
        .value_kind:     by_value
      - .offset:         152
        .size:           8
        .value_kind:     by_value
      - .offset:         160
        .size:           4
        .value_kind:     by_value
      - .offset:         164
        .size:           4
        .value_kind:     by_value
      - .offset:         168
        .size:           8
        .value_kind:     by_value
      - .offset:         176
        .size:           4
        .value_kind:     by_value
      - .offset:         180
        .size:           4
        .value_kind:     by_value
      - .offset:         184
        .size:           4
        .value_kind:     by_value
      - .offset:         188
        .size:           4
        .value_kind:     by_value
      - .offset:         192
        .size:           4
        .value_kind:     by_value
      - .offset:         200
        .size:           8
        .value_kind:     by_value
      - .offset:         208
        .size:           4
        .value_kind:     hidden_block_count_x
      - .offset:         212
        .size:           4
        .value_kind:     hidden_block_count_y
      - .offset:         216
        .size:           4
        .value_kind:     hidden_block_count_z
      - .offset:         220
        .size:           2
        .value_kind:     hidden_group_size_x
      - .offset:         222
        .size:           2
        .value_kind:     hidden_group_size_y
      - .offset:         224
        .size:           2
        .value_kind:     hidden_group_size_z
      - .offset:         226
        .size:           2
        .value_kind:     hidden_remainder_x
      - .offset:         228
        .size:           2
        .value_kind:     hidden_remainder_y
      - .offset:         230
        .size:           2
        .value_kind:     hidden_remainder_z
      - .offset:         248
        .size:           8
        .value_kind:     hidden_global_offset_x
      - .offset:         256
        .size:           8
        .value_kind:     hidden_global_offset_y
      - .offset:         264
        .size:           8
        .value_kind:     hidden_global_offset_z
      - .offset:         272
        .size:           2
        .value_kind:     hidden_grid_dims
    .group_segment_fixed_size: 26112
    .kernarg_segment_align: 8
    .kernarg_segment_size: 464
    .language:       OpenCL C
    .language_version:
      - 2
      - 0
    .max_flat_workgroup_size: 256
    .name:           _ZL15flash_attn_tileILi256ELi256ELi8ELi2ELb0EEvPKcS1_S1_S1_S1_PKiPfP15HIP_vector_typeIfLj2EEffffjfiS5_IjLj3EEiiiiiiiiiiiliiliiiiil
    .private_segment_fixed_size: 0
    .sgpr_count:     42
    .sgpr_spill_count: 0
    .symbol:         _ZL15flash_attn_tileILi256ELi256ELi8ELi2ELb0EEvPKcS1_S1_S1_S1_PKiPfP15HIP_vector_typeIfLj2EEffffjfiS5_IjLj3EEiiiiiiiiiiiliiliiiiil.kd
    .uniform_work_group_size: 1
    .uses_dynamic_stack: false
    .vgpr_count:     137
    .vgpr_spill_count: 0
    .wavefront_size: 32
    .workgroup_processor_mode: 1
  - .args:
      - .address_space:  global
        .offset:         0
        .size:           8
        .value_kind:     global_buffer
      - .address_space:  global
        .offset:         8
        .size:           8
        .value_kind:     global_buffer
      - .offset:         16
        .size:           4
        .value_kind:     by_value
      - .offset:         20
        .size:           4
        .value_kind:     by_value
      - .offset:         24
        .size:           4
        .value_kind:     by_value
      - .offset:         28
        .size:           4
        .value_kind:     by_value
      - .offset:         32
        .size:           4
        .value_kind:     by_value
      - .offset:         36
        .size:           4
        .value_kind:     by_value
      - .offset:         40
        .size:           12
        .value_kind:     by_value
      - .offset:         52
        .size:           12
        .value_kind:     by_value
      - .offset:         64
        .size:           12
        .value_kind:     by_value
    .group_segment_fixed_size: 0
    .kernarg_segment_align: 8
    .kernarg_segment_size: 76
    .language:       OpenCL C
    .language_version:
      - 2
      - 0
    .max_flat_workgroup_size: 256
    .name:           _ZL33flash_attn_stream_k_fixup_uniformILi256ELi8ELi2EEvPfPK15HIP_vector_typeIfLj2EEiiiiiiS1_IjLj3EES5_S5_
    .private_segment_fixed_size: 0
    .sgpr_count:     22
    .sgpr_spill_count: 0
    .symbol:         _ZL33flash_attn_stream_k_fixup_uniformILi256ELi8ELi2EEvPfPK15HIP_vector_typeIfLj2EEiiiiiiS1_IjLj3EES5_S5_.kd
    .uniform_work_group_size: 1
    .uses_dynamic_stack: false
    .vgpr_count:     15
    .vgpr_spill_count: 0
    .wavefront_size: 32
    .workgroup_processor_mode: 1
  - .args:
      - .address_space:  global
        .offset:         0
        .size:           8
        .value_kind:     global_buffer
      - .address_space:  global
        .offset:         8
        .size:           8
        .value_kind:     global_buffer
      - .offset:         16
        .size:           4
        .value_kind:     by_value
      - .offset:         20
        .size:           4
        .value_kind:     by_value
      - .offset:         24
        .size:           4
        .value_kind:     by_value
      - .offset:         28
        .size:           4
        .value_kind:     by_value
      - .offset:         32
        .size:           12
        .value_kind:     by_value
      - .offset:         44
        .size:           12
        .value_kind:     by_value
      - .offset:         56
        .size:           12
        .value_kind:     by_value
      - .offset:         68
        .size:           12
        .value_kind:     by_value
      - .offset:         80
        .size:           4
        .value_kind:     hidden_block_count_x
      - .offset:         84
        .size:           4
        .value_kind:     hidden_block_count_y
      - .offset:         88
        .size:           4
        .value_kind:     hidden_block_count_z
      - .offset:         92
        .size:           2
        .value_kind:     hidden_group_size_x
      - .offset:         94
        .size:           2
        .value_kind:     hidden_group_size_y
      - .offset:         96
        .size:           2
        .value_kind:     hidden_group_size_z
      - .offset:         98
        .size:           2
        .value_kind:     hidden_remainder_x
      - .offset:         100
        .size:           2
        .value_kind:     hidden_remainder_y
      - .offset:         102
        .size:           2
        .value_kind:     hidden_remainder_z
      - .offset:         120
        .size:           8
        .value_kind:     hidden_global_offset_x
      - .offset:         128
        .size:           8
        .value_kind:     hidden_global_offset_y
      - .offset:         136
        .size:           8
        .value_kind:     hidden_global_offset_z
      - .offset:         144
        .size:           2
        .value_kind:     hidden_grid_dims
    .group_segment_fixed_size: 0
    .kernarg_segment_align: 8
    .kernarg_segment_size: 336
    .language:       OpenCL C
    .language_version:
      - 2
      - 0
    .max_flat_workgroup_size: 256
    .name:           _ZL33flash_attn_stream_k_fixup_generalILi256ELi8ELi2EEvPfPK15HIP_vector_typeIfLj2EEiiiiS1_IjLj3EES5_S5_S5_
    .private_segment_fixed_size: 0
    .sgpr_count:     34
    .sgpr_spill_count: 0
    .symbol:         _ZL33flash_attn_stream_k_fixup_generalILi256ELi8ELi2EEvPfPK15HIP_vector_typeIfLj2EEiiiiS1_IjLj3EES5_S5_S5_.kd
    .uniform_work_group_size: 1
    .uses_dynamic_stack: false
    .vgpr_count:     19
    .vgpr_spill_count: 0
    .wavefront_size: 32
    .workgroup_processor_mode: 1
  - .args:
      - .address_space:  global
        .offset:         0
        .size:           8
        .value_kind:     global_buffer
      - .address_space:  global
        .offset:         8
        .size:           8
        .value_kind:     global_buffer
      - .address_space:  global
        .offset:         16
        .size:           8
        .value_kind:     global_buffer
      - .address_space:  global
        .offset:         24
        .size:           8
        .value_kind:     global_buffer
      - .address_space:  global
        .offset:         32
        .size:           8
        .value_kind:     global_buffer
      - .address_space:  global
        .offset:         40
        .size:           8
        .value_kind:     global_buffer
      - .address_space:  global
        .offset:         48
        .size:           8
        .value_kind:     global_buffer
      - .address_space:  global
        .offset:         56
        .size:           8
        .value_kind:     global_buffer
      - .offset:         64
        .size:           4
        .value_kind:     by_value
      - .offset:         68
        .size:           4
        .value_kind:     by_value
      - .offset:         72
        .size:           4
        .value_kind:     by_value
      - .offset:         76
        .size:           4
        .value_kind:     by_value
      - .offset:         80
        .size:           4
        .value_kind:     by_value
      - .offset:         84
        .size:           4
        .value_kind:     by_value
      - .offset:         88
        .size:           4
        .value_kind:     by_value
      - .offset:         92
        .size:           12
        .value_kind:     by_value
      - .offset:         104
        .size:           4
        .value_kind:     by_value
      - .offset:         108
        .size:           4
        .value_kind:     by_value
      - .offset:         112
        .size:           4
        .value_kind:     by_value
      - .offset:         116
        .size:           4
        .value_kind:     by_value
      - .offset:         120
        .size:           4
        .value_kind:     by_value
      - .offset:         124
        .size:           4
        .value_kind:     by_value
      - .offset:         128
        .size:           4
        .value_kind:     by_value
      - .offset:         132
        .size:           4
        .value_kind:     by_value
      - .offset:         136
        .size:           4
        .value_kind:     by_value
      - .offset:         140
        .size:           4
        .value_kind:     by_value
      - .offset:         144
        .size:           4
        .value_kind:     by_value
      - .offset:         152
        .size:           8
        .value_kind:     by_value
      - .offset:         160
        .size:           4
        .value_kind:     by_value
      - .offset:         164
        .size:           4
        .value_kind:     by_value
      - .offset:         168
        .size:           8
        .value_kind:     by_value
      - .offset:         176
        .size:           4
        .value_kind:     by_value
      - .offset:         180
        .size:           4
        .value_kind:     by_value
      - .offset:         184
        .size:           4
        .value_kind:     by_value
      - .offset:         188
        .size:           4
        .value_kind:     by_value
      - .offset:         192
        .size:           4
        .value_kind:     by_value
      - .offset:         200
        .size:           8
        .value_kind:     by_value
      - .offset:         208
        .size:           4
        .value_kind:     hidden_block_count_x
      - .offset:         212
        .size:           4
        .value_kind:     hidden_block_count_y
      - .offset:         216
        .size:           4
        .value_kind:     hidden_block_count_z
      - .offset:         220
        .size:           2
        .value_kind:     hidden_group_size_x
      - .offset:         222
        .size:           2
        .value_kind:     hidden_group_size_y
      - .offset:         224
        .size:           2
        .value_kind:     hidden_group_size_z
      - .offset:         226
        .size:           2
        .value_kind:     hidden_remainder_x
      - .offset:         228
        .size:           2
        .value_kind:     hidden_remainder_y
      - .offset:         230
        .size:           2
        .value_kind:     hidden_remainder_z
      - .offset:         248
        .size:           8
        .value_kind:     hidden_global_offset_x
      - .offset:         256
        .size:           8
        .value_kind:     hidden_global_offset_y
      - .offset:         264
        .size:           8
        .value_kind:     hidden_global_offset_z
      - .offset:         272
        .size:           2
        .value_kind:     hidden_grid_dims
    .group_segment_fixed_size: 21504
    .kernarg_segment_align: 8
    .kernarg_segment_size: 464
    .language:       OpenCL C
    .language_version:
      - 2
      - 0
    .max_flat_workgroup_size: 128
    .name:           _ZL15flash_attn_tileILi256ELi256ELi4ELi2ELb0EEvPKcS1_S1_S1_S1_PKiPfP15HIP_vector_typeIfLj2EEffffjfiS5_IjLj3EEiiiiiiiiiiiliiliiiiil
    .private_segment_fixed_size: 0
    .sgpr_count:     44
    .sgpr_spill_count: 0
    .symbol:         _ZL15flash_attn_tileILi256ELi256ELi4ELi2ELb0EEvPKcS1_S1_S1_S1_PKiPfP15HIP_vector_typeIfLj2EEffffjfiS5_IjLj3EEiiiiiiiiiiiliiliiiiil.kd
    .uniform_work_group_size: 1
    .uses_dynamic_stack: false
    .vgpr_count:     234
    .vgpr_spill_count: 0
    .wavefront_size: 32
    .workgroup_processor_mode: 1
  - .args:
      - .address_space:  global
        .offset:         0
        .size:           8
        .value_kind:     global_buffer
      - .address_space:  global
        .offset:         8
        .size:           8
        .value_kind:     global_buffer
      - .offset:         16
        .size:           4
        .value_kind:     by_value
      - .offset:         20
        .size:           4
        .value_kind:     by_value
      - .offset:         24
        .size:           4
        .value_kind:     by_value
      - .offset:         28
        .size:           4
        .value_kind:     by_value
      - .offset:         32
        .size:           4
        .value_kind:     by_value
      - .offset:         36
        .size:           4
        .value_kind:     by_value
      - .offset:         40
        .size:           12
        .value_kind:     by_value
      - .offset:         52
        .size:           12
        .value_kind:     by_value
      - .offset:         64
        .size:           12
        .value_kind:     by_value
    .group_segment_fixed_size: 0
    .kernarg_segment_align: 8
    .kernarg_segment_size: 76
    .language:       OpenCL C
    .language_version:
      - 2
      - 0
    .max_flat_workgroup_size: 256
    .name:           _ZL33flash_attn_stream_k_fixup_uniformILi256ELi4ELi2EEvPfPK15HIP_vector_typeIfLj2EEiiiiiiS1_IjLj3EES5_S5_
    .private_segment_fixed_size: 0
    .sgpr_count:     22
    .sgpr_spill_count: 0
    .symbol:         _ZL33flash_attn_stream_k_fixup_uniformILi256ELi4ELi2EEvPfPK15HIP_vector_typeIfLj2EEiiiiiiS1_IjLj3EES5_S5_.kd
    .uniform_work_group_size: 1
    .uses_dynamic_stack: false
    .vgpr_count:     15
    .vgpr_spill_count: 0
    .wavefront_size: 32
    .workgroup_processor_mode: 1
  - .args:
      - .address_space:  global
        .offset:         0
        .size:           8
        .value_kind:     global_buffer
      - .address_space:  global
        .offset:         8
        .size:           8
        .value_kind:     global_buffer
      - .offset:         16
        .size:           4
        .value_kind:     by_value
      - .offset:         20
        .size:           4
        .value_kind:     by_value
      - .offset:         24
        .size:           4
        .value_kind:     by_value
      - .offset:         28
        .size:           4
        .value_kind:     by_value
      - .offset:         32
        .size:           12
        .value_kind:     by_value
      - .offset:         44
        .size:           12
        .value_kind:     by_value
      - .offset:         56
        .size:           12
        .value_kind:     by_value
      - .offset:         68
        .size:           12
        .value_kind:     by_value
      - .offset:         80
        .size:           4
        .value_kind:     hidden_block_count_x
      - .offset:         84
        .size:           4
        .value_kind:     hidden_block_count_y
      - .offset:         88
        .size:           4
        .value_kind:     hidden_block_count_z
      - .offset:         92
        .size:           2
        .value_kind:     hidden_group_size_x
      - .offset:         94
        .size:           2
        .value_kind:     hidden_group_size_y
      - .offset:         96
        .size:           2
        .value_kind:     hidden_group_size_z
      - .offset:         98
        .size:           2
        .value_kind:     hidden_remainder_x
      - .offset:         100
        .size:           2
        .value_kind:     hidden_remainder_y
      - .offset:         102
        .size:           2
        .value_kind:     hidden_remainder_z
      - .offset:         120
        .size:           8
        .value_kind:     hidden_global_offset_x
      - .offset:         128
        .size:           8
        .value_kind:     hidden_global_offset_y
      - .offset:         136
        .size:           8
        .value_kind:     hidden_global_offset_z
      - .offset:         144
        .size:           2
        .value_kind:     hidden_grid_dims
    .group_segment_fixed_size: 0
    .kernarg_segment_align: 8
    .kernarg_segment_size: 336
    .language:       OpenCL C
    .language_version:
      - 2
      - 0
    .max_flat_workgroup_size: 256
    .name:           _ZL33flash_attn_stream_k_fixup_generalILi256ELi4ELi2EEvPfPK15HIP_vector_typeIfLj2EEiiiiS1_IjLj3EES5_S5_S5_
    .private_segment_fixed_size: 0
    .sgpr_count:     34
    .sgpr_spill_count: 0
    .symbol:         _ZL33flash_attn_stream_k_fixup_generalILi256ELi4ELi2EEvPfPK15HIP_vector_typeIfLj2EEiiiiS1_IjLj3EES5_S5_S5_.kd
    .uniform_work_group_size: 1
    .uses_dynamic_stack: false
    .vgpr_count:     19
    .vgpr_spill_count: 0
    .wavefront_size: 32
    .workgroup_processor_mode: 1
  - .args:
      - .address_space:  global
        .offset:         0
        .size:           8
        .value_kind:     global_buffer
      - .address_space:  global
        .offset:         8
        .size:           8
        .value_kind:     global_buffer
      - .address_space:  global
        .offset:         16
        .size:           8
        .value_kind:     global_buffer
      - .address_space:  global
        .offset:         24
        .size:           8
        .value_kind:     global_buffer
      - .address_space:  global
        .offset:         32
        .size:           8
        .value_kind:     global_buffer
      - .address_space:  global
        .offset:         40
        .size:           8
        .value_kind:     global_buffer
      - .address_space:  global
        .offset:         48
        .size:           8
        .value_kind:     global_buffer
      - .address_space:  global
        .offset:         56
        .size:           8
        .value_kind:     global_buffer
      - .offset:         64
        .size:           4
        .value_kind:     by_value
      - .offset:         68
        .size:           4
        .value_kind:     by_value
      - .offset:         72
        .size:           4
        .value_kind:     by_value
      - .offset:         76
        .size:           4
        .value_kind:     by_value
      - .offset:         80
        .size:           4
        .value_kind:     by_value
      - .offset:         84
        .size:           4
        .value_kind:     by_value
      - .offset:         88
        .size:           4
        .value_kind:     by_value
      - .offset:         92
        .size:           12
        .value_kind:     by_value
      - .offset:         104
        .size:           4
        .value_kind:     by_value
      - .offset:         108
        .size:           4
        .value_kind:     by_value
      - .offset:         112
        .size:           4
        .value_kind:     by_value
      - .offset:         116
        .size:           4
        .value_kind:     by_value
      - .offset:         120
        .size:           4
        .value_kind:     by_value
      - .offset:         124
        .size:           4
        .value_kind:     by_value
      - .offset:         128
        .size:           4
        .value_kind:     by_value
      - .offset:         132
        .size:           4
        .value_kind:     by_value
      - .offset:         136
        .size:           4
        .value_kind:     by_value
      - .offset:         140
        .size:           4
        .value_kind:     by_value
      - .offset:         144
        .size:           4
        .value_kind:     by_value
      - .offset:         152
        .size:           8
        .value_kind:     by_value
      - .offset:         160
        .size:           4
        .value_kind:     by_value
      - .offset:         164
        .size:           4
        .value_kind:     by_value
      - .offset:         168
        .size:           8
        .value_kind:     by_value
      - .offset:         176
        .size:           4
        .value_kind:     by_value
      - .offset:         180
        .size:           4
        .value_kind:     by_value
      - .offset:         184
        .size:           4
        .value_kind:     by_value
      - .offset:         188
        .size:           4
        .value_kind:     by_value
      - .offset:         192
        .size:           4
        .value_kind:     by_value
      - .offset:         200
        .size:           8
        .value_kind:     by_value
      - .offset:         208
        .size:           4
        .value_kind:     hidden_block_count_x
      - .offset:         212
        .size:           4
        .value_kind:     hidden_block_count_y
      - .offset:         216
        .size:           4
        .value_kind:     hidden_block_count_z
      - .offset:         220
        .size:           2
        .value_kind:     hidden_group_size_x
      - .offset:         222
        .size:           2
        .value_kind:     hidden_group_size_y
      - .offset:         224
        .size:           2
        .value_kind:     hidden_group_size_z
      - .offset:         226
        .size:           2
        .value_kind:     hidden_remainder_x
      - .offset:         228
        .size:           2
        .value_kind:     hidden_remainder_y
      - .offset:         230
        .size:           2
        .value_kind:     hidden_remainder_z
      - .offset:         248
        .size:           8
        .value_kind:     hidden_global_offset_x
      - .offset:         256
        .size:           8
        .value_kind:     hidden_global_offset_y
      - .offset:         264
        .size:           8
        .value_kind:     hidden_global_offset_z
      - .offset:         272
        .size:           2
        .value_kind:     hidden_grid_dims
    .group_segment_fixed_size: 19200
    .kernarg_segment_align: 8
    .kernarg_segment_size: 464
    .language:       OpenCL C
    .language_version:
      - 2
      - 0
    .max_flat_workgroup_size: 128
    .name:           _ZL15flash_attn_tileILi256ELi256ELi2ELi2ELb0EEvPKcS1_S1_S1_S1_PKiPfP15HIP_vector_typeIfLj2EEffffjfiS5_IjLj3EEiiiiiiiiiiiliiliiiiil
    .private_segment_fixed_size: 0
    .sgpr_count:     44
    .sgpr_spill_count: 0
    .symbol:         _ZL15flash_attn_tileILi256ELi256ELi2ELi2ELb0EEvPKcS1_S1_S1_S1_PKiPfP15HIP_vector_typeIfLj2EEffffjfiS5_IjLj3EEiiiiiiiiiiiliiliiiiil.kd
    .uniform_work_group_size: 1
    .uses_dynamic_stack: false
    .vgpr_count:     226
    .vgpr_spill_count: 0
    .wavefront_size: 32
    .workgroup_processor_mode: 1
  - .args:
      - .address_space:  global
        .offset:         0
        .size:           8
        .value_kind:     global_buffer
      - .address_space:  global
        .offset:         8
        .size:           8
        .value_kind:     global_buffer
      - .offset:         16
        .size:           4
        .value_kind:     by_value
      - .offset:         20
        .size:           4
        .value_kind:     by_value
      - .offset:         24
        .size:           4
        .value_kind:     by_value
      - .offset:         28
        .size:           4
        .value_kind:     by_value
      - .offset:         32
        .size:           4
        .value_kind:     by_value
      - .offset:         36
        .size:           4
        .value_kind:     by_value
      - .offset:         40
        .size:           12
        .value_kind:     by_value
      - .offset:         52
        .size:           12
        .value_kind:     by_value
      - .offset:         64
        .size:           12
        .value_kind:     by_value
    .group_segment_fixed_size: 0
    .kernarg_segment_align: 8
    .kernarg_segment_size: 76
    .language:       OpenCL C
    .language_version:
      - 2
      - 0
    .max_flat_workgroup_size: 256
    .name:           _ZL33flash_attn_stream_k_fixup_uniformILi256ELi2ELi2EEvPfPK15HIP_vector_typeIfLj2EEiiiiiiS1_IjLj3EES5_S5_
    .private_segment_fixed_size: 0
    .sgpr_count:     22
    .sgpr_spill_count: 0
    .symbol:         _ZL33flash_attn_stream_k_fixup_uniformILi256ELi2ELi2EEvPfPK15HIP_vector_typeIfLj2EEiiiiiiS1_IjLj3EES5_S5_.kd
    .uniform_work_group_size: 1
    .uses_dynamic_stack: false
    .vgpr_count:     15
    .vgpr_spill_count: 0
    .wavefront_size: 32
    .workgroup_processor_mode: 1
  - .args:
      - .address_space:  global
        .offset:         0
        .size:           8
        .value_kind:     global_buffer
      - .address_space:  global
        .offset:         8
        .size:           8
        .value_kind:     global_buffer
      - .offset:         16
        .size:           4
        .value_kind:     by_value
      - .offset:         20
        .size:           4
        .value_kind:     by_value
      - .offset:         24
        .size:           4
        .value_kind:     by_value
      - .offset:         28
        .size:           4
        .value_kind:     by_value
      - .offset:         32
        .size:           12
        .value_kind:     by_value
      - .offset:         44
        .size:           12
        .value_kind:     by_value
      - .offset:         56
        .size:           12
        .value_kind:     by_value
      - .offset:         68
        .size:           12
        .value_kind:     by_value
      - .offset:         80
        .size:           4
        .value_kind:     hidden_block_count_x
      - .offset:         84
        .size:           4
        .value_kind:     hidden_block_count_y
      - .offset:         88
        .size:           4
        .value_kind:     hidden_block_count_z
      - .offset:         92
        .size:           2
        .value_kind:     hidden_group_size_x
      - .offset:         94
        .size:           2
        .value_kind:     hidden_group_size_y
      - .offset:         96
        .size:           2
        .value_kind:     hidden_group_size_z
      - .offset:         98
        .size:           2
        .value_kind:     hidden_remainder_x
      - .offset:         100
        .size:           2
        .value_kind:     hidden_remainder_y
      - .offset:         102
        .size:           2
        .value_kind:     hidden_remainder_z
      - .offset:         120
        .size:           8
        .value_kind:     hidden_global_offset_x
      - .offset:         128
        .size:           8
        .value_kind:     hidden_global_offset_y
      - .offset:         136
        .size:           8
        .value_kind:     hidden_global_offset_z
      - .offset:         144
        .size:           2
        .value_kind:     hidden_grid_dims
    .group_segment_fixed_size: 0
    .kernarg_segment_align: 8
    .kernarg_segment_size: 336
    .language:       OpenCL C
    .language_version:
      - 2
      - 0
    .max_flat_workgroup_size: 256
    .name:           _ZL33flash_attn_stream_k_fixup_generalILi256ELi2ELi2EEvPfPK15HIP_vector_typeIfLj2EEiiiiS1_IjLj3EES5_S5_S5_
    .private_segment_fixed_size: 0
    .sgpr_count:     34
    .sgpr_spill_count: 0
    .symbol:         _ZL33flash_attn_stream_k_fixup_generalILi256ELi2ELi2EEvPfPK15HIP_vector_typeIfLj2EEiiiiS1_IjLj3EES5_S5_S5_.kd
    .uniform_work_group_size: 1
    .uses_dynamic_stack: false
    .vgpr_count:     19
    .vgpr_spill_count: 0
    .wavefront_size: 32
    .workgroup_processor_mode: 1
  - .args:
      - .address_space:  global
        .offset:         0
        .size:           8
        .value_kind:     global_buffer
      - .address_space:  global
        .offset:         8
        .size:           8
        .value_kind:     global_buffer
      - .address_space:  global
        .offset:         16
        .size:           8
        .value_kind:     global_buffer
      - .address_space:  global
        .offset:         24
        .size:           8
        .value_kind:     global_buffer
      - .address_space:  global
        .offset:         32
        .size:           8
        .value_kind:     global_buffer
      - .address_space:  global
        .offset:         40
        .size:           8
        .value_kind:     global_buffer
      - .address_space:  global
        .offset:         48
        .size:           8
        .value_kind:     global_buffer
      - .address_space:  global
        .offset:         56
        .size:           8
        .value_kind:     global_buffer
      - .offset:         64
        .size:           4
        .value_kind:     by_value
      - .offset:         68
        .size:           4
        .value_kind:     by_value
      - .offset:         72
        .size:           4
        .value_kind:     by_value
      - .offset:         76
        .size:           4
        .value_kind:     by_value
      - .offset:         80
        .size:           4
        .value_kind:     by_value
      - .offset:         84
        .size:           4
        .value_kind:     by_value
      - .offset:         88
        .size:           4
        .value_kind:     by_value
      - .offset:         92
        .size:           12
        .value_kind:     by_value
      - .offset:         104
        .size:           4
        .value_kind:     by_value
      - .offset:         108
        .size:           4
        .value_kind:     by_value
      - .offset:         112
        .size:           4
        .value_kind:     by_value
      - .offset:         116
        .size:           4
        .value_kind:     by_value
      - .offset:         120
        .size:           4
        .value_kind:     by_value
      - .offset:         124
        .size:           4
        .value_kind:     by_value
      - .offset:         128
        .size:           4
        .value_kind:     by_value
      - .offset:         132
        .size:           4
        .value_kind:     by_value
      - .offset:         136
        .size:           4
        .value_kind:     by_value
      - .offset:         140
        .size:           4
        .value_kind:     by_value
      - .offset:         144
        .size:           4
        .value_kind:     by_value
      - .offset:         152
        .size:           8
        .value_kind:     by_value
      - .offset:         160
        .size:           4
        .value_kind:     by_value
      - .offset:         164
        .size:           4
        .value_kind:     by_value
      - .offset:         168
        .size:           8
        .value_kind:     by_value
      - .offset:         176
        .size:           4
        .value_kind:     by_value
      - .offset:         180
        .size:           4
        .value_kind:     by_value
      - .offset:         184
        .size:           4
        .value_kind:     by_value
      - .offset:         188
        .size:           4
        .value_kind:     by_value
      - .offset:         192
        .size:           4
        .value_kind:     by_value
      - .offset:         200
        .size:           8
        .value_kind:     by_value
      - .offset:         208
        .size:           4
        .value_kind:     hidden_block_count_x
      - .offset:         212
        .size:           4
        .value_kind:     hidden_block_count_y
      - .offset:         216
        .size:           4
        .value_kind:     hidden_block_count_z
      - .offset:         220
        .size:           2
        .value_kind:     hidden_group_size_x
      - .offset:         222
        .size:           2
        .value_kind:     hidden_group_size_y
      - .offset:         224
        .size:           2
        .value_kind:     hidden_group_size_z
      - .offset:         226
        .size:           2
        .value_kind:     hidden_remainder_x
      - .offset:         228
        .size:           2
        .value_kind:     hidden_remainder_y
      - .offset:         230
        .size:           2
        .value_kind:     hidden_remainder_z
      - .offset:         248
        .size:           8
        .value_kind:     hidden_global_offset_x
      - .offset:         256
        .size:           8
        .value_kind:     hidden_global_offset_y
      - .offset:         264
        .size:           8
        .value_kind:     hidden_global_offset_z
      - .offset:         272
        .size:           2
        .value_kind:     hidden_grid_dims
    .group_segment_fixed_size: 5760
    .kernarg_segment_align: 8
    .kernarg_segment_size: 464
    .language:       OpenCL C
    .language_version:
      - 2
      - 0
    .max_flat_workgroup_size: 64
    .name:           _ZL15flash_attn_tileILi256ELi256ELi1ELi2ELb0EEvPKcS1_S1_S1_S1_PKiPfP15HIP_vector_typeIfLj2EEffffjfiS5_IjLj3EEiiiiiiiiiiiliiliiiiil
    .private_segment_fixed_size: 0
    .sgpr_count:     42
    .sgpr_spill_count: 0
    .symbol:         _ZL15flash_attn_tileILi256ELi256ELi1ELi2ELb0EEvPKcS1_S1_S1_S1_PKiPfP15HIP_vector_typeIfLj2EEffffjfiS5_IjLj3EEiiiiiiiiiiiliiliiiiil.kd
    .uniform_work_group_size: 1
    .uses_dynamic_stack: false
    .vgpr_count:     121
    .vgpr_spill_count: 0
    .wavefront_size: 32
    .workgroup_processor_mode: 1
  - .args:
      - .address_space:  global
        .offset:         0
        .size:           8
        .value_kind:     global_buffer
      - .address_space:  global
        .offset:         8
        .size:           8
        .value_kind:     global_buffer
      - .offset:         16
        .size:           4
        .value_kind:     by_value
      - .offset:         20
        .size:           4
        .value_kind:     by_value
      - .offset:         24
        .size:           4
        .value_kind:     by_value
      - .offset:         28
        .size:           4
        .value_kind:     by_value
      - .offset:         32
        .size:           4
        .value_kind:     by_value
      - .offset:         36
        .size:           4
        .value_kind:     by_value
      - .offset:         40
        .size:           12
        .value_kind:     by_value
      - .offset:         52
        .size:           12
        .value_kind:     by_value
      - .offset:         64
        .size:           12
        .value_kind:     by_value
    .group_segment_fixed_size: 0
    .kernarg_segment_align: 8
    .kernarg_segment_size: 76
    .language:       OpenCL C
    .language_version:
      - 2
      - 0
    .max_flat_workgroup_size: 256
    .name:           _ZL33flash_attn_stream_k_fixup_uniformILi256ELi1ELi2EEvPfPK15HIP_vector_typeIfLj2EEiiiiiiS1_IjLj3EES5_S5_
    .private_segment_fixed_size: 0
    .sgpr_count:     22
    .sgpr_spill_count: 0
    .symbol:         _ZL33flash_attn_stream_k_fixup_uniformILi256ELi1ELi2EEvPfPK15HIP_vector_typeIfLj2EEiiiiiiS1_IjLj3EES5_S5_.kd
    .uniform_work_group_size: 1
    .uses_dynamic_stack: false
    .vgpr_count:     15
    .vgpr_spill_count: 0
    .wavefront_size: 32
    .workgroup_processor_mode: 1
  - .args:
      - .address_space:  global
        .offset:         0
        .size:           8
        .value_kind:     global_buffer
      - .address_space:  global
        .offset:         8
        .size:           8
        .value_kind:     global_buffer
      - .offset:         16
        .size:           4
        .value_kind:     by_value
      - .offset:         20
        .size:           4
        .value_kind:     by_value
      - .offset:         24
        .size:           4
        .value_kind:     by_value
      - .offset:         28
        .size:           4
        .value_kind:     by_value
      - .offset:         32
        .size:           12
        .value_kind:     by_value
      - .offset:         44
        .size:           12
        .value_kind:     by_value
      - .offset:         56
        .size:           12
        .value_kind:     by_value
      - .offset:         68
        .size:           12
        .value_kind:     by_value
      - .offset:         80
        .size:           4
        .value_kind:     hidden_block_count_x
      - .offset:         84
        .size:           4
        .value_kind:     hidden_block_count_y
      - .offset:         88
        .size:           4
        .value_kind:     hidden_block_count_z
      - .offset:         92
        .size:           2
        .value_kind:     hidden_group_size_x
      - .offset:         94
        .size:           2
        .value_kind:     hidden_group_size_y
      - .offset:         96
        .size:           2
        .value_kind:     hidden_group_size_z
      - .offset:         98
        .size:           2
        .value_kind:     hidden_remainder_x
      - .offset:         100
        .size:           2
        .value_kind:     hidden_remainder_y
      - .offset:         102
        .size:           2
        .value_kind:     hidden_remainder_z
      - .offset:         120
        .size:           8
        .value_kind:     hidden_global_offset_x
      - .offset:         128
        .size:           8
        .value_kind:     hidden_global_offset_y
      - .offset:         136
        .size:           8
        .value_kind:     hidden_global_offset_z
      - .offset:         144
        .size:           2
        .value_kind:     hidden_grid_dims
    .group_segment_fixed_size: 0
    .kernarg_segment_align: 8
    .kernarg_segment_size: 336
    .language:       OpenCL C
    .language_version:
      - 2
      - 0
    .max_flat_workgroup_size: 256
    .name:           _ZL33flash_attn_stream_k_fixup_generalILi256ELi1ELi2EEvPfPK15HIP_vector_typeIfLj2EEiiiiS1_IjLj3EES5_S5_S5_
    .private_segment_fixed_size: 0
    .sgpr_count:     34
    .sgpr_spill_count: 0
    .symbol:         _ZL33flash_attn_stream_k_fixup_generalILi256ELi1ELi2EEvPfPK15HIP_vector_typeIfLj2EEiiiiS1_IjLj3EES5_S5_S5_.kd
    .uniform_work_group_size: 1
    .uses_dynamic_stack: false
    .vgpr_count:     19
    .vgpr_spill_count: 0
    .wavefront_size: 32
    .workgroup_processor_mode: 1
  - .args:
      - .address_space:  global
        .offset:         0
        .size:           8
        .value_kind:     global_buffer
      - .address_space:  global
        .offset:         8
        .size:           8
        .value_kind:     global_buffer
      - .address_space:  global
        .offset:         16
        .size:           8
        .value_kind:     global_buffer
      - .address_space:  global
        .offset:         24
        .size:           8
        .value_kind:     global_buffer
      - .address_space:  global
        .offset:         32
        .size:           8
        .value_kind:     global_buffer
      - .address_space:  global
        .offset:         40
        .size:           8
        .value_kind:     global_buffer
      - .address_space:  global
        .offset:         48
        .size:           8
        .value_kind:     global_buffer
      - .address_space:  global
        .offset:         56
        .size:           8
        .value_kind:     global_buffer
      - .offset:         64
        .size:           4
        .value_kind:     by_value
      - .offset:         68
        .size:           4
        .value_kind:     by_value
      - .offset:         72
        .size:           4
        .value_kind:     by_value
      - .offset:         76
        .size:           4
        .value_kind:     by_value
      - .offset:         80
        .size:           4
        .value_kind:     by_value
      - .offset:         84
        .size:           4
        .value_kind:     by_value
      - .offset:         88
        .size:           4
        .value_kind:     by_value
      - .offset:         92
        .size:           12
        .value_kind:     by_value
      - .offset:         104
        .size:           4
        .value_kind:     by_value
      - .offset:         108
        .size:           4
        .value_kind:     by_value
      - .offset:         112
        .size:           4
        .value_kind:     by_value
      - .offset:         116
        .size:           4
        .value_kind:     by_value
      - .offset:         120
        .size:           4
        .value_kind:     by_value
      - .offset:         124
        .size:           4
        .value_kind:     by_value
      - .offset:         128
        .size:           4
        .value_kind:     by_value
      - .offset:         132
        .size:           4
        .value_kind:     by_value
      - .offset:         136
        .size:           4
        .value_kind:     by_value
      - .offset:         140
        .size:           4
        .value_kind:     by_value
      - .offset:         144
        .size:           4
        .value_kind:     by_value
      - .offset:         152
        .size:           8
        .value_kind:     by_value
      - .offset:         160
        .size:           4
        .value_kind:     by_value
      - .offset:         164
        .size:           4
        .value_kind:     by_value
      - .offset:         168
        .size:           8
        .value_kind:     by_value
      - .offset:         176
        .size:           4
        .value_kind:     by_value
      - .offset:         180
        .size:           4
        .value_kind:     by_value
      - .offset:         184
        .size:           4
        .value_kind:     by_value
      - .offset:         188
        .size:           4
        .value_kind:     by_value
      - .offset:         192
        .size:           4
        .value_kind:     by_value
      - .offset:         200
        .size:           8
        .value_kind:     by_value
      - .offset:         208
        .size:           4
        .value_kind:     hidden_block_count_x
      - .offset:         212
        .size:           4
        .value_kind:     hidden_block_count_y
      - .offset:         216
        .size:           4
        .value_kind:     hidden_block_count_z
      - .offset:         220
        .size:           2
        .value_kind:     hidden_group_size_x
      - .offset:         222
        .size:           2
        .value_kind:     hidden_group_size_y
      - .offset:         224
        .size:           2
        .value_kind:     hidden_group_size_z
      - .offset:         226
        .size:           2
        .value_kind:     hidden_remainder_x
      - .offset:         228
        .size:           2
        .value_kind:     hidden_remainder_y
      - .offset:         230
        .size:           2
        .value_kind:     hidden_remainder_z
      - .offset:         248
        .size:           8
        .value_kind:     hidden_global_offset_x
      - .offset:         256
        .size:           8
        .value_kind:     hidden_global_offset_y
      - .offset:         264
        .size:           8
        .value_kind:     hidden_global_offset_z
      - .offset:         272
        .size:           2
        .value_kind:     hidden_grid_dims
    .group_segment_fixed_size: 41984
    .kernarg_segment_align: 8
    .kernarg_segment_size: 464
    .language:       OpenCL C
    .language_version:
      - 2
      - 0
    .max_flat_workgroup_size: 256
    .name:           _ZL15flash_attn_tileILi256ELi256ELi32ELi1ELb0EEvPKcS1_S1_S1_S1_PKiPfP15HIP_vector_typeIfLj2EEffffjfiS5_IjLj3EEiiiiiiiiiiiliiliiiiil
    .private_segment_fixed_size: 32
    .sgpr_count:     52
    .sgpr_spill_count: 0
    .symbol:         _ZL15flash_attn_tileILi256ELi256ELi32ELi1ELb0EEvPKcS1_S1_S1_S1_PKiPfP15HIP_vector_typeIfLj2EEffffjfiS5_IjLj3EEiiiiiiiiiiiliiliiiiil.kd
    .uniform_work_group_size: 1
    .uses_dynamic_stack: false
    .vgpr_count:     232
    .vgpr_spill_count: 0
    .wavefront_size: 32
    .workgroup_processor_mode: 1
  - .args:
      - .actual_access:  read_only
        .address_space:  global
        .offset:         0
        .size:           8
        .value_kind:     global_buffer
      - .actual_access:  write_only
        .address_space:  global
        .offset:         8
        .size:           8
        .value_kind:     global_buffer
      - .offset:         16
        .size:           4
        .value_kind:     by_value
      - .offset:         20
        .size:           4
        .value_kind:     by_value
      - .offset:         24
        .size:           4
        .value_kind:     by_value
      - .offset:         32
        .size:           4
        .value_kind:     hidden_block_count_x
      - .offset:         36
        .size:           4
        .value_kind:     hidden_block_count_y
      - .offset:         40
        .size:           4
        .value_kind:     hidden_block_count_z
      - .offset:         44
        .size:           2
        .value_kind:     hidden_group_size_x
      - .offset:         46
        .size:           2
        .value_kind:     hidden_group_size_y
      - .offset:         48
        .size:           2
        .value_kind:     hidden_group_size_z
      - .offset:         50
        .size:           2
        .value_kind:     hidden_remainder_x
      - .offset:         52
        .size:           2
        .value_kind:     hidden_remainder_y
      - .offset:         54
        .size:           2
        .value_kind:     hidden_remainder_z
      - .offset:         72
        .size:           8
        .value_kind:     hidden_global_offset_x
      - .offset:         80
        .size:           8
        .value_kind:     hidden_global_offset_y
      - .offset:         88
        .size:           8
        .value_kind:     hidden_global_offset_z
      - .offset:         96
        .size:           2
        .value_kind:     hidden_grid_dims
    .group_segment_fixed_size: 128
    .kernarg_segment_align: 8
    .kernarg_segment_size: 288
    .language:       OpenCL C
    .language_version:
      - 2
      - 0
    .max_flat_workgroup_size: 128
    .name:           _ZL25flash_attn_mask_to_KV_maxILi32EEvPK7__half2Piiii
    .private_segment_fixed_size: 0
    .sgpr_count:     78
    .sgpr_spill_count: 0
    .symbol:         _ZL25flash_attn_mask_to_KV_maxILi32EEvPK7__half2Piiii.kd
    .uniform_work_group_size: 1
    .uses_dynamic_stack: false
    .vgpr_count:     9
    .vgpr_spill_count: 0
    .wavefront_size: 32
    .workgroup_processor_mode: 1
  - .args:
      - .address_space:  global
        .offset:         0
        .size:           8
        .value_kind:     global_buffer
      - .address_space:  global
        .offset:         8
        .size:           8
        .value_kind:     global_buffer
      - .offset:         16
        .size:           4
        .value_kind:     by_value
      - .offset:         20
        .size:           4
        .value_kind:     by_value
      - .offset:         24
        .size:           4
        .value_kind:     by_value
      - .offset:         28
        .size:           4
        .value_kind:     by_value
      - .offset:         32
        .size:           4
        .value_kind:     by_value
      - .offset:         36
        .size:           4
        .value_kind:     by_value
      - .offset:         40
        .size:           12
        .value_kind:     by_value
      - .offset:         52
        .size:           12
        .value_kind:     by_value
      - .offset:         64
        .size:           12
        .value_kind:     by_value
    .group_segment_fixed_size: 0
    .kernarg_segment_align: 8
    .kernarg_segment_size: 76
    .language:       OpenCL C
    .language_version:
      - 2
      - 0
    .max_flat_workgroup_size: 256
    .name:           _ZL33flash_attn_stream_k_fixup_uniformILi256ELi32ELi1EEvPfPK15HIP_vector_typeIfLj2EEiiiiiiS1_IjLj3EES5_S5_
    .private_segment_fixed_size: 0
    .sgpr_count:     22
    .sgpr_spill_count: 0
    .symbol:         _ZL33flash_attn_stream_k_fixup_uniformILi256ELi32ELi1EEvPfPK15HIP_vector_typeIfLj2EEiiiiiiS1_IjLj3EES5_S5_.kd
    .uniform_work_group_size: 1
    .uses_dynamic_stack: false
    .vgpr_count:     15
    .vgpr_spill_count: 0
    .wavefront_size: 32
    .workgroup_processor_mode: 1
  - .args:
      - .address_space:  global
        .offset:         0
        .size:           8
        .value_kind:     global_buffer
      - .address_space:  global
        .offset:         8
        .size:           8
        .value_kind:     global_buffer
      - .offset:         16
        .size:           4
        .value_kind:     by_value
      - .offset:         20
        .size:           4
        .value_kind:     by_value
      - .offset:         24
        .size:           4
        .value_kind:     by_value
      - .offset:         28
        .size:           4
        .value_kind:     by_value
      - .offset:         32
        .size:           12
        .value_kind:     by_value
      - .offset:         44
        .size:           12
        .value_kind:     by_value
      - .offset:         56
        .size:           12
        .value_kind:     by_value
      - .offset:         68
        .size:           12
        .value_kind:     by_value
      - .offset:         80
        .size:           4
        .value_kind:     hidden_block_count_x
      - .offset:         84
        .size:           4
        .value_kind:     hidden_block_count_y
      - .offset:         88
        .size:           4
        .value_kind:     hidden_block_count_z
      - .offset:         92
        .size:           2
        .value_kind:     hidden_group_size_x
      - .offset:         94
        .size:           2
        .value_kind:     hidden_group_size_y
      - .offset:         96
        .size:           2
        .value_kind:     hidden_group_size_z
      - .offset:         98
        .size:           2
        .value_kind:     hidden_remainder_x
      - .offset:         100
        .size:           2
        .value_kind:     hidden_remainder_y
      - .offset:         102
        .size:           2
        .value_kind:     hidden_remainder_z
      - .offset:         120
        .size:           8
        .value_kind:     hidden_global_offset_x
      - .offset:         128
        .size:           8
        .value_kind:     hidden_global_offset_y
      - .offset:         136
        .size:           8
        .value_kind:     hidden_global_offset_z
      - .offset:         144
        .size:           2
        .value_kind:     hidden_grid_dims
    .group_segment_fixed_size: 0
    .kernarg_segment_align: 8
    .kernarg_segment_size: 336
    .language:       OpenCL C
    .language_version:
      - 2
      - 0
    .max_flat_workgroup_size: 256
    .name:           _ZL33flash_attn_stream_k_fixup_generalILi256ELi32ELi1EEvPfPK15HIP_vector_typeIfLj2EEiiiiS1_IjLj3EES5_S5_S5_
    .private_segment_fixed_size: 0
    .sgpr_count:     34
    .sgpr_spill_count: 0
    .symbol:         _ZL33flash_attn_stream_k_fixup_generalILi256ELi32ELi1EEvPfPK15HIP_vector_typeIfLj2EEiiiiS1_IjLj3EES5_S5_S5_.kd
    .uniform_work_group_size: 1
    .uses_dynamic_stack: false
    .vgpr_count:     19
    .vgpr_spill_count: 0
    .wavefront_size: 32
    .workgroup_processor_mode: 1
  - .args:
      - .address_space:  global
        .offset:         0
        .size:           8
        .value_kind:     global_buffer
      - .address_space:  global
        .offset:         8
        .size:           8
        .value_kind:     global_buffer
      - .address_space:  global
        .offset:         16
        .size:           8
        .value_kind:     global_buffer
      - .address_space:  global
        .offset:         24
        .size:           8
        .value_kind:     global_buffer
      - .address_space:  global
        .offset:         32
        .size:           8
        .value_kind:     global_buffer
      - .address_space:  global
        .offset:         40
        .size:           8
        .value_kind:     global_buffer
      - .address_space:  global
        .offset:         48
        .size:           8
        .value_kind:     global_buffer
      - .address_space:  global
        .offset:         56
        .size:           8
        .value_kind:     global_buffer
      - .offset:         64
        .size:           4
        .value_kind:     by_value
      - .offset:         68
        .size:           4
        .value_kind:     by_value
      - .offset:         72
        .size:           4
        .value_kind:     by_value
      - .offset:         76
        .size:           4
        .value_kind:     by_value
      - .offset:         80
        .size:           4
        .value_kind:     by_value
      - .offset:         84
        .size:           4
        .value_kind:     by_value
      - .offset:         88
        .size:           4
        .value_kind:     by_value
      - .offset:         92
        .size:           12
        .value_kind:     by_value
      - .offset:         104
        .size:           4
        .value_kind:     by_value
      - .offset:         108
        .size:           4
        .value_kind:     by_value
      - .offset:         112
        .size:           4
        .value_kind:     by_value
      - .offset:         116
        .size:           4
        .value_kind:     by_value
      - .offset:         120
        .size:           4
        .value_kind:     by_value
      - .offset:         124
        .size:           4
        .value_kind:     by_value
      - .offset:         128
        .size:           4
        .value_kind:     by_value
      - .offset:         132
        .size:           4
        .value_kind:     by_value
      - .offset:         136
        .size:           4
        .value_kind:     by_value
      - .offset:         140
        .size:           4
        .value_kind:     by_value
      - .offset:         144
        .size:           4
        .value_kind:     by_value
      - .offset:         152
        .size:           8
        .value_kind:     by_value
      - .offset:         160
        .size:           4
        .value_kind:     by_value
      - .offset:         164
        .size:           4
        .value_kind:     by_value
      - .offset:         168
        .size:           8
        .value_kind:     by_value
      - .offset:         176
        .size:           4
        .value_kind:     by_value
      - .offset:         180
        .size:           4
        .value_kind:     by_value
      - .offset:         184
        .size:           4
        .value_kind:     by_value
      - .offset:         188
        .size:           4
        .value_kind:     by_value
      - .offset:         192
        .size:           4
        .value_kind:     by_value
      - .offset:         200
        .size:           8
        .value_kind:     by_value
      - .offset:         208
        .size:           4
        .value_kind:     hidden_block_count_x
      - .offset:         212
        .size:           4
        .value_kind:     hidden_block_count_y
      - .offset:         216
        .size:           4
        .value_kind:     hidden_block_count_z
      - .offset:         220
        .size:           2
        .value_kind:     hidden_group_size_x
      - .offset:         222
        .size:           2
        .value_kind:     hidden_group_size_y
      - .offset:         224
        .size:           2
        .value_kind:     hidden_group_size_z
      - .offset:         226
        .size:           2
        .value_kind:     hidden_remainder_x
      - .offset:         228
        .size:           2
        .value_kind:     hidden_remainder_y
      - .offset:         230
        .size:           2
        .value_kind:     hidden_remainder_z
      - .offset:         248
        .size:           8
        .value_kind:     hidden_global_offset_x
      - .offset:         256
        .size:           8
        .value_kind:     hidden_global_offset_y
      - .offset:         264
        .size:           8
        .value_kind:     hidden_global_offset_z
      - .offset:         272
        .size:           2
        .value_kind:     hidden_grid_dims
    .group_segment_fixed_size: 26112
    .kernarg_segment_align: 8
    .kernarg_segment_size: 464
    .language:       OpenCL C
    .language_version:
      - 2
      - 0
    .max_flat_workgroup_size: 256
    .name:           _ZL15flash_attn_tileILi256ELi256ELi16ELi1ELb0EEvPKcS1_S1_S1_S1_PKiPfP15HIP_vector_typeIfLj2EEffffjfiS5_IjLj3EEiiiiiiiiiiiliiliiiiil
    .private_segment_fixed_size: 32
    .sgpr_count:     49
    .sgpr_spill_count: 0
    .symbol:         _ZL15flash_attn_tileILi256ELi256ELi16ELi1ELb0EEvPKcS1_S1_S1_S1_PKiPfP15HIP_vector_typeIfLj2EEffffjfiS5_IjLj3EEiiiiiiiiiiiliiliiiiil.kd
    .uniform_work_group_size: 1
    .uses_dynamic_stack: false
    .vgpr_count:     219
    .vgpr_spill_count: 0
    .wavefront_size: 32
    .workgroup_processor_mode: 1
  - .args:
      - .address_space:  global
        .offset:         0
        .size:           8
        .value_kind:     global_buffer
      - .address_space:  global
        .offset:         8
        .size:           8
        .value_kind:     global_buffer
      - .offset:         16
        .size:           4
        .value_kind:     by_value
      - .offset:         20
        .size:           4
        .value_kind:     by_value
      - .offset:         24
        .size:           4
        .value_kind:     by_value
      - .offset:         28
        .size:           4
        .value_kind:     by_value
      - .offset:         32
        .size:           4
        .value_kind:     by_value
      - .offset:         36
        .size:           4
        .value_kind:     by_value
      - .offset:         40
        .size:           12
        .value_kind:     by_value
      - .offset:         52
        .size:           12
        .value_kind:     by_value
      - .offset:         64
        .size:           12
        .value_kind:     by_value
    .group_segment_fixed_size: 0
    .kernarg_segment_align: 8
    .kernarg_segment_size: 76
    .language:       OpenCL C
    .language_version:
      - 2
      - 0
    .max_flat_workgroup_size: 256
    .name:           _ZL33flash_attn_stream_k_fixup_uniformILi256ELi16ELi1EEvPfPK15HIP_vector_typeIfLj2EEiiiiiiS1_IjLj3EES5_S5_
    .private_segment_fixed_size: 0
    .sgpr_count:     22
    .sgpr_spill_count: 0
    .symbol:         _ZL33flash_attn_stream_k_fixup_uniformILi256ELi16ELi1EEvPfPK15HIP_vector_typeIfLj2EEiiiiiiS1_IjLj3EES5_S5_.kd
    .uniform_work_group_size: 1
    .uses_dynamic_stack: false
    .vgpr_count:     15
    .vgpr_spill_count: 0
    .wavefront_size: 32
    .workgroup_processor_mode: 1
  - .args:
      - .address_space:  global
        .offset:         0
        .size:           8
        .value_kind:     global_buffer
      - .address_space:  global
        .offset:         8
        .size:           8
        .value_kind:     global_buffer
      - .offset:         16
        .size:           4
        .value_kind:     by_value
      - .offset:         20
        .size:           4
        .value_kind:     by_value
      - .offset:         24
        .size:           4
        .value_kind:     by_value
      - .offset:         28
        .size:           4
        .value_kind:     by_value
      - .offset:         32
        .size:           12
        .value_kind:     by_value
      - .offset:         44
        .size:           12
        .value_kind:     by_value
      - .offset:         56
        .size:           12
        .value_kind:     by_value
      - .offset:         68
        .size:           12
        .value_kind:     by_value
      - .offset:         80
        .size:           4
        .value_kind:     hidden_block_count_x
      - .offset:         84
        .size:           4
        .value_kind:     hidden_block_count_y
      - .offset:         88
        .size:           4
        .value_kind:     hidden_block_count_z
      - .offset:         92
        .size:           2
        .value_kind:     hidden_group_size_x
      - .offset:         94
        .size:           2
        .value_kind:     hidden_group_size_y
      - .offset:         96
        .size:           2
        .value_kind:     hidden_group_size_z
      - .offset:         98
        .size:           2
        .value_kind:     hidden_remainder_x
      - .offset:         100
        .size:           2
        .value_kind:     hidden_remainder_y
      - .offset:         102
        .size:           2
        .value_kind:     hidden_remainder_z
      - .offset:         120
        .size:           8
        .value_kind:     hidden_global_offset_x
      - .offset:         128
        .size:           8
        .value_kind:     hidden_global_offset_y
      - .offset:         136
        .size:           8
        .value_kind:     hidden_global_offset_z
      - .offset:         144
        .size:           2
        .value_kind:     hidden_grid_dims
    .group_segment_fixed_size: 0
    .kernarg_segment_align: 8
    .kernarg_segment_size: 336
    .language:       OpenCL C
    .language_version:
      - 2
      - 0
    .max_flat_workgroup_size: 256
    .name:           _ZL33flash_attn_stream_k_fixup_generalILi256ELi16ELi1EEvPfPK15HIP_vector_typeIfLj2EEiiiiS1_IjLj3EES5_S5_S5_
    .private_segment_fixed_size: 0
    .sgpr_count:     34
    .sgpr_spill_count: 0
    .symbol:         _ZL33flash_attn_stream_k_fixup_generalILi256ELi16ELi1EEvPfPK15HIP_vector_typeIfLj2EEiiiiS1_IjLj3EES5_S5_S5_.kd
    .uniform_work_group_size: 1
    .uses_dynamic_stack: false
    .vgpr_count:     19
    .vgpr_spill_count: 0
    .wavefront_size: 32
    .workgroup_processor_mode: 1
  - .args:
      - .address_space:  global
        .offset:         0
        .size:           8
        .value_kind:     global_buffer
      - .address_space:  global
        .offset:         8
        .size:           8
        .value_kind:     global_buffer
      - .address_space:  global
        .offset:         16
        .size:           8
        .value_kind:     global_buffer
      - .address_space:  global
        .offset:         24
        .size:           8
        .value_kind:     global_buffer
      - .address_space:  global
        .offset:         32
        .size:           8
        .value_kind:     global_buffer
      - .address_space:  global
        .offset:         40
        .size:           8
        .value_kind:     global_buffer
      - .address_space:  global
        .offset:         48
        .size:           8
        .value_kind:     global_buffer
      - .address_space:  global
        .offset:         56
        .size:           8
        .value_kind:     global_buffer
      - .offset:         64
        .size:           4
        .value_kind:     by_value
      - .offset:         68
        .size:           4
        .value_kind:     by_value
      - .offset:         72
        .size:           4
        .value_kind:     by_value
      - .offset:         76
        .size:           4
        .value_kind:     by_value
      - .offset:         80
        .size:           4
        .value_kind:     by_value
      - .offset:         84
        .size:           4
        .value_kind:     by_value
      - .offset:         88
        .size:           4
        .value_kind:     by_value
      - .offset:         92
        .size:           12
        .value_kind:     by_value
      - .offset:         104
        .size:           4
        .value_kind:     by_value
      - .offset:         108
        .size:           4
        .value_kind:     by_value
      - .offset:         112
        .size:           4
        .value_kind:     by_value
      - .offset:         116
        .size:           4
        .value_kind:     by_value
      - .offset:         120
        .size:           4
        .value_kind:     by_value
      - .offset:         124
        .size:           4
        .value_kind:     by_value
      - .offset:         128
        .size:           4
        .value_kind:     by_value
      - .offset:         132
        .size:           4
        .value_kind:     by_value
      - .offset:         136
        .size:           4
        .value_kind:     by_value
      - .offset:         140
        .size:           4
        .value_kind:     by_value
      - .offset:         144
        .size:           4
        .value_kind:     by_value
      - .offset:         152
        .size:           8
        .value_kind:     by_value
      - .offset:         160
        .size:           4
        .value_kind:     by_value
      - .offset:         164
        .size:           4
        .value_kind:     by_value
      - .offset:         168
        .size:           8
        .value_kind:     by_value
      - .offset:         176
        .size:           4
        .value_kind:     by_value
      - .offset:         180
        .size:           4
        .value_kind:     by_value
      - .offset:         184
        .size:           4
        .value_kind:     by_value
      - .offset:         188
        .size:           4
        .value_kind:     by_value
      - .offset:         192
        .size:           4
        .value_kind:     by_value
      - .offset:         200
        .size:           8
        .value_kind:     by_value
      - .offset:         208
        .size:           4
        .value_kind:     hidden_block_count_x
      - .offset:         212
        .size:           4
        .value_kind:     hidden_block_count_y
      - .offset:         216
        .size:           4
        .value_kind:     hidden_block_count_z
      - .offset:         220
        .size:           2
        .value_kind:     hidden_group_size_x
      - .offset:         222
        .size:           2
        .value_kind:     hidden_group_size_y
      - .offset:         224
        .size:           2
        .value_kind:     hidden_group_size_z
      - .offset:         226
        .size:           2
        .value_kind:     hidden_remainder_x
      - .offset:         228
        .size:           2
        .value_kind:     hidden_remainder_y
      - .offset:         230
        .size:           2
        .value_kind:     hidden_remainder_z
      - .offset:         248
        .size:           8
        .value_kind:     hidden_global_offset_x
      - .offset:         256
        .size:           8
        .value_kind:     hidden_global_offset_y
      - .offset:         264
        .size:           8
        .value_kind:     hidden_global_offset_z
      - .offset:         272
        .size:           2
        .value_kind:     hidden_grid_dims
    .group_segment_fixed_size: 21504
    .kernarg_segment_align: 8
    .kernarg_segment_size: 464
    .language:       OpenCL C
    .language_version:
      - 2
      - 0
    .max_flat_workgroup_size: 128
    .name:           _ZL15flash_attn_tileILi256ELi256ELi8ELi1ELb0EEvPKcS1_S1_S1_S1_PKiPfP15HIP_vector_typeIfLj2EEffffjfiS5_IjLj3EEiiiiiiiiiiiliiliiiiil
    .private_segment_fixed_size: 32
    .sgpr_count:     49
    .sgpr_spill_count: 0
    .symbol:         _ZL15flash_attn_tileILi256ELi256ELi8ELi1ELb0EEvPKcS1_S1_S1_S1_PKiPfP15HIP_vector_typeIfLj2EEffffjfiS5_IjLj3EEiiiiiiiiiiiliiliiiiil.kd
    .uniform_work_group_size: 1
    .uses_dynamic_stack: false
    .vgpr_count:     196
    .vgpr_spill_count: 0
    .wavefront_size: 32
    .workgroup_processor_mode: 1
  - .args:
      - .address_space:  global
        .offset:         0
        .size:           8
        .value_kind:     global_buffer
      - .address_space:  global
        .offset:         8
        .size:           8
        .value_kind:     global_buffer
      - .offset:         16
        .size:           4
        .value_kind:     by_value
      - .offset:         20
        .size:           4
        .value_kind:     by_value
      - .offset:         24
        .size:           4
        .value_kind:     by_value
      - .offset:         28
        .size:           4
        .value_kind:     by_value
      - .offset:         32
        .size:           4
        .value_kind:     by_value
      - .offset:         36
        .size:           4
        .value_kind:     by_value
      - .offset:         40
        .size:           12
        .value_kind:     by_value
      - .offset:         52
        .size:           12
        .value_kind:     by_value
      - .offset:         64
        .size:           12
        .value_kind:     by_value
    .group_segment_fixed_size: 0
    .kernarg_segment_align: 8
    .kernarg_segment_size: 76
    .language:       OpenCL C
    .language_version:
      - 2
      - 0
    .max_flat_workgroup_size: 256
    .name:           _ZL33flash_attn_stream_k_fixup_uniformILi256ELi8ELi1EEvPfPK15HIP_vector_typeIfLj2EEiiiiiiS1_IjLj3EES5_S5_
    .private_segment_fixed_size: 0
    .sgpr_count:     22
    .sgpr_spill_count: 0
    .symbol:         _ZL33flash_attn_stream_k_fixup_uniformILi256ELi8ELi1EEvPfPK15HIP_vector_typeIfLj2EEiiiiiiS1_IjLj3EES5_S5_.kd
    .uniform_work_group_size: 1
    .uses_dynamic_stack: false
    .vgpr_count:     15
    .vgpr_spill_count: 0
    .wavefront_size: 32
    .workgroup_processor_mode: 1
  - .args:
      - .address_space:  global
        .offset:         0
        .size:           8
        .value_kind:     global_buffer
      - .address_space:  global
        .offset:         8
        .size:           8
        .value_kind:     global_buffer
      - .offset:         16
        .size:           4
        .value_kind:     by_value
      - .offset:         20
        .size:           4
        .value_kind:     by_value
      - .offset:         24
        .size:           4
        .value_kind:     by_value
      - .offset:         28
        .size:           4
        .value_kind:     by_value
      - .offset:         32
        .size:           12
        .value_kind:     by_value
      - .offset:         44
        .size:           12
        .value_kind:     by_value
      - .offset:         56
        .size:           12
        .value_kind:     by_value
      - .offset:         68
        .size:           12
        .value_kind:     by_value
      - .offset:         80
        .size:           4
        .value_kind:     hidden_block_count_x
      - .offset:         84
        .size:           4
        .value_kind:     hidden_block_count_y
      - .offset:         88
        .size:           4
        .value_kind:     hidden_block_count_z
      - .offset:         92
        .size:           2
        .value_kind:     hidden_group_size_x
      - .offset:         94
        .size:           2
        .value_kind:     hidden_group_size_y
      - .offset:         96
        .size:           2
        .value_kind:     hidden_group_size_z
      - .offset:         98
        .size:           2
        .value_kind:     hidden_remainder_x
      - .offset:         100
        .size:           2
        .value_kind:     hidden_remainder_y
      - .offset:         102
        .size:           2
        .value_kind:     hidden_remainder_z
      - .offset:         120
        .size:           8
        .value_kind:     hidden_global_offset_x
      - .offset:         128
        .size:           8
        .value_kind:     hidden_global_offset_y
      - .offset:         136
        .size:           8
        .value_kind:     hidden_global_offset_z
      - .offset:         144
        .size:           2
        .value_kind:     hidden_grid_dims
    .group_segment_fixed_size: 0
    .kernarg_segment_align: 8
    .kernarg_segment_size: 336
    .language:       OpenCL C
    .language_version:
      - 2
      - 0
    .max_flat_workgroup_size: 256
    .name:           _ZL33flash_attn_stream_k_fixup_generalILi256ELi8ELi1EEvPfPK15HIP_vector_typeIfLj2EEiiiiS1_IjLj3EES5_S5_S5_
    .private_segment_fixed_size: 0
    .sgpr_count:     34
    .sgpr_spill_count: 0
    .symbol:         _ZL33flash_attn_stream_k_fixup_generalILi256ELi8ELi1EEvPfPK15HIP_vector_typeIfLj2EEiiiiS1_IjLj3EES5_S5_S5_.kd
    .uniform_work_group_size: 1
    .uses_dynamic_stack: false
    .vgpr_count:     19
    .vgpr_spill_count: 0
    .wavefront_size: 32
    .workgroup_processor_mode: 1
  - .args:
      - .address_space:  global
        .offset:         0
        .size:           8
        .value_kind:     global_buffer
      - .address_space:  global
        .offset:         8
        .size:           8
        .value_kind:     global_buffer
      - .address_space:  global
        .offset:         16
        .size:           8
        .value_kind:     global_buffer
      - .address_space:  global
        .offset:         24
        .size:           8
        .value_kind:     global_buffer
      - .address_space:  global
        .offset:         32
        .size:           8
        .value_kind:     global_buffer
      - .address_space:  global
        .offset:         40
        .size:           8
        .value_kind:     global_buffer
      - .address_space:  global
        .offset:         48
        .size:           8
        .value_kind:     global_buffer
      - .address_space:  global
        .offset:         56
        .size:           8
        .value_kind:     global_buffer
      - .offset:         64
        .size:           4
        .value_kind:     by_value
      - .offset:         68
        .size:           4
        .value_kind:     by_value
      - .offset:         72
        .size:           4
        .value_kind:     by_value
      - .offset:         76
        .size:           4
        .value_kind:     by_value
      - .offset:         80
        .size:           4
        .value_kind:     by_value
      - .offset:         84
        .size:           4
        .value_kind:     by_value
      - .offset:         88
        .size:           4
        .value_kind:     by_value
      - .offset:         92
        .size:           12
        .value_kind:     by_value
      - .offset:         104
        .size:           4
        .value_kind:     by_value
      - .offset:         108
        .size:           4
        .value_kind:     by_value
      - .offset:         112
        .size:           4
        .value_kind:     by_value
      - .offset:         116
        .size:           4
        .value_kind:     by_value
      - .offset:         120
        .size:           4
        .value_kind:     by_value
      - .offset:         124
        .size:           4
        .value_kind:     by_value
      - .offset:         128
        .size:           4
        .value_kind:     by_value
      - .offset:         132
        .size:           4
        .value_kind:     by_value
      - .offset:         136
        .size:           4
        .value_kind:     by_value
      - .offset:         140
        .size:           4
        .value_kind:     by_value
      - .offset:         144
        .size:           4
        .value_kind:     by_value
      - .offset:         152
        .size:           8
        .value_kind:     by_value
      - .offset:         160
        .size:           4
        .value_kind:     by_value
      - .offset:         164
        .size:           4
        .value_kind:     by_value
      - .offset:         168
        .size:           8
        .value_kind:     by_value
      - .offset:         176
        .size:           4
        .value_kind:     by_value
      - .offset:         180
        .size:           4
        .value_kind:     by_value
      - .offset:         184
        .size:           4
        .value_kind:     by_value
      - .offset:         188
        .size:           4
        .value_kind:     by_value
      - .offset:         192
        .size:           4
        .value_kind:     by_value
      - .offset:         200
        .size:           8
        .value_kind:     by_value
      - .offset:         208
        .size:           4
        .value_kind:     hidden_block_count_x
      - .offset:         212
        .size:           4
        .value_kind:     hidden_block_count_y
      - .offset:         216
        .size:           4
        .value_kind:     hidden_block_count_z
      - .offset:         220
        .size:           2
        .value_kind:     hidden_group_size_x
      - .offset:         222
        .size:           2
        .value_kind:     hidden_group_size_y
      - .offset:         224
        .size:           2
        .value_kind:     hidden_group_size_z
      - .offset:         226
        .size:           2
        .value_kind:     hidden_remainder_x
      - .offset:         228
        .size:           2
        .value_kind:     hidden_remainder_y
      - .offset:         230
        .size:           2
        .value_kind:     hidden_remainder_z
      - .offset:         248
        .size:           8
        .value_kind:     hidden_global_offset_x
      - .offset:         256
        .size:           8
        .value_kind:     hidden_global_offset_y
      - .offset:         264
        .size:           8
        .value_kind:     hidden_global_offset_z
      - .offset:         272
        .size:           2
        .value_kind:     hidden_grid_dims
    .group_segment_fixed_size: 21248
    .kernarg_segment_align: 8
    .kernarg_segment_size: 464
    .language:       OpenCL C
    .language_version:
      - 2
      - 0
    .max_flat_workgroup_size: 128
    .name:           _ZL15flash_attn_tileILi256ELi256ELi4ELi1ELb0EEvPKcS1_S1_S1_S1_PKiPfP15HIP_vector_typeIfLj2EEffffjfiS5_IjLj3EEiiiiiiiiiiiliiliiiiil
    .private_segment_fixed_size: 32
    .sgpr_count:     54
    .sgpr_spill_count: 0
    .symbol:         _ZL15flash_attn_tileILi256ELi256ELi4ELi1ELb0EEvPKcS1_S1_S1_S1_PKiPfP15HIP_vector_typeIfLj2EEffffjfiS5_IjLj3EEiiiiiiiiiiiliiliiiiil.kd
    .uniform_work_group_size: 1
    .uses_dynamic_stack: false
    .vgpr_count:     137
    .vgpr_spill_count: 0
    .wavefront_size: 32
    .workgroup_processor_mode: 1
  - .args:
      - .address_space:  global
        .offset:         0
        .size:           8
        .value_kind:     global_buffer
      - .address_space:  global
        .offset:         8
        .size:           8
        .value_kind:     global_buffer
      - .offset:         16
        .size:           4
        .value_kind:     by_value
      - .offset:         20
        .size:           4
        .value_kind:     by_value
      - .offset:         24
        .size:           4
        .value_kind:     by_value
      - .offset:         28
        .size:           4
        .value_kind:     by_value
      - .offset:         32
        .size:           4
        .value_kind:     by_value
      - .offset:         36
        .size:           4
        .value_kind:     by_value
      - .offset:         40
        .size:           12
        .value_kind:     by_value
      - .offset:         52
        .size:           12
        .value_kind:     by_value
      - .offset:         64
        .size:           12
        .value_kind:     by_value
    .group_segment_fixed_size: 0
    .kernarg_segment_align: 8
    .kernarg_segment_size: 76
    .language:       OpenCL C
    .language_version:
      - 2
      - 0
    .max_flat_workgroup_size: 256
    .name:           _ZL33flash_attn_stream_k_fixup_uniformILi256ELi4ELi1EEvPfPK15HIP_vector_typeIfLj2EEiiiiiiS1_IjLj3EES5_S5_
    .private_segment_fixed_size: 0
    .sgpr_count:     22
    .sgpr_spill_count: 0
    .symbol:         _ZL33flash_attn_stream_k_fixup_uniformILi256ELi4ELi1EEvPfPK15HIP_vector_typeIfLj2EEiiiiiiS1_IjLj3EES5_S5_.kd
    .uniform_work_group_size: 1
    .uses_dynamic_stack: false
    .vgpr_count:     15
    .vgpr_spill_count: 0
    .wavefront_size: 32
    .workgroup_processor_mode: 1
  - .args:
      - .address_space:  global
        .offset:         0
        .size:           8
        .value_kind:     global_buffer
      - .address_space:  global
        .offset:         8
        .size:           8
        .value_kind:     global_buffer
      - .offset:         16
        .size:           4
        .value_kind:     by_value
      - .offset:         20
        .size:           4
        .value_kind:     by_value
      - .offset:         24
        .size:           4
        .value_kind:     by_value
      - .offset:         28
        .size:           4
        .value_kind:     by_value
      - .offset:         32
        .size:           12
        .value_kind:     by_value
      - .offset:         44
        .size:           12
        .value_kind:     by_value
      - .offset:         56
        .size:           12
        .value_kind:     by_value
      - .offset:         68
        .size:           12
        .value_kind:     by_value
      - .offset:         80
        .size:           4
        .value_kind:     hidden_block_count_x
      - .offset:         84
        .size:           4
        .value_kind:     hidden_block_count_y
      - .offset:         88
        .size:           4
        .value_kind:     hidden_block_count_z
      - .offset:         92
        .size:           2
        .value_kind:     hidden_group_size_x
      - .offset:         94
        .size:           2
        .value_kind:     hidden_group_size_y
      - .offset:         96
        .size:           2
        .value_kind:     hidden_group_size_z
      - .offset:         98
        .size:           2
        .value_kind:     hidden_remainder_x
      - .offset:         100
        .size:           2
        .value_kind:     hidden_remainder_y
      - .offset:         102
        .size:           2
        .value_kind:     hidden_remainder_z
      - .offset:         120
        .size:           8
        .value_kind:     hidden_global_offset_x
      - .offset:         128
        .size:           8
        .value_kind:     hidden_global_offset_y
      - .offset:         136
        .size:           8
        .value_kind:     hidden_global_offset_z
      - .offset:         144
        .size:           2
        .value_kind:     hidden_grid_dims
    .group_segment_fixed_size: 0
    .kernarg_segment_align: 8
    .kernarg_segment_size: 336
    .language:       OpenCL C
    .language_version:
      - 2
      - 0
    .max_flat_workgroup_size: 256
    .name:           _ZL33flash_attn_stream_k_fixup_generalILi256ELi4ELi1EEvPfPK15HIP_vector_typeIfLj2EEiiiiS1_IjLj3EES5_S5_S5_
    .private_segment_fixed_size: 0
    .sgpr_count:     34
    .sgpr_spill_count: 0
    .symbol:         _ZL33flash_attn_stream_k_fixup_generalILi256ELi4ELi1EEvPfPK15HIP_vector_typeIfLj2EEiiiiS1_IjLj3EES5_S5_S5_.kd
    .uniform_work_group_size: 1
    .uses_dynamic_stack: false
    .vgpr_count:     19
    .vgpr_spill_count: 0
    .wavefront_size: 32
    .workgroup_processor_mode: 1
  - .args:
      - .address_space:  global
        .offset:         0
        .size:           8
        .value_kind:     global_buffer
      - .address_space:  global
        .offset:         8
        .size:           8
        .value_kind:     global_buffer
      - .address_space:  global
        .offset:         16
        .size:           8
        .value_kind:     global_buffer
      - .address_space:  global
        .offset:         24
        .size:           8
        .value_kind:     global_buffer
      - .address_space:  global
        .offset:         32
        .size:           8
        .value_kind:     global_buffer
      - .address_space:  global
        .offset:         40
        .size:           8
        .value_kind:     global_buffer
      - .address_space:  global
        .offset:         48
        .size:           8
        .value_kind:     global_buffer
      - .address_space:  global
        .offset:         56
        .size:           8
        .value_kind:     global_buffer
      - .offset:         64
        .size:           4
        .value_kind:     by_value
      - .offset:         68
        .size:           4
        .value_kind:     by_value
      - .offset:         72
        .size:           4
        .value_kind:     by_value
      - .offset:         76
        .size:           4
        .value_kind:     by_value
      - .offset:         80
        .size:           4
        .value_kind:     by_value
      - .offset:         84
        .size:           4
        .value_kind:     by_value
      - .offset:         88
        .size:           4
        .value_kind:     by_value
      - .offset:         92
        .size:           12
        .value_kind:     by_value
      - .offset:         104
        .size:           4
        .value_kind:     by_value
      - .offset:         108
        .size:           4
        .value_kind:     by_value
      - .offset:         112
        .size:           4
        .value_kind:     by_value
      - .offset:         116
        .size:           4
        .value_kind:     by_value
      - .offset:         120
        .size:           4
        .value_kind:     by_value
      - .offset:         124
        .size:           4
        .value_kind:     by_value
      - .offset:         128
        .size:           4
        .value_kind:     by_value
      - .offset:         132
        .size:           4
        .value_kind:     by_value
      - .offset:         136
        .size:           4
        .value_kind:     by_value
      - .offset:         140
        .size:           4
        .value_kind:     by_value
      - .offset:         144
        .size:           4
        .value_kind:     by_value
      - .offset:         152
        .size:           8
        .value_kind:     by_value
      - .offset:         160
        .size:           4
        .value_kind:     by_value
      - .offset:         164
        .size:           4
        .value_kind:     by_value
      - .offset:         168
        .size:           8
        .value_kind:     by_value
      - .offset:         176
        .size:           4
        .value_kind:     by_value
      - .offset:         180
        .size:           4
        .value_kind:     by_value
      - .offset:         184
        .size:           4
        .value_kind:     by_value
      - .offset:         188
        .size:           4
        .value_kind:     by_value
      - .offset:         192
        .size:           4
        .value_kind:     by_value
      - .offset:         200
        .size:           8
        .value_kind:     by_value
      - .offset:         208
        .size:           4
        .value_kind:     hidden_block_count_x
      - .offset:         212
        .size:           4
        .value_kind:     hidden_block_count_y
      - .offset:         216
        .size:           4
        .value_kind:     hidden_block_count_z
      - .offset:         220
        .size:           2
        .value_kind:     hidden_group_size_x
      - .offset:         222
        .size:           2
        .value_kind:     hidden_group_size_y
      - .offset:         224
        .size:           2
        .value_kind:     hidden_group_size_z
      - .offset:         226
        .size:           2
        .value_kind:     hidden_remainder_x
      - .offset:         228
        .size:           2
        .value_kind:     hidden_remainder_y
      - .offset:         230
        .size:           2
        .value_kind:     hidden_remainder_z
      - .offset:         248
        .size:           8
        .value_kind:     hidden_global_offset_x
      - .offset:         256
        .size:           8
        .value_kind:     hidden_global_offset_y
      - .offset:         264
        .size:           8
        .value_kind:     hidden_global_offset_z
      - .offset:         272
        .size:           2
        .value_kind:     hidden_grid_dims
    .group_segment_fixed_size: 5760
    .kernarg_segment_align: 8
    .kernarg_segment_size: 464
    .language:       OpenCL C
    .language_version:
      - 2
      - 0
    .max_flat_workgroup_size: 64
    .name:           _ZL15flash_attn_tileILi256ELi256ELi2ELi1ELb0EEvPKcS1_S1_S1_S1_PKiPfP15HIP_vector_typeIfLj2EEffffjfiS5_IjLj3EEiiiiiiiiiiiliiliiiiil
    .private_segment_fixed_size: 32
    .sgpr_count:     54
    .sgpr_spill_count: 0
    .symbol:         _ZL15flash_attn_tileILi256ELi256ELi2ELi1ELb0EEvPKcS1_S1_S1_S1_PKiPfP15HIP_vector_typeIfLj2EEffffjfiS5_IjLj3EEiiiiiiiiiiiliiliiiiil.kd
    .uniform_work_group_size: 1
    .uses_dynamic_stack: false
    .vgpr_count:     180
    .vgpr_spill_count: 0
    .wavefront_size: 32
    .workgroup_processor_mode: 1
  - .args:
      - .address_space:  global
        .offset:         0
        .size:           8
        .value_kind:     global_buffer
      - .address_space:  global
        .offset:         8
        .size:           8
        .value_kind:     global_buffer
      - .offset:         16
        .size:           4
        .value_kind:     by_value
      - .offset:         20
        .size:           4
        .value_kind:     by_value
      - .offset:         24
        .size:           4
        .value_kind:     by_value
      - .offset:         28
        .size:           4
        .value_kind:     by_value
      - .offset:         32
        .size:           4
        .value_kind:     by_value
      - .offset:         36
        .size:           4
        .value_kind:     by_value
      - .offset:         40
        .size:           12
        .value_kind:     by_value
      - .offset:         52
        .size:           12
        .value_kind:     by_value
      - .offset:         64
        .size:           12
        .value_kind:     by_value
    .group_segment_fixed_size: 0
    .kernarg_segment_align: 8
    .kernarg_segment_size: 76
    .language:       OpenCL C
    .language_version:
      - 2
      - 0
    .max_flat_workgroup_size: 256
    .name:           _ZL33flash_attn_stream_k_fixup_uniformILi256ELi2ELi1EEvPfPK15HIP_vector_typeIfLj2EEiiiiiiS1_IjLj3EES5_S5_
    .private_segment_fixed_size: 0
    .sgpr_count:     22
    .sgpr_spill_count: 0
    .symbol:         _ZL33flash_attn_stream_k_fixup_uniformILi256ELi2ELi1EEvPfPK15HIP_vector_typeIfLj2EEiiiiiiS1_IjLj3EES5_S5_.kd
    .uniform_work_group_size: 1
    .uses_dynamic_stack: false
    .vgpr_count:     15
    .vgpr_spill_count: 0
    .wavefront_size: 32
    .workgroup_processor_mode: 1
  - .args:
      - .address_space:  global
        .offset:         0
        .size:           8
        .value_kind:     global_buffer
      - .address_space:  global
        .offset:         8
        .size:           8
        .value_kind:     global_buffer
      - .offset:         16
        .size:           4
        .value_kind:     by_value
      - .offset:         20
        .size:           4
        .value_kind:     by_value
      - .offset:         24
        .size:           4
        .value_kind:     by_value
      - .offset:         28
        .size:           4
        .value_kind:     by_value
      - .offset:         32
        .size:           12
        .value_kind:     by_value
      - .offset:         44
        .size:           12
        .value_kind:     by_value
      - .offset:         56
        .size:           12
        .value_kind:     by_value
      - .offset:         68
        .size:           12
        .value_kind:     by_value
      - .offset:         80
        .size:           4
        .value_kind:     hidden_block_count_x
      - .offset:         84
        .size:           4
        .value_kind:     hidden_block_count_y
      - .offset:         88
        .size:           4
        .value_kind:     hidden_block_count_z
      - .offset:         92
        .size:           2
        .value_kind:     hidden_group_size_x
      - .offset:         94
        .size:           2
        .value_kind:     hidden_group_size_y
      - .offset:         96
        .size:           2
        .value_kind:     hidden_group_size_z
      - .offset:         98
        .size:           2
        .value_kind:     hidden_remainder_x
      - .offset:         100
        .size:           2
        .value_kind:     hidden_remainder_y
      - .offset:         102
        .size:           2
        .value_kind:     hidden_remainder_z
      - .offset:         120
        .size:           8
        .value_kind:     hidden_global_offset_x
      - .offset:         128
        .size:           8
        .value_kind:     hidden_global_offset_y
      - .offset:         136
        .size:           8
        .value_kind:     hidden_global_offset_z
      - .offset:         144
        .size:           2
        .value_kind:     hidden_grid_dims
    .group_segment_fixed_size: 0
    .kernarg_segment_align: 8
    .kernarg_segment_size: 336
    .language:       OpenCL C
    .language_version:
      - 2
      - 0
    .max_flat_workgroup_size: 256
    .name:           _ZL33flash_attn_stream_k_fixup_generalILi256ELi2ELi1EEvPfPK15HIP_vector_typeIfLj2EEiiiiS1_IjLj3EES5_S5_S5_
    .private_segment_fixed_size: 0
    .sgpr_count:     34
    .sgpr_spill_count: 0
    .symbol:         _ZL33flash_attn_stream_k_fixup_generalILi256ELi2ELi1EEvPfPK15HIP_vector_typeIfLj2EEiiiiS1_IjLj3EES5_S5_S5_.kd
    .uniform_work_group_size: 1
    .uses_dynamic_stack: false
    .vgpr_count:     19
    .vgpr_spill_count: 0
    .wavefront_size: 32
    .workgroup_processor_mode: 1
  - .args:
      - .address_space:  global
        .offset:         0
        .size:           8
        .value_kind:     global_buffer
      - .address_space:  global
        .offset:         8
        .size:           8
        .value_kind:     global_buffer
      - .address_space:  global
        .offset:         16
        .size:           8
        .value_kind:     global_buffer
      - .address_space:  global
        .offset:         24
        .size:           8
        .value_kind:     global_buffer
      - .address_space:  global
        .offset:         32
        .size:           8
        .value_kind:     global_buffer
      - .address_space:  global
        .offset:         40
        .size:           8
        .value_kind:     global_buffer
      - .address_space:  global
        .offset:         48
        .size:           8
        .value_kind:     global_buffer
      - .address_space:  global
        .offset:         56
        .size:           8
        .value_kind:     global_buffer
      - .offset:         64
        .size:           4
        .value_kind:     by_value
      - .offset:         68
        .size:           4
        .value_kind:     by_value
      - .offset:         72
        .size:           4
        .value_kind:     by_value
      - .offset:         76
        .size:           4
        .value_kind:     by_value
      - .offset:         80
        .size:           4
        .value_kind:     by_value
      - .offset:         84
        .size:           4
        .value_kind:     by_value
      - .offset:         88
        .size:           4
        .value_kind:     by_value
      - .offset:         92
        .size:           12
        .value_kind:     by_value
      - .offset:         104
        .size:           4
        .value_kind:     by_value
      - .offset:         108
        .size:           4
        .value_kind:     by_value
      - .offset:         112
        .size:           4
        .value_kind:     by_value
      - .offset:         116
        .size:           4
        .value_kind:     by_value
      - .offset:         120
        .size:           4
        .value_kind:     by_value
      - .offset:         124
        .size:           4
        .value_kind:     by_value
      - .offset:         128
        .size:           4
        .value_kind:     by_value
      - .offset:         132
        .size:           4
        .value_kind:     by_value
      - .offset:         136
        .size:           4
        .value_kind:     by_value
      - .offset:         140
        .size:           4
        .value_kind:     by_value
      - .offset:         144
        .size:           4
        .value_kind:     by_value
      - .offset:         152
        .size:           8
        .value_kind:     by_value
      - .offset:         160
        .size:           4
        .value_kind:     by_value
      - .offset:         164
        .size:           4
        .value_kind:     by_value
      - .offset:         168
        .size:           8
        .value_kind:     by_value
      - .offset:         176
        .size:           4
        .value_kind:     by_value
      - .offset:         180
        .size:           4
        .value_kind:     by_value
      - .offset:         184
        .size:           4
        .value_kind:     by_value
      - .offset:         188
        .size:           4
        .value_kind:     by_value
      - .offset:         192
        .size:           4
        .value_kind:     by_value
      - .offset:         200
        .size:           8
        .value_kind:     by_value
      - .offset:         208
        .size:           4
        .value_kind:     hidden_block_count_x
      - .offset:         212
        .size:           4
        .value_kind:     hidden_block_count_y
      - .offset:         216
        .size:           4
        .value_kind:     hidden_block_count_z
      - .offset:         220
        .size:           2
        .value_kind:     hidden_group_size_x
      - .offset:         222
        .size:           2
        .value_kind:     hidden_group_size_y
      - .offset:         224
        .size:           2
        .value_kind:     hidden_group_size_z
      - .offset:         226
        .size:           2
        .value_kind:     hidden_remainder_x
      - .offset:         228
        .size:           2
        .value_kind:     hidden_remainder_y
      - .offset:         230
        .size:           2
        .value_kind:     hidden_remainder_z
      - .offset:         248
        .size:           8
        .value_kind:     hidden_global_offset_x
      - .offset:         256
        .size:           8
        .value_kind:     hidden_global_offset_y
      - .offset:         264
        .size:           8
        .value_kind:     hidden_global_offset_z
      - .offset:         272
        .size:           2
        .value_kind:     hidden_grid_dims
    .group_segment_fixed_size: 37888
    .kernarg_segment_align: 8
    .kernarg_segment_size: 464
    .language:       OpenCL C
    .language_version:
      - 2
      - 0
    .max_flat_workgroup_size: 256
    .name:           _ZL15flash_attn_tileILi256ELi256ELi4ELi8ELb1EEvPKcS1_S1_S1_S1_PKiPfP15HIP_vector_typeIfLj2EEffffjfiS5_IjLj3EEiiiiiiiiiiiliiliiiiil
    .private_segment_fixed_size: 0
    .sgpr_count:     42
    .sgpr_spill_count: 0
    .symbol:         _ZL15flash_attn_tileILi256ELi256ELi4ELi8ELb1EEvPKcS1_S1_S1_S1_PKiPfP15HIP_vector_typeIfLj2EEffffjfiS5_IjLj3EEiiiiiiiiiiiliiliiiiil.kd
    .uniform_work_group_size: 1
    .uses_dynamic_stack: false
    .vgpr_count:     214
    .vgpr_spill_count: 0
    .wavefront_size: 32
    .workgroup_processor_mode: 1
  - .args:
      - .address_space:  global
        .offset:         0
        .size:           8
        .value_kind:     global_buffer
      - .address_space:  global
        .offset:         8
        .size:           8
        .value_kind:     global_buffer
      - .address_space:  global
        .offset:         16
        .size:           8
        .value_kind:     global_buffer
      - .address_space:  global
        .offset:         24
        .size:           8
        .value_kind:     global_buffer
      - .address_space:  global
        .offset:         32
        .size:           8
        .value_kind:     global_buffer
      - .address_space:  global
        .offset:         40
        .size:           8
        .value_kind:     global_buffer
      - .address_space:  global
        .offset:         48
        .size:           8
        .value_kind:     global_buffer
      - .address_space:  global
        .offset:         56
        .size:           8
        .value_kind:     global_buffer
      - .offset:         64
        .size:           4
        .value_kind:     by_value
      - .offset:         68
        .size:           4
        .value_kind:     by_value
      - .offset:         72
        .size:           4
        .value_kind:     by_value
      - .offset:         76
        .size:           4
        .value_kind:     by_value
      - .offset:         80
        .size:           4
        .value_kind:     by_value
      - .offset:         84
        .size:           4
        .value_kind:     by_value
      - .offset:         88
        .size:           4
        .value_kind:     by_value
      - .offset:         92
        .size:           12
        .value_kind:     by_value
      - .offset:         104
        .size:           4
        .value_kind:     by_value
      - .offset:         108
        .size:           4
        .value_kind:     by_value
      - .offset:         112
        .size:           4
        .value_kind:     by_value
      - .offset:         116
        .size:           4
        .value_kind:     by_value
      - .offset:         120
        .size:           4
        .value_kind:     by_value
      - .offset:         124
        .size:           4
        .value_kind:     by_value
      - .offset:         128
        .size:           4
        .value_kind:     by_value
      - .offset:         132
        .size:           4
        .value_kind:     by_value
      - .offset:         136
        .size:           4
        .value_kind:     by_value
      - .offset:         140
        .size:           4
        .value_kind:     by_value
      - .offset:         144
        .size:           4
        .value_kind:     by_value
      - .offset:         152
        .size:           8
        .value_kind:     by_value
      - .offset:         160
        .size:           4
        .value_kind:     by_value
      - .offset:         164
        .size:           4
        .value_kind:     by_value
      - .offset:         168
        .size:           8
        .value_kind:     by_value
      - .offset:         176
        .size:           4
        .value_kind:     by_value
      - .offset:         180
        .size:           4
        .value_kind:     by_value
      - .offset:         184
        .size:           4
        .value_kind:     by_value
      - .offset:         188
        .size:           4
        .value_kind:     by_value
      - .offset:         192
        .size:           4
        .value_kind:     by_value
      - .offset:         200
        .size:           8
        .value_kind:     by_value
      - .offset:         208
        .size:           4
        .value_kind:     hidden_block_count_x
      - .offset:         212
        .size:           4
        .value_kind:     hidden_block_count_y
      - .offset:         216
        .size:           4
        .value_kind:     hidden_block_count_z
      - .offset:         220
        .size:           2
        .value_kind:     hidden_group_size_x
      - .offset:         222
        .size:           2
        .value_kind:     hidden_group_size_y
      - .offset:         224
        .size:           2
        .value_kind:     hidden_group_size_z
      - .offset:         226
        .size:           2
        .value_kind:     hidden_remainder_x
      - .offset:         228
        .size:           2
        .value_kind:     hidden_remainder_y
      - .offset:         230
        .size:           2
        .value_kind:     hidden_remainder_z
      - .offset:         248
        .size:           8
        .value_kind:     hidden_global_offset_x
      - .offset:         256
        .size:           8
        .value_kind:     hidden_global_offset_y
      - .offset:         264
        .size:           8
        .value_kind:     hidden_global_offset_z
      - .offset:         272
        .size:           2
        .value_kind:     hidden_grid_dims
    .group_segment_fixed_size: 26112
    .kernarg_segment_align: 8
    .kernarg_segment_size: 464
    .language:       OpenCL C
    .language_version:
      - 2
      - 0
    .max_flat_workgroup_size: 256
    .name:           _ZL15flash_attn_tileILi256ELi256ELi2ELi8ELb1EEvPKcS1_S1_S1_S1_PKiPfP15HIP_vector_typeIfLj2EEffffjfiS5_IjLj3EEiiiiiiiiiiiliiliiiiil
    .private_segment_fixed_size: 0
    .sgpr_count:     42
    .sgpr_spill_count: 0
    .symbol:         _ZL15flash_attn_tileILi256ELi256ELi2ELi8ELb1EEvPKcS1_S1_S1_S1_PKiPfP15HIP_vector_typeIfLj2EEffffjfiS5_IjLj3EEiiiiiiiiiiiliiliiiiil.kd
    .uniform_work_group_size: 1
    .uses_dynamic_stack: false
    .vgpr_count:     192
    .vgpr_spill_count: 0
    .wavefront_size: 32
    .workgroup_processor_mode: 1
  - .args:
      - .address_space:  global
        .offset:         0
        .size:           8
        .value_kind:     global_buffer
      - .address_space:  global
        .offset:         8
        .size:           8
        .value_kind:     global_buffer
      - .address_space:  global
        .offset:         16
        .size:           8
        .value_kind:     global_buffer
      - .address_space:  global
        .offset:         24
        .size:           8
        .value_kind:     global_buffer
      - .address_space:  global
        .offset:         32
        .size:           8
        .value_kind:     global_buffer
      - .address_space:  global
        .offset:         40
        .size:           8
        .value_kind:     global_buffer
      - .address_space:  global
        .offset:         48
        .size:           8
        .value_kind:     global_buffer
      - .address_space:  global
        .offset:         56
        .size:           8
        .value_kind:     global_buffer
      - .offset:         64
        .size:           4
        .value_kind:     by_value
      - .offset:         68
        .size:           4
        .value_kind:     by_value
      - .offset:         72
        .size:           4
        .value_kind:     by_value
      - .offset:         76
        .size:           4
        .value_kind:     by_value
      - .offset:         80
        .size:           4
        .value_kind:     by_value
      - .offset:         84
        .size:           4
        .value_kind:     by_value
      - .offset:         88
        .size:           4
        .value_kind:     by_value
      - .offset:         92
        .size:           12
        .value_kind:     by_value
      - .offset:         104
        .size:           4
        .value_kind:     by_value
      - .offset:         108
        .size:           4
        .value_kind:     by_value
      - .offset:         112
        .size:           4
        .value_kind:     by_value
      - .offset:         116
        .size:           4
        .value_kind:     by_value
      - .offset:         120
        .size:           4
        .value_kind:     by_value
      - .offset:         124
        .size:           4
        .value_kind:     by_value
      - .offset:         128
        .size:           4
        .value_kind:     by_value
      - .offset:         132
        .size:           4
        .value_kind:     by_value
      - .offset:         136
        .size:           4
        .value_kind:     by_value
      - .offset:         140
        .size:           4
        .value_kind:     by_value
      - .offset:         144
        .size:           4
        .value_kind:     by_value
      - .offset:         152
        .size:           8
        .value_kind:     by_value
      - .offset:         160
        .size:           4
        .value_kind:     by_value
      - .offset:         164
        .size:           4
        .value_kind:     by_value
      - .offset:         168
        .size:           8
        .value_kind:     by_value
      - .offset:         176
        .size:           4
        .value_kind:     by_value
      - .offset:         180
        .size:           4
        .value_kind:     by_value
      - .offset:         184
        .size:           4
        .value_kind:     by_value
      - .offset:         188
        .size:           4
        .value_kind:     by_value
      - .offset:         192
        .size:           4
        .value_kind:     by_value
      - .offset:         200
        .size:           8
        .value_kind:     by_value
      - .offset:         208
        .size:           4
        .value_kind:     hidden_block_count_x
      - .offset:         212
        .size:           4
        .value_kind:     hidden_block_count_y
      - .offset:         216
        .size:           4
        .value_kind:     hidden_block_count_z
      - .offset:         220
        .size:           2
        .value_kind:     hidden_group_size_x
      - .offset:         222
        .size:           2
        .value_kind:     hidden_group_size_y
      - .offset:         224
        .size:           2
        .value_kind:     hidden_group_size_z
      - .offset:         226
        .size:           2
        .value_kind:     hidden_remainder_x
      - .offset:         228
        .size:           2
        .value_kind:     hidden_remainder_y
      - .offset:         230
        .size:           2
        .value_kind:     hidden_remainder_z
      - .offset:         248
        .size:           8
        .value_kind:     hidden_global_offset_x
      - .offset:         256
        .size:           8
        .value_kind:     hidden_global_offset_y
      - .offset:         264
        .size:           8
        .value_kind:     hidden_global_offset_z
      - .offset:         272
        .size:           2
        .value_kind:     hidden_grid_dims
    .group_segment_fixed_size: 21504
    .kernarg_segment_align: 8
    .kernarg_segment_size: 464
    .language:       OpenCL C
    .language_version:
      - 2
      - 0
    .max_flat_workgroup_size: 128
    .name:           _ZL15flash_attn_tileILi256ELi256ELi1ELi8ELb1EEvPKcS1_S1_S1_S1_PKiPfP15HIP_vector_typeIfLj2EEffffjfiS5_IjLj3EEiiiiiiiiiiiliiliiiiil
    .private_segment_fixed_size: 0
    .sgpr_count:     44
    .sgpr_spill_count: 0
    .symbol:         _ZL15flash_attn_tileILi256ELi256ELi1ELi8ELb1EEvPKcS1_S1_S1_S1_PKiPfP15HIP_vector_typeIfLj2EEffffjfiS5_IjLj3EEiiiiiiiiiiiliiliiiiil.kd
    .uniform_work_group_size: 1
    .uses_dynamic_stack: false
    .vgpr_count:     108
    .vgpr_spill_count: 0
    .wavefront_size: 32
    .workgroup_processor_mode: 1
  - .args:
      - .address_space:  global
        .offset:         0
        .size:           8
        .value_kind:     global_buffer
      - .address_space:  global
        .offset:         8
        .size:           8
        .value_kind:     global_buffer
      - .address_space:  global
        .offset:         16
        .size:           8
        .value_kind:     global_buffer
      - .address_space:  global
        .offset:         24
        .size:           8
        .value_kind:     global_buffer
      - .address_space:  global
        .offset:         32
        .size:           8
        .value_kind:     global_buffer
      - .address_space:  global
        .offset:         40
        .size:           8
        .value_kind:     global_buffer
      - .address_space:  global
        .offset:         48
        .size:           8
        .value_kind:     global_buffer
      - .address_space:  global
        .offset:         56
        .size:           8
        .value_kind:     global_buffer
      - .offset:         64
        .size:           4
        .value_kind:     by_value
      - .offset:         68
        .size:           4
        .value_kind:     by_value
      - .offset:         72
        .size:           4
        .value_kind:     by_value
      - .offset:         76
        .size:           4
        .value_kind:     by_value
      - .offset:         80
        .size:           4
        .value_kind:     by_value
      - .offset:         84
        .size:           4
        .value_kind:     by_value
      - .offset:         88
        .size:           4
        .value_kind:     by_value
      - .offset:         92
        .size:           12
        .value_kind:     by_value
      - .offset:         104
        .size:           4
        .value_kind:     by_value
      - .offset:         108
        .size:           4
        .value_kind:     by_value
      - .offset:         112
        .size:           4
        .value_kind:     by_value
      - .offset:         116
        .size:           4
        .value_kind:     by_value
      - .offset:         120
        .size:           4
        .value_kind:     by_value
      - .offset:         124
        .size:           4
        .value_kind:     by_value
      - .offset:         128
        .size:           4
        .value_kind:     by_value
      - .offset:         132
        .size:           4
        .value_kind:     by_value
      - .offset:         136
        .size:           4
        .value_kind:     by_value
      - .offset:         140
        .size:           4
        .value_kind:     by_value
      - .offset:         144
        .size:           4
        .value_kind:     by_value
      - .offset:         152
        .size:           8
        .value_kind:     by_value
      - .offset:         160
        .size:           4
        .value_kind:     by_value
      - .offset:         164
        .size:           4
        .value_kind:     by_value
      - .offset:         168
        .size:           8
        .value_kind:     by_value
      - .offset:         176
        .size:           4
        .value_kind:     by_value
      - .offset:         180
        .size:           4
        .value_kind:     by_value
      - .offset:         184
        .size:           4
        .value_kind:     by_value
      - .offset:         188
        .size:           4
        .value_kind:     by_value
      - .offset:         192
        .size:           4
        .value_kind:     by_value
      - .offset:         200
        .size:           8
        .value_kind:     by_value
      - .offset:         208
        .size:           4
        .value_kind:     hidden_block_count_x
      - .offset:         212
        .size:           4
        .value_kind:     hidden_block_count_y
      - .offset:         216
        .size:           4
        .value_kind:     hidden_block_count_z
      - .offset:         220
        .size:           2
        .value_kind:     hidden_group_size_x
      - .offset:         222
        .size:           2
        .value_kind:     hidden_group_size_y
      - .offset:         224
        .size:           2
        .value_kind:     hidden_group_size_z
      - .offset:         226
        .size:           2
        .value_kind:     hidden_remainder_x
      - .offset:         228
        .size:           2
        .value_kind:     hidden_remainder_y
      - .offset:         230
        .size:           2
        .value_kind:     hidden_remainder_z
      - .offset:         248
        .size:           8
        .value_kind:     hidden_global_offset_x
      - .offset:         256
        .size:           8
        .value_kind:     hidden_global_offset_y
      - .offset:         264
        .size:           8
        .value_kind:     hidden_global_offset_z
      - .offset:         272
        .size:           2
        .value_kind:     hidden_grid_dims
    .group_segment_fixed_size: 37888
    .kernarg_segment_align: 8
    .kernarg_segment_size: 464
    .language:       OpenCL C
    .language_version:
      - 2
      - 0
    .max_flat_workgroup_size: 256
    .name:           _ZL15flash_attn_tileILi256ELi256ELi8ELi4ELb1EEvPKcS1_S1_S1_S1_PKiPfP15HIP_vector_typeIfLj2EEffffjfiS5_IjLj3EEiiiiiiiiiiiliiliiiiil
    .private_segment_fixed_size: 0
    .sgpr_count:     42
    .sgpr_spill_count: 0
    .symbol:         _ZL15flash_attn_tileILi256ELi256ELi8ELi4ELb1EEvPKcS1_S1_S1_S1_PKiPfP15HIP_vector_typeIfLj2EEffffjfiS5_IjLj3EEiiiiiiiiiiiliiliiiiil.kd
    .uniform_work_group_size: 1
    .uses_dynamic_stack: false
    .vgpr_count:     213
    .vgpr_spill_count: 0
    .wavefront_size: 32
    .workgroup_processor_mode: 1
  - .args:
      - .address_space:  global
        .offset:         0
        .size:           8
        .value_kind:     global_buffer
      - .address_space:  global
        .offset:         8
        .size:           8
        .value_kind:     global_buffer
      - .address_space:  global
        .offset:         16
        .size:           8
        .value_kind:     global_buffer
      - .address_space:  global
        .offset:         24
        .size:           8
        .value_kind:     global_buffer
      - .address_space:  global
        .offset:         32
        .size:           8
        .value_kind:     global_buffer
      - .address_space:  global
        .offset:         40
        .size:           8
        .value_kind:     global_buffer
      - .address_space:  global
        .offset:         48
        .size:           8
        .value_kind:     global_buffer
      - .address_space:  global
        .offset:         56
        .size:           8
        .value_kind:     global_buffer
      - .offset:         64
        .size:           4
        .value_kind:     by_value
      - .offset:         68
        .size:           4
        .value_kind:     by_value
      - .offset:         72
        .size:           4
        .value_kind:     by_value
      - .offset:         76
        .size:           4
        .value_kind:     by_value
      - .offset:         80
        .size:           4
        .value_kind:     by_value
      - .offset:         84
        .size:           4
        .value_kind:     by_value
      - .offset:         88
        .size:           4
        .value_kind:     by_value
      - .offset:         92
        .size:           12
        .value_kind:     by_value
      - .offset:         104
        .size:           4
        .value_kind:     by_value
      - .offset:         108
        .size:           4
        .value_kind:     by_value
      - .offset:         112
        .size:           4
        .value_kind:     by_value
      - .offset:         116
        .size:           4
        .value_kind:     by_value
      - .offset:         120
        .size:           4
        .value_kind:     by_value
      - .offset:         124
        .size:           4
        .value_kind:     by_value
      - .offset:         128
        .size:           4
        .value_kind:     by_value
      - .offset:         132
        .size:           4
        .value_kind:     by_value
      - .offset:         136
        .size:           4
        .value_kind:     by_value
      - .offset:         140
        .size:           4
        .value_kind:     by_value
      - .offset:         144
        .size:           4
        .value_kind:     by_value
      - .offset:         152
        .size:           8
        .value_kind:     by_value
      - .offset:         160
        .size:           4
        .value_kind:     by_value
      - .offset:         164
        .size:           4
        .value_kind:     by_value
      - .offset:         168
        .size:           8
        .value_kind:     by_value
      - .offset:         176
        .size:           4
        .value_kind:     by_value
      - .offset:         180
        .size:           4
        .value_kind:     by_value
      - .offset:         184
        .size:           4
        .value_kind:     by_value
      - .offset:         188
        .size:           4
        .value_kind:     by_value
      - .offset:         192
        .size:           4
        .value_kind:     by_value
      - .offset:         200
        .size:           8
        .value_kind:     by_value
      - .offset:         208
        .size:           4
        .value_kind:     hidden_block_count_x
      - .offset:         212
        .size:           4
        .value_kind:     hidden_block_count_y
      - .offset:         216
        .size:           4
        .value_kind:     hidden_block_count_z
      - .offset:         220
        .size:           2
        .value_kind:     hidden_group_size_x
      - .offset:         222
        .size:           2
        .value_kind:     hidden_group_size_y
      - .offset:         224
        .size:           2
        .value_kind:     hidden_group_size_z
      - .offset:         226
        .size:           2
        .value_kind:     hidden_remainder_x
      - .offset:         228
        .size:           2
        .value_kind:     hidden_remainder_y
      - .offset:         230
        .size:           2
        .value_kind:     hidden_remainder_z
      - .offset:         248
        .size:           8
        .value_kind:     hidden_global_offset_x
      - .offset:         256
        .size:           8
        .value_kind:     hidden_global_offset_y
      - .offset:         264
        .size:           8
        .value_kind:     hidden_global_offset_z
      - .offset:         272
        .size:           2
        .value_kind:     hidden_grid_dims
    .group_segment_fixed_size: 26112
    .kernarg_segment_align: 8
    .kernarg_segment_size: 464
    .language:       OpenCL C
    .language_version:
      - 2
      - 0
    .max_flat_workgroup_size: 256
    .name:           _ZL15flash_attn_tileILi256ELi256ELi4ELi4ELb1EEvPKcS1_S1_S1_S1_PKiPfP15HIP_vector_typeIfLj2EEffffjfiS5_IjLj3EEiiiiiiiiiiiliiliiiiil
    .private_segment_fixed_size: 0
    .sgpr_count:     42
    .sgpr_spill_count: 0
    .symbol:         _ZL15flash_attn_tileILi256ELi256ELi4ELi4ELb1EEvPKcS1_S1_S1_S1_PKiPfP15HIP_vector_typeIfLj2EEffffjfiS5_IjLj3EEiiiiiiiiiiiliiliiiiil.kd
    .uniform_work_group_size: 1
    .uses_dynamic_stack: false
    .vgpr_count:     192
    .vgpr_spill_count: 0
    .wavefront_size: 32
    .workgroup_processor_mode: 1
  - .args:
      - .address_space:  global
        .offset:         0
        .size:           8
        .value_kind:     global_buffer
      - .address_space:  global
        .offset:         8
        .size:           8
        .value_kind:     global_buffer
      - .address_space:  global
        .offset:         16
        .size:           8
        .value_kind:     global_buffer
      - .address_space:  global
        .offset:         24
        .size:           8
        .value_kind:     global_buffer
      - .address_space:  global
        .offset:         32
        .size:           8
        .value_kind:     global_buffer
      - .address_space:  global
        .offset:         40
        .size:           8
        .value_kind:     global_buffer
      - .address_space:  global
        .offset:         48
        .size:           8
        .value_kind:     global_buffer
      - .address_space:  global
        .offset:         56
        .size:           8
        .value_kind:     global_buffer
      - .offset:         64
        .size:           4
        .value_kind:     by_value
      - .offset:         68
        .size:           4
        .value_kind:     by_value
      - .offset:         72
        .size:           4
        .value_kind:     by_value
      - .offset:         76
        .size:           4
        .value_kind:     by_value
      - .offset:         80
        .size:           4
        .value_kind:     by_value
      - .offset:         84
        .size:           4
        .value_kind:     by_value
      - .offset:         88
        .size:           4
        .value_kind:     by_value
      - .offset:         92
        .size:           12
        .value_kind:     by_value
      - .offset:         104
        .size:           4
        .value_kind:     by_value
      - .offset:         108
        .size:           4
        .value_kind:     by_value
      - .offset:         112
        .size:           4
        .value_kind:     by_value
      - .offset:         116
        .size:           4
        .value_kind:     by_value
      - .offset:         120
        .size:           4
        .value_kind:     by_value
      - .offset:         124
        .size:           4
        .value_kind:     by_value
      - .offset:         128
        .size:           4
        .value_kind:     by_value
      - .offset:         132
        .size:           4
        .value_kind:     by_value
      - .offset:         136
        .size:           4
        .value_kind:     by_value
      - .offset:         140
        .size:           4
        .value_kind:     by_value
      - .offset:         144
        .size:           4
        .value_kind:     by_value
      - .offset:         152
        .size:           8
        .value_kind:     by_value
      - .offset:         160
        .size:           4
        .value_kind:     by_value
      - .offset:         164
        .size:           4
        .value_kind:     by_value
      - .offset:         168
        .size:           8
        .value_kind:     by_value
      - .offset:         176
        .size:           4
        .value_kind:     by_value
      - .offset:         180
        .size:           4
        .value_kind:     by_value
      - .offset:         184
        .size:           4
        .value_kind:     by_value
      - .offset:         188
        .size:           4
        .value_kind:     by_value
      - .offset:         192
        .size:           4
        .value_kind:     by_value
      - .offset:         200
        .size:           8
        .value_kind:     by_value
      - .offset:         208
        .size:           4
        .value_kind:     hidden_block_count_x
      - .offset:         212
        .size:           4
        .value_kind:     hidden_block_count_y
      - .offset:         216
        .size:           4
        .value_kind:     hidden_block_count_z
      - .offset:         220
        .size:           2
        .value_kind:     hidden_group_size_x
      - .offset:         222
        .size:           2
        .value_kind:     hidden_group_size_y
      - .offset:         224
        .size:           2
        .value_kind:     hidden_group_size_z
      - .offset:         226
        .size:           2
        .value_kind:     hidden_remainder_x
      - .offset:         228
        .size:           2
        .value_kind:     hidden_remainder_y
      - .offset:         230
        .size:           2
        .value_kind:     hidden_remainder_z
      - .offset:         248
        .size:           8
        .value_kind:     hidden_global_offset_x
      - .offset:         256
        .size:           8
        .value_kind:     hidden_global_offset_y
      - .offset:         264
        .size:           8
        .value_kind:     hidden_global_offset_z
      - .offset:         272
        .size:           2
        .value_kind:     hidden_grid_dims
    .group_segment_fixed_size: 21504
    .kernarg_segment_align: 8
    .kernarg_segment_size: 464
    .language:       OpenCL C
    .language_version:
      - 2
      - 0
    .max_flat_workgroup_size: 128
    .name:           _ZL15flash_attn_tileILi256ELi256ELi2ELi4ELb1EEvPKcS1_S1_S1_S1_PKiPfP15HIP_vector_typeIfLj2EEffffjfiS5_IjLj3EEiiiiiiiiiiiliiliiiiil
    .private_segment_fixed_size: 0
    .sgpr_count:     44
    .sgpr_spill_count: 0
    .symbol:         _ZL15flash_attn_tileILi256ELi256ELi2ELi4ELb1EEvPKcS1_S1_S1_S1_PKiPfP15HIP_vector_typeIfLj2EEffffjfiS5_IjLj3EEiiiiiiiiiiiliiliiiiil.kd
    .uniform_work_group_size: 1
    .uses_dynamic_stack: false
    .vgpr_count:     108
    .vgpr_spill_count: 0
    .wavefront_size: 32
    .workgroup_processor_mode: 1
  - .args:
      - .address_space:  global
        .offset:         0
        .size:           8
        .value_kind:     global_buffer
      - .address_space:  global
        .offset:         8
        .size:           8
        .value_kind:     global_buffer
      - .address_space:  global
        .offset:         16
        .size:           8
        .value_kind:     global_buffer
      - .address_space:  global
        .offset:         24
        .size:           8
        .value_kind:     global_buffer
      - .address_space:  global
        .offset:         32
        .size:           8
        .value_kind:     global_buffer
      - .address_space:  global
        .offset:         40
        .size:           8
        .value_kind:     global_buffer
      - .address_space:  global
        .offset:         48
        .size:           8
        .value_kind:     global_buffer
      - .address_space:  global
        .offset:         56
        .size:           8
        .value_kind:     global_buffer
      - .offset:         64
        .size:           4
        .value_kind:     by_value
      - .offset:         68
        .size:           4
        .value_kind:     by_value
      - .offset:         72
        .size:           4
        .value_kind:     by_value
      - .offset:         76
        .size:           4
        .value_kind:     by_value
      - .offset:         80
        .size:           4
        .value_kind:     by_value
      - .offset:         84
        .size:           4
        .value_kind:     by_value
      - .offset:         88
        .size:           4
        .value_kind:     by_value
      - .offset:         92
        .size:           12
        .value_kind:     by_value
      - .offset:         104
        .size:           4
        .value_kind:     by_value
      - .offset:         108
        .size:           4
        .value_kind:     by_value
      - .offset:         112
        .size:           4
        .value_kind:     by_value
      - .offset:         116
        .size:           4
        .value_kind:     by_value
      - .offset:         120
        .size:           4
        .value_kind:     by_value
      - .offset:         124
        .size:           4
        .value_kind:     by_value
      - .offset:         128
        .size:           4
        .value_kind:     by_value
      - .offset:         132
        .size:           4
        .value_kind:     by_value
      - .offset:         136
        .size:           4
        .value_kind:     by_value
      - .offset:         140
        .size:           4
        .value_kind:     by_value
      - .offset:         144
        .size:           4
        .value_kind:     by_value
      - .offset:         152
        .size:           8
        .value_kind:     by_value
      - .offset:         160
        .size:           4
        .value_kind:     by_value
      - .offset:         164
        .size:           4
        .value_kind:     by_value
      - .offset:         168
        .size:           8
        .value_kind:     by_value
      - .offset:         176
        .size:           4
        .value_kind:     by_value
      - .offset:         180
        .size:           4
        .value_kind:     by_value
      - .offset:         184
        .size:           4
        .value_kind:     by_value
      - .offset:         188
        .size:           4
        .value_kind:     by_value
      - .offset:         192
        .size:           4
        .value_kind:     by_value
      - .offset:         200
        .size:           8
        .value_kind:     by_value
      - .offset:         208
        .size:           4
        .value_kind:     hidden_block_count_x
      - .offset:         212
        .size:           4
        .value_kind:     hidden_block_count_y
      - .offset:         216
        .size:           4
        .value_kind:     hidden_block_count_z
      - .offset:         220
        .size:           2
        .value_kind:     hidden_group_size_x
      - .offset:         222
        .size:           2
        .value_kind:     hidden_group_size_y
      - .offset:         224
        .size:           2
        .value_kind:     hidden_group_size_z
      - .offset:         226
        .size:           2
        .value_kind:     hidden_remainder_x
      - .offset:         228
        .size:           2
        .value_kind:     hidden_remainder_y
      - .offset:         230
        .size:           2
        .value_kind:     hidden_remainder_z
      - .offset:         248
        .size:           8
        .value_kind:     hidden_global_offset_x
      - .offset:         256
        .size:           8
        .value_kind:     hidden_global_offset_y
      - .offset:         264
        .size:           8
        .value_kind:     hidden_global_offset_z
      - .offset:         272
        .size:           2
        .value_kind:     hidden_grid_dims
    .group_segment_fixed_size: 19200
    .kernarg_segment_align: 8
    .kernarg_segment_size: 464
    .language:       OpenCL C
    .language_version:
      - 2
      - 0
    .max_flat_workgroup_size: 128
    .name:           _ZL15flash_attn_tileILi256ELi256ELi1ELi4ELb1EEvPKcS1_S1_S1_S1_PKiPfP15HIP_vector_typeIfLj2EEffffjfiS5_IjLj3EEiiiiiiiiiiiliiliiiiil
    .private_segment_fixed_size: 0
    .sgpr_count:     44
    .sgpr_spill_count: 0
    .symbol:         _ZL15flash_attn_tileILi256ELi256ELi1ELi4ELb1EEvPKcS1_S1_S1_S1_PKiPfP15HIP_vector_typeIfLj2EEffffjfiS5_IjLj3EEiiiiiiiiiiiliiliiiiil.kd
    .uniform_work_group_size: 1
    .uses_dynamic_stack: false
    .vgpr_count:     133
    .vgpr_spill_count: 0
    .wavefront_size: 32
    .workgroup_processor_mode: 1
  - .args:
      - .address_space:  global
        .offset:         0
        .size:           8
        .value_kind:     global_buffer
      - .address_space:  global
        .offset:         8
        .size:           8
        .value_kind:     global_buffer
      - .address_space:  global
        .offset:         16
        .size:           8
        .value_kind:     global_buffer
      - .address_space:  global
        .offset:         24
        .size:           8
        .value_kind:     global_buffer
      - .address_space:  global
        .offset:         32
        .size:           8
        .value_kind:     global_buffer
      - .address_space:  global
        .offset:         40
        .size:           8
        .value_kind:     global_buffer
      - .address_space:  global
        .offset:         48
        .size:           8
        .value_kind:     global_buffer
      - .address_space:  global
        .offset:         56
        .size:           8
        .value_kind:     global_buffer
      - .offset:         64
        .size:           4
        .value_kind:     by_value
      - .offset:         68
        .size:           4
        .value_kind:     by_value
      - .offset:         72
        .size:           4
        .value_kind:     by_value
      - .offset:         76
        .size:           4
        .value_kind:     by_value
      - .offset:         80
        .size:           4
        .value_kind:     by_value
      - .offset:         84
        .size:           4
        .value_kind:     by_value
      - .offset:         88
        .size:           4
        .value_kind:     by_value
      - .offset:         92
        .size:           12
        .value_kind:     by_value
      - .offset:         104
        .size:           4
        .value_kind:     by_value
      - .offset:         108
        .size:           4
        .value_kind:     by_value
      - .offset:         112
        .size:           4
        .value_kind:     by_value
      - .offset:         116
        .size:           4
        .value_kind:     by_value
      - .offset:         120
        .size:           4
        .value_kind:     by_value
      - .offset:         124
        .size:           4
        .value_kind:     by_value
      - .offset:         128
        .size:           4
        .value_kind:     by_value
      - .offset:         132
        .size:           4
        .value_kind:     by_value
      - .offset:         136
        .size:           4
        .value_kind:     by_value
      - .offset:         140
        .size:           4
        .value_kind:     by_value
      - .offset:         144
        .size:           4
        .value_kind:     by_value
      - .offset:         152
        .size:           8
        .value_kind:     by_value
      - .offset:         160
        .size:           4
        .value_kind:     by_value
      - .offset:         164
        .size:           4
        .value_kind:     by_value
      - .offset:         168
        .size:           8
        .value_kind:     by_value
      - .offset:         176
        .size:           4
        .value_kind:     by_value
      - .offset:         180
        .size:           4
        .value_kind:     by_value
      - .offset:         184
        .size:           4
        .value_kind:     by_value
      - .offset:         188
        .size:           4
        .value_kind:     by_value
      - .offset:         192
        .size:           4
        .value_kind:     by_value
      - .offset:         200
        .size:           8
        .value_kind:     by_value
      - .offset:         208
        .size:           4
        .value_kind:     hidden_block_count_x
      - .offset:         212
        .size:           4
        .value_kind:     hidden_block_count_y
      - .offset:         216
        .size:           4
        .value_kind:     hidden_block_count_z
      - .offset:         220
        .size:           2
        .value_kind:     hidden_group_size_x
      - .offset:         222
        .size:           2
        .value_kind:     hidden_group_size_y
      - .offset:         224
        .size:           2
        .value_kind:     hidden_group_size_z
      - .offset:         226
        .size:           2
        .value_kind:     hidden_remainder_x
      - .offset:         228
        .size:           2
        .value_kind:     hidden_remainder_y
      - .offset:         230
        .size:           2
        .value_kind:     hidden_remainder_z
      - .offset:         248
        .size:           8
        .value_kind:     hidden_global_offset_x
      - .offset:         256
        .size:           8
        .value_kind:     hidden_global_offset_y
      - .offset:         264
        .size:           8
        .value_kind:     hidden_global_offset_z
      - .offset:         272
        .size:           2
        .value_kind:     hidden_grid_dims
    .group_segment_fixed_size: 37888
    .kernarg_segment_align: 8
    .kernarg_segment_size: 464
    .language:       OpenCL C
    .language_version:
      - 2
      - 0
    .max_flat_workgroup_size: 256
    .name:           _ZL15flash_attn_tileILi256ELi256ELi16ELi2ELb1EEvPKcS1_S1_S1_S1_PKiPfP15HIP_vector_typeIfLj2EEffffjfiS5_IjLj3EEiiiiiiiiiiiliiliiiiil
    .private_segment_fixed_size: 0
    .sgpr_count:     45
    .sgpr_spill_count: 0
    .symbol:         _ZL15flash_attn_tileILi256ELi256ELi16ELi2ELb1EEvPKcS1_S1_S1_S1_PKiPfP15HIP_vector_typeIfLj2EEffffjfiS5_IjLj3EEiiiiiiiiiiiliiliiiiil.kd
    .uniform_work_group_size: 1
    .uses_dynamic_stack: false
    .vgpr_count:     219
    .vgpr_spill_count: 0
    .wavefront_size: 32
    .workgroup_processor_mode: 1
  - .args:
      - .address_space:  global
        .offset:         0
        .size:           8
        .value_kind:     global_buffer
      - .address_space:  global
        .offset:         8
        .size:           8
        .value_kind:     global_buffer
      - .address_space:  global
        .offset:         16
        .size:           8
        .value_kind:     global_buffer
      - .address_space:  global
        .offset:         24
        .size:           8
        .value_kind:     global_buffer
      - .address_space:  global
        .offset:         32
        .size:           8
        .value_kind:     global_buffer
      - .address_space:  global
        .offset:         40
        .size:           8
        .value_kind:     global_buffer
      - .address_space:  global
        .offset:         48
        .size:           8
        .value_kind:     global_buffer
      - .address_space:  global
        .offset:         56
        .size:           8
        .value_kind:     global_buffer
      - .offset:         64
        .size:           4
        .value_kind:     by_value
      - .offset:         68
        .size:           4
        .value_kind:     by_value
      - .offset:         72
        .size:           4
        .value_kind:     by_value
      - .offset:         76
        .size:           4
        .value_kind:     by_value
      - .offset:         80
        .size:           4
        .value_kind:     by_value
      - .offset:         84
        .size:           4
        .value_kind:     by_value
      - .offset:         88
        .size:           4
        .value_kind:     by_value
      - .offset:         92
        .size:           12
        .value_kind:     by_value
      - .offset:         104
        .size:           4
        .value_kind:     by_value
      - .offset:         108
        .size:           4
        .value_kind:     by_value
      - .offset:         112
        .size:           4
        .value_kind:     by_value
      - .offset:         116
        .size:           4
        .value_kind:     by_value
      - .offset:         120
        .size:           4
        .value_kind:     by_value
      - .offset:         124
        .size:           4
        .value_kind:     by_value
      - .offset:         128
        .size:           4
        .value_kind:     by_value
      - .offset:         132
        .size:           4
        .value_kind:     by_value
      - .offset:         136
        .size:           4
        .value_kind:     by_value
      - .offset:         140
        .size:           4
        .value_kind:     by_value
      - .offset:         144
        .size:           4
        .value_kind:     by_value
      - .offset:         152
        .size:           8
        .value_kind:     by_value
      - .offset:         160
        .size:           4
        .value_kind:     by_value
      - .offset:         164
        .size:           4
        .value_kind:     by_value
      - .offset:         168
        .size:           8
        .value_kind:     by_value
      - .offset:         176
        .size:           4
        .value_kind:     by_value
      - .offset:         180
        .size:           4
        .value_kind:     by_value
      - .offset:         184
        .size:           4
        .value_kind:     by_value
      - .offset:         188
        .size:           4
        .value_kind:     by_value
      - .offset:         192
        .size:           4
        .value_kind:     by_value
      - .offset:         200
        .size:           8
        .value_kind:     by_value
      - .offset:         208
        .size:           4
        .value_kind:     hidden_block_count_x
      - .offset:         212
        .size:           4
        .value_kind:     hidden_block_count_y
      - .offset:         216
        .size:           4
        .value_kind:     hidden_block_count_z
      - .offset:         220
        .size:           2
        .value_kind:     hidden_group_size_x
      - .offset:         222
        .size:           2
        .value_kind:     hidden_group_size_y
      - .offset:         224
        .size:           2
        .value_kind:     hidden_group_size_z
      - .offset:         226
        .size:           2
        .value_kind:     hidden_remainder_x
      - .offset:         228
        .size:           2
        .value_kind:     hidden_remainder_y
      - .offset:         230
        .size:           2
        .value_kind:     hidden_remainder_z
      - .offset:         248
        .size:           8
        .value_kind:     hidden_global_offset_x
      - .offset:         256
        .size:           8
        .value_kind:     hidden_global_offset_y
      - .offset:         264
        .size:           8
        .value_kind:     hidden_global_offset_z
      - .offset:         272
        .size:           2
        .value_kind:     hidden_grid_dims
    .group_segment_fixed_size: 26112
    .kernarg_segment_align: 8
    .kernarg_segment_size: 464
    .language:       OpenCL C
    .language_version:
      - 2
      - 0
    .max_flat_workgroup_size: 256
    .name:           _ZL15flash_attn_tileILi256ELi256ELi8ELi2ELb1EEvPKcS1_S1_S1_S1_PKiPfP15HIP_vector_typeIfLj2EEffffjfiS5_IjLj3EEiiiiiiiiiiiliiliiiiil
    .private_segment_fixed_size: 0
    .sgpr_count:     42
    .sgpr_spill_count: 0
    .symbol:         _ZL15flash_attn_tileILi256ELi256ELi8ELi2ELb1EEvPKcS1_S1_S1_S1_PKiPfP15HIP_vector_typeIfLj2EEffffjfiS5_IjLj3EEiiiiiiiiiiiliiliiiiil.kd
    .uniform_work_group_size: 1
    .uses_dynamic_stack: false
    .vgpr_count:     191
    .vgpr_spill_count: 0
    .wavefront_size: 32
    .workgroup_processor_mode: 1
  - .args:
      - .address_space:  global
        .offset:         0
        .size:           8
        .value_kind:     global_buffer
      - .address_space:  global
        .offset:         8
        .size:           8
        .value_kind:     global_buffer
      - .address_space:  global
        .offset:         16
        .size:           8
        .value_kind:     global_buffer
      - .address_space:  global
        .offset:         24
        .size:           8
        .value_kind:     global_buffer
      - .address_space:  global
        .offset:         32
        .size:           8
        .value_kind:     global_buffer
      - .address_space:  global
        .offset:         40
        .size:           8
        .value_kind:     global_buffer
      - .address_space:  global
        .offset:         48
        .size:           8
        .value_kind:     global_buffer
      - .address_space:  global
        .offset:         56
        .size:           8
        .value_kind:     global_buffer
      - .offset:         64
        .size:           4
        .value_kind:     by_value
      - .offset:         68
        .size:           4
        .value_kind:     by_value
      - .offset:         72
        .size:           4
        .value_kind:     by_value
      - .offset:         76
        .size:           4
        .value_kind:     by_value
      - .offset:         80
        .size:           4
        .value_kind:     by_value
      - .offset:         84
        .size:           4
        .value_kind:     by_value
      - .offset:         88
        .size:           4
        .value_kind:     by_value
      - .offset:         92
        .size:           12
        .value_kind:     by_value
      - .offset:         104
        .size:           4
        .value_kind:     by_value
      - .offset:         108
        .size:           4
        .value_kind:     by_value
      - .offset:         112
        .size:           4
        .value_kind:     by_value
      - .offset:         116
        .size:           4
        .value_kind:     by_value
      - .offset:         120
        .size:           4
        .value_kind:     by_value
      - .offset:         124
        .size:           4
        .value_kind:     by_value
      - .offset:         128
        .size:           4
        .value_kind:     by_value
      - .offset:         132
        .size:           4
        .value_kind:     by_value
      - .offset:         136
        .size:           4
        .value_kind:     by_value
      - .offset:         140
        .size:           4
        .value_kind:     by_value
      - .offset:         144
        .size:           4
        .value_kind:     by_value
      - .offset:         152
        .size:           8
        .value_kind:     by_value
      - .offset:         160
        .size:           4
        .value_kind:     by_value
      - .offset:         164
        .size:           4
        .value_kind:     by_value
      - .offset:         168
        .size:           8
        .value_kind:     by_value
      - .offset:         176
        .size:           4
        .value_kind:     by_value
      - .offset:         180
        .size:           4
        .value_kind:     by_value
      - .offset:         184
        .size:           4
        .value_kind:     by_value
      - .offset:         188
        .size:           4
        .value_kind:     by_value
      - .offset:         192
        .size:           4
        .value_kind:     by_value
      - .offset:         200
        .size:           8
        .value_kind:     by_value
      - .offset:         208
        .size:           4
        .value_kind:     hidden_block_count_x
      - .offset:         212
        .size:           4
        .value_kind:     hidden_block_count_y
      - .offset:         216
        .size:           4
        .value_kind:     hidden_block_count_z
      - .offset:         220
        .size:           2
        .value_kind:     hidden_group_size_x
      - .offset:         222
        .size:           2
        .value_kind:     hidden_group_size_y
      - .offset:         224
        .size:           2
        .value_kind:     hidden_group_size_z
      - .offset:         226
        .size:           2
        .value_kind:     hidden_remainder_x
      - .offset:         228
        .size:           2
        .value_kind:     hidden_remainder_y
      - .offset:         230
        .size:           2
        .value_kind:     hidden_remainder_z
      - .offset:         248
        .size:           8
        .value_kind:     hidden_global_offset_x
      - .offset:         256
        .size:           8
        .value_kind:     hidden_global_offset_y
      - .offset:         264
        .size:           8
        .value_kind:     hidden_global_offset_z
      - .offset:         272
        .size:           2
        .value_kind:     hidden_grid_dims
    .group_segment_fixed_size: 21504
    .kernarg_segment_align: 8
    .kernarg_segment_size: 464
    .language:       OpenCL C
    .language_version:
      - 2
      - 0
    .max_flat_workgroup_size: 128
    .name:           _ZL15flash_attn_tileILi256ELi256ELi4ELi2ELb1EEvPKcS1_S1_S1_S1_PKiPfP15HIP_vector_typeIfLj2EEffffjfiS5_IjLj3EEiiiiiiiiiiiliiliiiiil
    .private_segment_fixed_size: 0
    .sgpr_count:     44
    .sgpr_spill_count: 0
    .symbol:         _ZL15flash_attn_tileILi256ELi256ELi4ELi2ELb1EEvPKcS1_S1_S1_S1_PKiPfP15HIP_vector_typeIfLj2EEffffjfiS5_IjLj3EEiiiiiiiiiiiliiliiiiil.kd
    .uniform_work_group_size: 1
    .uses_dynamic_stack: false
    .vgpr_count:     107
    .vgpr_spill_count: 0
    .wavefront_size: 32
    .workgroup_processor_mode: 1
  - .args:
      - .address_space:  global
        .offset:         0
        .size:           8
        .value_kind:     global_buffer
      - .address_space:  global
        .offset:         8
        .size:           8
        .value_kind:     global_buffer
      - .address_space:  global
        .offset:         16
        .size:           8
        .value_kind:     global_buffer
      - .address_space:  global
        .offset:         24
        .size:           8
        .value_kind:     global_buffer
      - .address_space:  global
        .offset:         32
        .size:           8
        .value_kind:     global_buffer
      - .address_space:  global
        .offset:         40
        .size:           8
        .value_kind:     global_buffer
      - .address_space:  global
        .offset:         48
        .size:           8
        .value_kind:     global_buffer
      - .address_space:  global
        .offset:         56
        .size:           8
        .value_kind:     global_buffer
      - .offset:         64
        .size:           4
        .value_kind:     by_value
      - .offset:         68
        .size:           4
        .value_kind:     by_value
      - .offset:         72
        .size:           4
        .value_kind:     by_value
      - .offset:         76
        .size:           4
        .value_kind:     by_value
      - .offset:         80
        .size:           4
        .value_kind:     by_value
      - .offset:         84
        .size:           4
        .value_kind:     by_value
      - .offset:         88
        .size:           4
        .value_kind:     by_value
      - .offset:         92
        .size:           12
        .value_kind:     by_value
      - .offset:         104
        .size:           4
        .value_kind:     by_value
      - .offset:         108
        .size:           4
        .value_kind:     by_value
      - .offset:         112
        .size:           4
        .value_kind:     by_value
      - .offset:         116
        .size:           4
        .value_kind:     by_value
      - .offset:         120
        .size:           4
        .value_kind:     by_value
      - .offset:         124
        .size:           4
        .value_kind:     by_value
      - .offset:         128
        .size:           4
        .value_kind:     by_value
      - .offset:         132
        .size:           4
        .value_kind:     by_value
      - .offset:         136
        .size:           4
        .value_kind:     by_value
      - .offset:         140
        .size:           4
        .value_kind:     by_value
      - .offset:         144
        .size:           4
        .value_kind:     by_value
      - .offset:         152
        .size:           8
        .value_kind:     by_value
      - .offset:         160
        .size:           4
        .value_kind:     by_value
      - .offset:         164
        .size:           4
        .value_kind:     by_value
      - .offset:         168
        .size:           8
        .value_kind:     by_value
      - .offset:         176
        .size:           4
        .value_kind:     by_value
      - .offset:         180
        .size:           4
        .value_kind:     by_value
      - .offset:         184
        .size:           4
        .value_kind:     by_value
      - .offset:         188
        .size:           4
        .value_kind:     by_value
      - .offset:         192
        .size:           4
        .value_kind:     by_value
      - .offset:         200
        .size:           8
        .value_kind:     by_value
      - .offset:         208
        .size:           4
        .value_kind:     hidden_block_count_x
      - .offset:         212
        .size:           4
        .value_kind:     hidden_block_count_y
      - .offset:         216
        .size:           4
        .value_kind:     hidden_block_count_z
      - .offset:         220
        .size:           2
        .value_kind:     hidden_group_size_x
      - .offset:         222
        .size:           2
        .value_kind:     hidden_group_size_y
      - .offset:         224
        .size:           2
        .value_kind:     hidden_group_size_z
      - .offset:         226
        .size:           2
        .value_kind:     hidden_remainder_x
      - .offset:         228
        .size:           2
        .value_kind:     hidden_remainder_y
      - .offset:         230
        .size:           2
        .value_kind:     hidden_remainder_z
      - .offset:         248
        .size:           8
        .value_kind:     hidden_global_offset_x
      - .offset:         256
        .size:           8
        .value_kind:     hidden_global_offset_y
      - .offset:         264
        .size:           8
        .value_kind:     hidden_global_offset_z
      - .offset:         272
        .size:           2
        .value_kind:     hidden_grid_dims
    .group_segment_fixed_size: 19200
    .kernarg_segment_align: 8
    .kernarg_segment_size: 464
    .language:       OpenCL C
    .language_version:
      - 2
      - 0
    .max_flat_workgroup_size: 128
    .name:           _ZL15flash_attn_tileILi256ELi256ELi2ELi2ELb1EEvPKcS1_S1_S1_S1_PKiPfP15HIP_vector_typeIfLj2EEffffjfiS5_IjLj3EEiiiiiiiiiiiliiliiiiil
    .private_segment_fixed_size: 0
    .sgpr_count:     44
    .sgpr_spill_count: 0
    .symbol:         _ZL15flash_attn_tileILi256ELi256ELi2ELi2ELb1EEvPKcS1_S1_S1_S1_PKiPfP15HIP_vector_typeIfLj2EEffffjfiS5_IjLj3EEiiiiiiiiiiiliiliiiiil.kd
    .uniform_work_group_size: 1
    .uses_dynamic_stack: false
    .vgpr_count:     133
    .vgpr_spill_count: 0
    .wavefront_size: 32
    .workgroup_processor_mode: 1
  - .args:
      - .address_space:  global
        .offset:         0
        .size:           8
        .value_kind:     global_buffer
      - .address_space:  global
        .offset:         8
        .size:           8
        .value_kind:     global_buffer
      - .address_space:  global
        .offset:         16
        .size:           8
        .value_kind:     global_buffer
      - .address_space:  global
        .offset:         24
        .size:           8
        .value_kind:     global_buffer
      - .address_space:  global
        .offset:         32
        .size:           8
        .value_kind:     global_buffer
      - .address_space:  global
        .offset:         40
        .size:           8
        .value_kind:     global_buffer
      - .address_space:  global
        .offset:         48
        .size:           8
        .value_kind:     global_buffer
      - .address_space:  global
        .offset:         56
        .size:           8
        .value_kind:     global_buffer
      - .offset:         64
        .size:           4
        .value_kind:     by_value
      - .offset:         68
        .size:           4
        .value_kind:     by_value
      - .offset:         72
        .size:           4
        .value_kind:     by_value
      - .offset:         76
        .size:           4
        .value_kind:     by_value
      - .offset:         80
        .size:           4
        .value_kind:     by_value
      - .offset:         84
        .size:           4
        .value_kind:     by_value
      - .offset:         88
        .size:           4
        .value_kind:     by_value
      - .offset:         92
        .size:           12
        .value_kind:     by_value
      - .offset:         104
        .size:           4
        .value_kind:     by_value
      - .offset:         108
        .size:           4
        .value_kind:     by_value
      - .offset:         112
        .size:           4
        .value_kind:     by_value
      - .offset:         116
        .size:           4
        .value_kind:     by_value
      - .offset:         120
        .size:           4
        .value_kind:     by_value
      - .offset:         124
        .size:           4
        .value_kind:     by_value
      - .offset:         128
        .size:           4
        .value_kind:     by_value
      - .offset:         132
        .size:           4
        .value_kind:     by_value
      - .offset:         136
        .size:           4
        .value_kind:     by_value
      - .offset:         140
        .size:           4
        .value_kind:     by_value
      - .offset:         144
        .size:           4
        .value_kind:     by_value
      - .offset:         152
        .size:           8
        .value_kind:     by_value
      - .offset:         160
        .size:           4
        .value_kind:     by_value
      - .offset:         164
        .size:           4
        .value_kind:     by_value
      - .offset:         168
        .size:           8
        .value_kind:     by_value
      - .offset:         176
        .size:           4
        .value_kind:     by_value
      - .offset:         180
        .size:           4
        .value_kind:     by_value
      - .offset:         184
        .size:           4
        .value_kind:     by_value
      - .offset:         188
        .size:           4
        .value_kind:     by_value
      - .offset:         192
        .size:           4
        .value_kind:     by_value
      - .offset:         200
        .size:           8
        .value_kind:     by_value
      - .offset:         208
        .size:           4
        .value_kind:     hidden_block_count_x
      - .offset:         212
        .size:           4
        .value_kind:     hidden_block_count_y
      - .offset:         216
        .size:           4
        .value_kind:     hidden_block_count_z
      - .offset:         220
        .size:           2
        .value_kind:     hidden_group_size_x
      - .offset:         222
        .size:           2
        .value_kind:     hidden_group_size_y
      - .offset:         224
        .size:           2
        .value_kind:     hidden_group_size_z
      - .offset:         226
        .size:           2
        .value_kind:     hidden_remainder_x
      - .offset:         228
        .size:           2
        .value_kind:     hidden_remainder_y
      - .offset:         230
        .size:           2
        .value_kind:     hidden_remainder_z
      - .offset:         248
        .size:           8
        .value_kind:     hidden_global_offset_x
      - .offset:         256
        .size:           8
        .value_kind:     hidden_global_offset_y
      - .offset:         264
        .size:           8
        .value_kind:     hidden_global_offset_z
      - .offset:         272
        .size:           2
        .value_kind:     hidden_grid_dims
    .group_segment_fixed_size: 5760
    .kernarg_segment_align: 8
    .kernarg_segment_size: 464
    .language:       OpenCL C
    .language_version:
      - 2
      - 0
    .max_flat_workgroup_size: 64
    .name:           _ZL15flash_attn_tileILi256ELi256ELi1ELi2ELb1EEvPKcS1_S1_S1_S1_PKiPfP15HIP_vector_typeIfLj2EEffffjfiS5_IjLj3EEiiiiiiiiiiiliiliiiiil
    .private_segment_fixed_size: 0
    .sgpr_count:     42
    .sgpr_spill_count: 0
    .symbol:         _ZL15flash_attn_tileILi256ELi256ELi1ELi2ELb1EEvPKcS1_S1_S1_S1_PKiPfP15HIP_vector_typeIfLj2EEffffjfiS5_IjLj3EEiiiiiiiiiiiliiliiiiil.kd
    .uniform_work_group_size: 1
    .uses_dynamic_stack: false
    .vgpr_count:     155
    .vgpr_spill_count: 0
    .wavefront_size: 32
    .workgroup_processor_mode: 1
  - .args:
      - .address_space:  global
        .offset:         0
        .size:           8
        .value_kind:     global_buffer
      - .address_space:  global
        .offset:         8
        .size:           8
        .value_kind:     global_buffer
      - .address_space:  global
        .offset:         16
        .size:           8
        .value_kind:     global_buffer
      - .address_space:  global
        .offset:         24
        .size:           8
        .value_kind:     global_buffer
      - .address_space:  global
        .offset:         32
        .size:           8
        .value_kind:     global_buffer
      - .address_space:  global
        .offset:         40
        .size:           8
        .value_kind:     global_buffer
      - .address_space:  global
        .offset:         48
        .size:           8
        .value_kind:     global_buffer
      - .address_space:  global
        .offset:         56
        .size:           8
        .value_kind:     global_buffer
      - .offset:         64
        .size:           4
        .value_kind:     by_value
      - .offset:         68
        .size:           4
        .value_kind:     by_value
      - .offset:         72
        .size:           4
        .value_kind:     by_value
      - .offset:         76
        .size:           4
        .value_kind:     by_value
      - .offset:         80
        .size:           4
        .value_kind:     by_value
      - .offset:         84
        .size:           4
        .value_kind:     by_value
      - .offset:         88
        .size:           4
        .value_kind:     by_value
      - .offset:         92
        .size:           12
        .value_kind:     by_value
      - .offset:         104
        .size:           4
        .value_kind:     by_value
      - .offset:         108
        .size:           4
        .value_kind:     by_value
      - .offset:         112
        .size:           4
        .value_kind:     by_value
      - .offset:         116
        .size:           4
        .value_kind:     by_value
      - .offset:         120
        .size:           4
        .value_kind:     by_value
      - .offset:         124
        .size:           4
        .value_kind:     by_value
      - .offset:         128
        .size:           4
        .value_kind:     by_value
      - .offset:         132
        .size:           4
        .value_kind:     by_value
      - .offset:         136
        .size:           4
        .value_kind:     by_value
      - .offset:         140
        .size:           4
        .value_kind:     by_value
      - .offset:         144
        .size:           4
        .value_kind:     by_value
      - .offset:         152
        .size:           8
        .value_kind:     by_value
      - .offset:         160
        .size:           4
        .value_kind:     by_value
      - .offset:         164
        .size:           4
        .value_kind:     by_value
      - .offset:         168
        .size:           8
        .value_kind:     by_value
      - .offset:         176
        .size:           4
        .value_kind:     by_value
      - .offset:         180
        .size:           4
        .value_kind:     by_value
      - .offset:         184
        .size:           4
        .value_kind:     by_value
      - .offset:         188
        .size:           4
        .value_kind:     by_value
      - .offset:         192
        .size:           4
        .value_kind:     by_value
      - .offset:         200
        .size:           8
        .value_kind:     by_value
      - .offset:         208
        .size:           4
        .value_kind:     hidden_block_count_x
      - .offset:         212
        .size:           4
        .value_kind:     hidden_block_count_y
      - .offset:         216
        .size:           4
        .value_kind:     hidden_block_count_z
      - .offset:         220
        .size:           2
        .value_kind:     hidden_group_size_x
      - .offset:         222
        .size:           2
        .value_kind:     hidden_group_size_y
      - .offset:         224
        .size:           2
        .value_kind:     hidden_group_size_z
      - .offset:         226
        .size:           2
        .value_kind:     hidden_remainder_x
      - .offset:         228
        .size:           2
        .value_kind:     hidden_remainder_y
      - .offset:         230
        .size:           2
        .value_kind:     hidden_remainder_z
      - .offset:         248
        .size:           8
        .value_kind:     hidden_global_offset_x
      - .offset:         256
        .size:           8
        .value_kind:     hidden_global_offset_y
      - .offset:         264
        .size:           8
        .value_kind:     hidden_global_offset_z
      - .offset:         272
        .size:           2
        .value_kind:     hidden_grid_dims
    .group_segment_fixed_size: 41984
    .kernarg_segment_align: 8
    .kernarg_segment_size: 464
    .language:       OpenCL C
    .language_version:
      - 2
      - 0
    .max_flat_workgroup_size: 256
    .name:           _ZL15flash_attn_tileILi256ELi256ELi32ELi1ELb1EEvPKcS1_S1_S1_S1_PKiPfP15HIP_vector_typeIfLj2EEffffjfiS5_IjLj3EEiiiiiiiiiiiliiliiiiil
    .private_segment_fixed_size: 32
    .sgpr_count:     52
    .sgpr_spill_count: 0
    .symbol:         _ZL15flash_attn_tileILi256ELi256ELi32ELi1ELb1EEvPKcS1_S1_S1_S1_PKiPfP15HIP_vector_typeIfLj2EEffffjfiS5_IjLj3EEiiiiiiiiiiiliiliiiiil.kd
    .uniform_work_group_size: 1
    .uses_dynamic_stack: false
    .vgpr_count:     234
    .vgpr_spill_count: 0
    .wavefront_size: 32
    .workgroup_processor_mode: 1
  - .args:
      - .address_space:  global
        .offset:         0
        .size:           8
        .value_kind:     global_buffer
      - .address_space:  global
        .offset:         8
        .size:           8
        .value_kind:     global_buffer
      - .address_space:  global
        .offset:         16
        .size:           8
        .value_kind:     global_buffer
      - .address_space:  global
        .offset:         24
        .size:           8
        .value_kind:     global_buffer
      - .address_space:  global
        .offset:         32
        .size:           8
        .value_kind:     global_buffer
      - .address_space:  global
        .offset:         40
        .size:           8
        .value_kind:     global_buffer
      - .address_space:  global
        .offset:         48
        .size:           8
        .value_kind:     global_buffer
      - .address_space:  global
        .offset:         56
        .size:           8
        .value_kind:     global_buffer
      - .offset:         64
        .size:           4
        .value_kind:     by_value
      - .offset:         68
        .size:           4
        .value_kind:     by_value
      - .offset:         72
        .size:           4
        .value_kind:     by_value
      - .offset:         76
        .size:           4
        .value_kind:     by_value
      - .offset:         80
        .size:           4
        .value_kind:     by_value
      - .offset:         84
        .size:           4
        .value_kind:     by_value
      - .offset:         88
        .size:           4
        .value_kind:     by_value
      - .offset:         92
        .size:           12
        .value_kind:     by_value
      - .offset:         104
        .size:           4
        .value_kind:     by_value
      - .offset:         108
        .size:           4
        .value_kind:     by_value
      - .offset:         112
        .size:           4
        .value_kind:     by_value
      - .offset:         116
        .size:           4
        .value_kind:     by_value
      - .offset:         120
        .size:           4
        .value_kind:     by_value
      - .offset:         124
        .size:           4
        .value_kind:     by_value
      - .offset:         128
        .size:           4
        .value_kind:     by_value
      - .offset:         132
        .size:           4
        .value_kind:     by_value
      - .offset:         136
        .size:           4
        .value_kind:     by_value
      - .offset:         140
        .size:           4
        .value_kind:     by_value
      - .offset:         144
        .size:           4
        .value_kind:     by_value
      - .offset:         152
        .size:           8
        .value_kind:     by_value
      - .offset:         160
        .size:           4
        .value_kind:     by_value
      - .offset:         164
        .size:           4
        .value_kind:     by_value
      - .offset:         168
        .size:           8
        .value_kind:     by_value
      - .offset:         176
        .size:           4
        .value_kind:     by_value
      - .offset:         180
        .size:           4
        .value_kind:     by_value
      - .offset:         184
        .size:           4
        .value_kind:     by_value
      - .offset:         188
        .size:           4
        .value_kind:     by_value
      - .offset:         192
        .size:           4
        .value_kind:     by_value
      - .offset:         200
        .size:           8
        .value_kind:     by_value
      - .offset:         208
        .size:           4
        .value_kind:     hidden_block_count_x
      - .offset:         212
        .size:           4
        .value_kind:     hidden_block_count_y
      - .offset:         216
        .size:           4
        .value_kind:     hidden_block_count_z
      - .offset:         220
        .size:           2
        .value_kind:     hidden_group_size_x
      - .offset:         222
        .size:           2
        .value_kind:     hidden_group_size_y
      - .offset:         224
        .size:           2
        .value_kind:     hidden_group_size_z
      - .offset:         226
        .size:           2
        .value_kind:     hidden_remainder_x
      - .offset:         228
        .size:           2
        .value_kind:     hidden_remainder_y
      - .offset:         230
        .size:           2
        .value_kind:     hidden_remainder_z
      - .offset:         248
        .size:           8
        .value_kind:     hidden_global_offset_x
      - .offset:         256
        .size:           8
        .value_kind:     hidden_global_offset_y
      - .offset:         264
        .size:           8
        .value_kind:     hidden_global_offset_z
      - .offset:         272
        .size:           2
        .value_kind:     hidden_grid_dims
    .group_segment_fixed_size: 26112
    .kernarg_segment_align: 8
    .kernarg_segment_size: 464
    .language:       OpenCL C
    .language_version:
      - 2
      - 0
    .max_flat_workgroup_size: 256
    .name:           _ZL15flash_attn_tileILi256ELi256ELi16ELi1ELb1EEvPKcS1_S1_S1_S1_PKiPfP15HIP_vector_typeIfLj2EEffffjfiS5_IjLj3EEiiiiiiiiiiiliiliiiiil
    .private_segment_fixed_size: 32
    .sgpr_count:     49
    .sgpr_spill_count: 0
    .symbol:         _ZL15flash_attn_tileILi256ELi256ELi16ELi1ELb1EEvPKcS1_S1_S1_S1_PKiPfP15HIP_vector_typeIfLj2EEffffjfiS5_IjLj3EEiiiiiiiiiiiliiliiiiil.kd
    .uniform_work_group_size: 1
    .uses_dynamic_stack: false
    .vgpr_count:     219
    .vgpr_spill_count: 0
    .wavefront_size: 32
    .workgroup_processor_mode: 1
  - .args:
      - .address_space:  global
        .offset:         0
        .size:           8
        .value_kind:     global_buffer
      - .address_space:  global
        .offset:         8
        .size:           8
        .value_kind:     global_buffer
      - .address_space:  global
        .offset:         16
        .size:           8
        .value_kind:     global_buffer
      - .address_space:  global
        .offset:         24
        .size:           8
        .value_kind:     global_buffer
      - .address_space:  global
        .offset:         32
        .size:           8
        .value_kind:     global_buffer
      - .address_space:  global
        .offset:         40
        .size:           8
        .value_kind:     global_buffer
      - .address_space:  global
        .offset:         48
        .size:           8
        .value_kind:     global_buffer
      - .address_space:  global
        .offset:         56
        .size:           8
        .value_kind:     global_buffer
      - .offset:         64
        .size:           4
        .value_kind:     by_value
      - .offset:         68
        .size:           4
        .value_kind:     by_value
      - .offset:         72
        .size:           4
        .value_kind:     by_value
      - .offset:         76
        .size:           4
        .value_kind:     by_value
      - .offset:         80
        .size:           4
        .value_kind:     by_value
      - .offset:         84
        .size:           4
        .value_kind:     by_value
      - .offset:         88
        .size:           4
        .value_kind:     by_value
      - .offset:         92
        .size:           12
        .value_kind:     by_value
      - .offset:         104
        .size:           4
        .value_kind:     by_value
      - .offset:         108
        .size:           4
        .value_kind:     by_value
      - .offset:         112
        .size:           4
        .value_kind:     by_value
      - .offset:         116
        .size:           4
        .value_kind:     by_value
      - .offset:         120
        .size:           4
        .value_kind:     by_value
      - .offset:         124
        .size:           4
        .value_kind:     by_value
      - .offset:         128
        .size:           4
        .value_kind:     by_value
      - .offset:         132
        .size:           4
        .value_kind:     by_value
      - .offset:         136
        .size:           4
        .value_kind:     by_value
      - .offset:         140
        .size:           4
        .value_kind:     by_value
      - .offset:         144
        .size:           4
        .value_kind:     by_value
      - .offset:         152
        .size:           8
        .value_kind:     by_value
      - .offset:         160
        .size:           4
        .value_kind:     by_value
      - .offset:         164
        .size:           4
        .value_kind:     by_value
      - .offset:         168
        .size:           8
        .value_kind:     by_value
      - .offset:         176
        .size:           4
        .value_kind:     by_value
      - .offset:         180
        .size:           4
        .value_kind:     by_value
      - .offset:         184
        .size:           4
        .value_kind:     by_value
      - .offset:         188
        .size:           4
        .value_kind:     by_value
      - .offset:         192
        .size:           4
        .value_kind:     by_value
      - .offset:         200
        .size:           8
        .value_kind:     by_value
      - .offset:         208
        .size:           4
        .value_kind:     hidden_block_count_x
      - .offset:         212
        .size:           4
        .value_kind:     hidden_block_count_y
      - .offset:         216
        .size:           4
        .value_kind:     hidden_block_count_z
      - .offset:         220
        .size:           2
        .value_kind:     hidden_group_size_x
      - .offset:         222
        .size:           2
        .value_kind:     hidden_group_size_y
      - .offset:         224
        .size:           2
        .value_kind:     hidden_group_size_z
      - .offset:         226
        .size:           2
        .value_kind:     hidden_remainder_x
      - .offset:         228
        .size:           2
        .value_kind:     hidden_remainder_y
      - .offset:         230
        .size:           2
        .value_kind:     hidden_remainder_z
      - .offset:         248
        .size:           8
        .value_kind:     hidden_global_offset_x
      - .offset:         256
        .size:           8
        .value_kind:     hidden_global_offset_y
      - .offset:         264
        .size:           8
        .value_kind:     hidden_global_offset_z
      - .offset:         272
        .size:           2
        .value_kind:     hidden_grid_dims
    .group_segment_fixed_size: 21504
    .kernarg_segment_align: 8
    .kernarg_segment_size: 464
    .language:       OpenCL C
    .language_version:
      - 2
      - 0
    .max_flat_workgroup_size: 128
    .name:           _ZL15flash_attn_tileILi256ELi256ELi8ELi1ELb1EEvPKcS1_S1_S1_S1_PKiPfP15HIP_vector_typeIfLj2EEffffjfiS5_IjLj3EEiiiiiiiiiiiliiliiiiil
    .private_segment_fixed_size: 32
    .sgpr_count:     49
    .sgpr_spill_count: 0
    .symbol:         _ZL15flash_attn_tileILi256ELi256ELi8ELi1ELb1EEvPKcS1_S1_S1_S1_PKiPfP15HIP_vector_typeIfLj2EEffffjfiS5_IjLj3EEiiiiiiiiiiiliiliiiiil.kd
    .uniform_work_group_size: 1
    .uses_dynamic_stack: false
    .vgpr_count:     194
    .vgpr_spill_count: 0
    .wavefront_size: 32
    .workgroup_processor_mode: 1
  - .args:
      - .address_space:  global
        .offset:         0
        .size:           8
        .value_kind:     global_buffer
      - .address_space:  global
        .offset:         8
        .size:           8
        .value_kind:     global_buffer
      - .address_space:  global
        .offset:         16
        .size:           8
        .value_kind:     global_buffer
      - .address_space:  global
        .offset:         24
        .size:           8
        .value_kind:     global_buffer
      - .address_space:  global
        .offset:         32
        .size:           8
        .value_kind:     global_buffer
      - .address_space:  global
        .offset:         40
        .size:           8
        .value_kind:     global_buffer
      - .address_space:  global
        .offset:         48
        .size:           8
        .value_kind:     global_buffer
      - .address_space:  global
        .offset:         56
        .size:           8
        .value_kind:     global_buffer
      - .offset:         64
        .size:           4
        .value_kind:     by_value
      - .offset:         68
        .size:           4
        .value_kind:     by_value
      - .offset:         72
        .size:           4
        .value_kind:     by_value
      - .offset:         76
        .size:           4
        .value_kind:     by_value
      - .offset:         80
        .size:           4
        .value_kind:     by_value
      - .offset:         84
        .size:           4
        .value_kind:     by_value
      - .offset:         88
        .size:           4
        .value_kind:     by_value
      - .offset:         92
        .size:           12
        .value_kind:     by_value
      - .offset:         104
        .size:           4
        .value_kind:     by_value
      - .offset:         108
        .size:           4
        .value_kind:     by_value
      - .offset:         112
        .size:           4
        .value_kind:     by_value
      - .offset:         116
        .size:           4
        .value_kind:     by_value
      - .offset:         120
        .size:           4
        .value_kind:     by_value
      - .offset:         124
        .size:           4
        .value_kind:     by_value
      - .offset:         128
        .size:           4
        .value_kind:     by_value
      - .offset:         132
        .size:           4
        .value_kind:     by_value
      - .offset:         136
        .size:           4
        .value_kind:     by_value
      - .offset:         140
        .size:           4
        .value_kind:     by_value
      - .offset:         144
        .size:           4
        .value_kind:     by_value
      - .offset:         152
        .size:           8
        .value_kind:     by_value
      - .offset:         160
        .size:           4
        .value_kind:     by_value
      - .offset:         164
        .size:           4
        .value_kind:     by_value
      - .offset:         168
        .size:           8
        .value_kind:     by_value
      - .offset:         176
        .size:           4
        .value_kind:     by_value
      - .offset:         180
        .size:           4
        .value_kind:     by_value
      - .offset:         184
        .size:           4
        .value_kind:     by_value
      - .offset:         188
        .size:           4
        .value_kind:     by_value
      - .offset:         192
        .size:           4
        .value_kind:     by_value
      - .offset:         200
        .size:           8
        .value_kind:     by_value
      - .offset:         208
        .size:           4
        .value_kind:     hidden_block_count_x
      - .offset:         212
        .size:           4
        .value_kind:     hidden_block_count_y
      - .offset:         216
        .size:           4
        .value_kind:     hidden_block_count_z
      - .offset:         220
        .size:           2
        .value_kind:     hidden_group_size_x
      - .offset:         222
        .size:           2
        .value_kind:     hidden_group_size_y
      - .offset:         224
        .size:           2
        .value_kind:     hidden_group_size_z
      - .offset:         226
        .size:           2
        .value_kind:     hidden_remainder_x
      - .offset:         228
        .size:           2
        .value_kind:     hidden_remainder_y
      - .offset:         230
        .size:           2
        .value_kind:     hidden_remainder_z
      - .offset:         248
        .size:           8
        .value_kind:     hidden_global_offset_x
      - .offset:         256
        .size:           8
        .value_kind:     hidden_global_offset_y
      - .offset:         264
        .size:           8
        .value_kind:     hidden_global_offset_z
      - .offset:         272
        .size:           2
        .value_kind:     hidden_grid_dims
    .group_segment_fixed_size: 21248
    .kernarg_segment_align: 8
    .kernarg_segment_size: 464
    .language:       OpenCL C
    .language_version:
      - 2
      - 0
    .max_flat_workgroup_size: 128
    .name:           _ZL15flash_attn_tileILi256ELi256ELi4ELi1ELb1EEvPKcS1_S1_S1_S1_PKiPfP15HIP_vector_typeIfLj2EEffffjfiS5_IjLj3EEiiiiiiiiiiiliiliiiiil
    .private_segment_fixed_size: 32
    .sgpr_count:     54
    .sgpr_spill_count: 0
    .symbol:         _ZL15flash_attn_tileILi256ELi256ELi4ELi1ELb1EEvPKcS1_S1_S1_S1_PKiPfP15HIP_vector_typeIfLj2EEffffjfiS5_IjLj3EEiiiiiiiiiiiliiliiiiil.kd
    .uniform_work_group_size: 1
    .uses_dynamic_stack: false
    .vgpr_count:     137
    .vgpr_spill_count: 0
    .wavefront_size: 32
    .workgroup_processor_mode: 1
  - .args:
      - .address_space:  global
        .offset:         0
        .size:           8
        .value_kind:     global_buffer
      - .address_space:  global
        .offset:         8
        .size:           8
        .value_kind:     global_buffer
      - .address_space:  global
        .offset:         16
        .size:           8
        .value_kind:     global_buffer
      - .address_space:  global
        .offset:         24
        .size:           8
        .value_kind:     global_buffer
      - .address_space:  global
        .offset:         32
        .size:           8
        .value_kind:     global_buffer
      - .address_space:  global
        .offset:         40
        .size:           8
        .value_kind:     global_buffer
      - .address_space:  global
        .offset:         48
        .size:           8
        .value_kind:     global_buffer
      - .address_space:  global
        .offset:         56
        .size:           8
        .value_kind:     global_buffer
      - .offset:         64
        .size:           4
        .value_kind:     by_value
      - .offset:         68
        .size:           4
        .value_kind:     by_value
      - .offset:         72
        .size:           4
        .value_kind:     by_value
      - .offset:         76
        .size:           4
        .value_kind:     by_value
      - .offset:         80
        .size:           4
        .value_kind:     by_value
      - .offset:         84
        .size:           4
        .value_kind:     by_value
      - .offset:         88
        .size:           4
        .value_kind:     by_value
      - .offset:         92
        .size:           12
        .value_kind:     by_value
      - .offset:         104
        .size:           4
        .value_kind:     by_value
      - .offset:         108
        .size:           4
        .value_kind:     by_value
      - .offset:         112
        .size:           4
        .value_kind:     by_value
      - .offset:         116
        .size:           4
        .value_kind:     by_value
      - .offset:         120
        .size:           4
        .value_kind:     by_value
      - .offset:         124
        .size:           4
        .value_kind:     by_value
      - .offset:         128
        .size:           4
        .value_kind:     by_value
      - .offset:         132
        .size:           4
        .value_kind:     by_value
      - .offset:         136
        .size:           4
        .value_kind:     by_value
      - .offset:         140
        .size:           4
        .value_kind:     by_value
      - .offset:         144
        .size:           4
        .value_kind:     by_value
      - .offset:         152
        .size:           8
        .value_kind:     by_value
      - .offset:         160
        .size:           4
        .value_kind:     by_value
      - .offset:         164
        .size:           4
        .value_kind:     by_value
      - .offset:         168
        .size:           8
        .value_kind:     by_value
      - .offset:         176
        .size:           4
        .value_kind:     by_value
      - .offset:         180
        .size:           4
        .value_kind:     by_value
      - .offset:         184
        .size:           4
        .value_kind:     by_value
      - .offset:         188
        .size:           4
        .value_kind:     by_value
      - .offset:         192
        .size:           4
        .value_kind:     by_value
      - .offset:         200
        .size:           8
        .value_kind:     by_value
      - .offset:         208
        .size:           4
        .value_kind:     hidden_block_count_x
      - .offset:         212
        .size:           4
        .value_kind:     hidden_block_count_y
      - .offset:         216
        .size:           4
        .value_kind:     hidden_block_count_z
      - .offset:         220
        .size:           2
        .value_kind:     hidden_group_size_x
      - .offset:         222
        .size:           2
        .value_kind:     hidden_group_size_y
      - .offset:         224
        .size:           2
        .value_kind:     hidden_group_size_z
      - .offset:         226
        .size:           2
        .value_kind:     hidden_remainder_x
      - .offset:         228
        .size:           2
        .value_kind:     hidden_remainder_y
      - .offset:         230
        .size:           2
        .value_kind:     hidden_remainder_z
      - .offset:         248
        .size:           8
        .value_kind:     hidden_global_offset_x
      - .offset:         256
        .size:           8
        .value_kind:     hidden_global_offset_y
      - .offset:         264
        .size:           8
        .value_kind:     hidden_global_offset_z
      - .offset:         272
        .size:           2
        .value_kind:     hidden_grid_dims
    .group_segment_fixed_size: 5760
    .kernarg_segment_align: 8
    .kernarg_segment_size: 464
    .language:       OpenCL C
    .language_version:
      - 2
      - 0
    .max_flat_workgroup_size: 64
    .name:           _ZL15flash_attn_tileILi256ELi256ELi2ELi1ELb1EEvPKcS1_S1_S1_S1_PKiPfP15HIP_vector_typeIfLj2EEffffjfiS5_IjLj3EEiiiiiiiiiiiliiliiiiil
    .private_segment_fixed_size: 32
    .sgpr_count:     54
    .sgpr_spill_count: 0
    .symbol:         _ZL15flash_attn_tileILi256ELi256ELi2ELi1ELb1EEvPKcS1_S1_S1_S1_PKiPfP15HIP_vector_typeIfLj2EEffffjfiS5_IjLj3EEiiiiiiiiiiiliiliiiiil.kd
    .uniform_work_group_size: 1
    .uses_dynamic_stack: false
    .vgpr_count:     180
    .vgpr_spill_count: 0
    .wavefront_size: 32
    .workgroup_processor_mode: 1
amdhsa.target:   amdgcn-amd-amdhsa--gfx1100
amdhsa.version:
  - 1
  - 2
...

	.end_amdgpu_metadata
